;; amdgpu-corpus repo=ROCm/rocSPARSE kind=compiled arch=gfx950 opt=O3
	.amdgcn_target "amdgcn-amd-amdhsa--gfx950"
	.amdhsa_code_object_version 6
	.section	.text._ZN9rocsparseL16csr2dense_kernelILi16ELi32EiiDF16_EEviT2_S1_PKT3_PKT1_PKS1_PS2_l16rocsparse_order_,"axG",@progbits,_ZN9rocsparseL16csr2dense_kernelILi16ELi32EiiDF16_EEviT2_S1_PKT3_PKT1_PKS1_PS2_l16rocsparse_order_,comdat
	.globl	_ZN9rocsparseL16csr2dense_kernelILi16ELi32EiiDF16_EEviT2_S1_PKT3_PKT1_PKS1_PS2_l16rocsparse_order_ ; -- Begin function _ZN9rocsparseL16csr2dense_kernelILi16ELi32EiiDF16_EEviT2_S1_PKT3_PKT1_PKS1_PS2_l16rocsparse_order_
	.p2align	8
	.type	_ZN9rocsparseL16csr2dense_kernelILi16ELi32EiiDF16_EEviT2_S1_PKT3_PKT1_PKS1_PS2_l16rocsparse_order_,@function
_ZN9rocsparseL16csr2dense_kernelILi16ELi32EiiDF16_EEviT2_S1_PKT3_PKT1_PKS1_PS2_l16rocsparse_order_: ; @_ZN9rocsparseL16csr2dense_kernelILi16ELi32EiiDF16_EEviT2_S1_PKT3_PKT1_PKS1_PS2_l16rocsparse_order_
; %bb.0:
	s_load_dwordx2 s[8:9], s[0:1], 0x0
	v_lshrrev_b32_e32 v1, 5, v0
	v_lshl_or_b32 v2, s2, 4, v1
	s_waitcnt lgkmcnt(0)
	v_cmp_gt_i32_e32 vcc, s9, v2
	s_and_saveexec_b64 s[2:3], vcc
	s_cbranch_execz .LBB0_8
; %bb.1:
	s_load_dwordx2 s[2:3], s[0:1], 0x18
	v_ashrrev_i32_e32 v3, 31, v2
	v_and_b32_e32 v6, 31, v0
	s_waitcnt lgkmcnt(0)
	v_lshl_add_u64 v[4:5], v[2:3], 2, s[2:3]
	global_load_dwordx2 v[4:5], v[4:5], off
	s_waitcnt vmcnt(0)
	v_sub_u32_e32 v7, v5, v4
	v_cmp_lt_i32_e32 vcc, v6, v7
	s_and_b64 exec, exec, vcc
	s_cbranch_execz .LBB0_8
; %bb.2:
	s_load_dwordx4 s[4:7], s[0:1], 0x20
	s_load_dword s9, s[0:1], 0x38
	s_load_dwordx2 s[2:3], s[0:1], 0x10
	s_load_dwordx2 s[10:11], s[0:1], 0x30
	v_subrev_u32_e32 v8, s8, v4
	s_waitcnt lgkmcnt(0)
	v_lshl_add_u64 v[0:1], v[2:3], 1, s[6:7]
	s_cmp_lg_u32 s9, 1
	s_cselect_b64 s[0:1], -1, 0
	v_mul_lo_u32 v4, s11, v2
	v_mul_lo_u32 v5, s10, v3
	v_mad_u64_u32 v[2:3], s[12:13], s10, v2, 0
	v_add3_u32 v3, v3, v5, v4
	v_lshl_add_u64 v[2:3], v[2:3], 1, s[6:7]
	s_mov_b64 s[6:7], 0
	s_branch .LBB0_4
.LBB0_3:                                ;   in Loop: Header=BB0_4 Depth=1
	v_add_u32_e32 v6, 32, v6
	v_cmp_ge_i32_e32 vcc, v6, v7
	s_or_b64 s[6:7], vcc, s[6:7]
	s_andn2_b64 exec, exec, s[6:7]
	s_cbranch_execz .LBB0_8
.LBB0_4:                                ; =>This Inner Loop Header: Depth=1
	v_add_u32_e32 v4, v8, v6
	v_ashrrev_i32_e32 v5, 31, v4
	v_lshl_add_u64 v[10:11], v[4:5], 2, s[4:5]
	s_barrier
	global_load_dword v10, v[10:11], off
	v_lshl_add_u64 v[4:5], v[4:5], 1, s[2:3]
	global_load_ushort v9, v[4:5], off
	s_mov_b64 s[12:13], -1
	s_and_b64 vcc, exec, s[0:1]
	s_waitcnt vmcnt(1)
	v_subrev_u32_e32 v4, s8, v10
	v_ashrrev_i32_e32 v5, 31, v4
	s_cbranch_vccz .LBB0_6
; %bb.5:                                ;   in Loop: Header=BB0_4 Depth=1
	v_lshl_add_u64 v[10:11], v[4:5], 1, v[2:3]
	s_waitcnt vmcnt(0)
	global_store_short v[10:11], v9, off
	s_mov_b64 s[12:13], 0
.LBB0_6:                                ;   in Loop: Header=BB0_4 Depth=1
	s_andn2_b64 vcc, exec, s[12:13]
	s_cbranch_vccnz .LBB0_3
; %bb.7:                                ;   in Loop: Header=BB0_4 Depth=1
	v_mul_lo_u32 v10, s11, v4
	v_mul_lo_u32 v11, s10, v5
	v_mad_u64_u32 v[4:5], s[12:13], s10, v4, 0
	v_add3_u32 v5, v5, v11, v10
	v_lshl_add_u64 v[4:5], v[4:5], 1, v[0:1]
	s_waitcnt vmcnt(0)
	global_store_short v[4:5], v9, off
	s_branch .LBB0_3
.LBB0_8:
	s_endpgm
	.section	.rodata,"a",@progbits
	.p2align	6, 0x0
	.amdhsa_kernel _ZN9rocsparseL16csr2dense_kernelILi16ELi32EiiDF16_EEviT2_S1_PKT3_PKT1_PKS1_PS2_l16rocsparse_order_
		.amdhsa_group_segment_fixed_size 0
		.amdhsa_private_segment_fixed_size 0
		.amdhsa_kernarg_size 60
		.amdhsa_user_sgpr_count 2
		.amdhsa_user_sgpr_dispatch_ptr 0
		.amdhsa_user_sgpr_queue_ptr 0
		.amdhsa_user_sgpr_kernarg_segment_ptr 1
		.amdhsa_user_sgpr_dispatch_id 0
		.amdhsa_user_sgpr_kernarg_preload_length 0
		.amdhsa_user_sgpr_kernarg_preload_offset 0
		.amdhsa_user_sgpr_private_segment_size 0
		.amdhsa_uses_dynamic_stack 0
		.amdhsa_enable_private_segment 0
		.amdhsa_system_sgpr_workgroup_id_x 1
		.amdhsa_system_sgpr_workgroup_id_y 0
		.amdhsa_system_sgpr_workgroup_id_z 0
		.amdhsa_system_sgpr_workgroup_info 0
		.amdhsa_system_vgpr_workitem_id 0
		.amdhsa_next_free_vgpr 12
		.amdhsa_next_free_sgpr 14
		.amdhsa_accum_offset 12
		.amdhsa_reserve_vcc 1
		.amdhsa_float_round_mode_32 0
		.amdhsa_float_round_mode_16_64 0
		.amdhsa_float_denorm_mode_32 3
		.amdhsa_float_denorm_mode_16_64 3
		.amdhsa_dx10_clamp 1
		.amdhsa_ieee_mode 1
		.amdhsa_fp16_overflow 0
		.amdhsa_tg_split 0
		.amdhsa_exception_fp_ieee_invalid_op 0
		.amdhsa_exception_fp_denorm_src 0
		.amdhsa_exception_fp_ieee_div_zero 0
		.amdhsa_exception_fp_ieee_overflow 0
		.amdhsa_exception_fp_ieee_underflow 0
		.amdhsa_exception_fp_ieee_inexact 0
		.amdhsa_exception_int_div_zero 0
	.end_amdhsa_kernel
	.section	.text._ZN9rocsparseL16csr2dense_kernelILi16ELi32EiiDF16_EEviT2_S1_PKT3_PKT1_PKS1_PS2_l16rocsparse_order_,"axG",@progbits,_ZN9rocsparseL16csr2dense_kernelILi16ELi32EiiDF16_EEviT2_S1_PKT3_PKT1_PKS1_PS2_l16rocsparse_order_,comdat
.Lfunc_end0:
	.size	_ZN9rocsparseL16csr2dense_kernelILi16ELi32EiiDF16_EEviT2_S1_PKT3_PKT1_PKS1_PS2_l16rocsparse_order_, .Lfunc_end0-_ZN9rocsparseL16csr2dense_kernelILi16ELi32EiiDF16_EEviT2_S1_PKT3_PKT1_PKS1_PS2_l16rocsparse_order_
                                        ; -- End function
	.set _ZN9rocsparseL16csr2dense_kernelILi16ELi32EiiDF16_EEviT2_S1_PKT3_PKT1_PKS1_PS2_l16rocsparse_order_.num_vgpr, 12
	.set _ZN9rocsparseL16csr2dense_kernelILi16ELi32EiiDF16_EEviT2_S1_PKT3_PKT1_PKS1_PS2_l16rocsparse_order_.num_agpr, 0
	.set _ZN9rocsparseL16csr2dense_kernelILi16ELi32EiiDF16_EEviT2_S1_PKT3_PKT1_PKS1_PS2_l16rocsparse_order_.numbered_sgpr, 14
	.set _ZN9rocsparseL16csr2dense_kernelILi16ELi32EiiDF16_EEviT2_S1_PKT3_PKT1_PKS1_PS2_l16rocsparse_order_.num_named_barrier, 0
	.set _ZN9rocsparseL16csr2dense_kernelILi16ELi32EiiDF16_EEviT2_S1_PKT3_PKT1_PKS1_PS2_l16rocsparse_order_.private_seg_size, 0
	.set _ZN9rocsparseL16csr2dense_kernelILi16ELi32EiiDF16_EEviT2_S1_PKT3_PKT1_PKS1_PS2_l16rocsparse_order_.uses_vcc, 1
	.set _ZN9rocsparseL16csr2dense_kernelILi16ELi32EiiDF16_EEviT2_S1_PKT3_PKT1_PKS1_PS2_l16rocsparse_order_.uses_flat_scratch, 0
	.set _ZN9rocsparseL16csr2dense_kernelILi16ELi32EiiDF16_EEviT2_S1_PKT3_PKT1_PKS1_PS2_l16rocsparse_order_.has_dyn_sized_stack, 0
	.set _ZN9rocsparseL16csr2dense_kernelILi16ELi32EiiDF16_EEviT2_S1_PKT3_PKT1_PKS1_PS2_l16rocsparse_order_.has_recursion, 0
	.set _ZN9rocsparseL16csr2dense_kernelILi16ELi32EiiDF16_EEviT2_S1_PKT3_PKT1_PKS1_PS2_l16rocsparse_order_.has_indirect_call, 0
	.section	.AMDGPU.csdata,"",@progbits
; Kernel info:
; codeLenInByte = 376
; TotalNumSgprs: 20
; NumVgprs: 12
; NumAgprs: 0
; TotalNumVgprs: 12
; ScratchSize: 0
; MemoryBound: 0
; FloatMode: 240
; IeeeMode: 1
; LDSByteSize: 0 bytes/workgroup (compile time only)
; SGPRBlocks: 2
; VGPRBlocks: 1
; NumSGPRsForWavesPerEU: 20
; NumVGPRsForWavesPerEU: 12
; AccumOffset: 12
; Occupancy: 8
; WaveLimiterHint : 1
; COMPUTE_PGM_RSRC2:SCRATCH_EN: 0
; COMPUTE_PGM_RSRC2:USER_SGPR: 2
; COMPUTE_PGM_RSRC2:TRAP_HANDLER: 0
; COMPUTE_PGM_RSRC2:TGID_X_EN: 1
; COMPUTE_PGM_RSRC2:TGID_Y_EN: 0
; COMPUTE_PGM_RSRC2:TGID_Z_EN: 0
; COMPUTE_PGM_RSRC2:TIDIG_COMP_CNT: 0
; COMPUTE_PGM_RSRC3_GFX90A:ACCUM_OFFSET: 2
; COMPUTE_PGM_RSRC3_GFX90A:TG_SPLIT: 0
	.section	.text._ZN9rocsparseL16csr2dense_kernelILi16ELi64EiiDF16_EEviT2_S1_PKT3_PKT1_PKS1_PS2_l16rocsparse_order_,"axG",@progbits,_ZN9rocsparseL16csr2dense_kernelILi16ELi64EiiDF16_EEviT2_S1_PKT3_PKT1_PKS1_PS2_l16rocsparse_order_,comdat
	.globl	_ZN9rocsparseL16csr2dense_kernelILi16ELi64EiiDF16_EEviT2_S1_PKT3_PKT1_PKS1_PS2_l16rocsparse_order_ ; -- Begin function _ZN9rocsparseL16csr2dense_kernelILi16ELi64EiiDF16_EEviT2_S1_PKT3_PKT1_PKS1_PS2_l16rocsparse_order_
	.p2align	8
	.type	_ZN9rocsparseL16csr2dense_kernelILi16ELi64EiiDF16_EEviT2_S1_PKT3_PKT1_PKS1_PS2_l16rocsparse_order_,@function
_ZN9rocsparseL16csr2dense_kernelILi16ELi64EiiDF16_EEviT2_S1_PKT3_PKT1_PKS1_PS2_l16rocsparse_order_: ; @_ZN9rocsparseL16csr2dense_kernelILi16ELi64EiiDF16_EEviT2_S1_PKT3_PKT1_PKS1_PS2_l16rocsparse_order_
; %bb.0:
	s_load_dwordx2 s[8:9], s[0:1], 0x0
	v_lshrrev_b32_e32 v1, 6, v0
	v_lshl_or_b32 v2, s2, 4, v1
	s_waitcnt lgkmcnt(0)
	v_cmp_gt_i32_e32 vcc, s9, v2
	s_and_saveexec_b64 s[2:3], vcc
	s_cbranch_execz .LBB1_8
; %bb.1:
	s_load_dwordx2 s[2:3], s[0:1], 0x18
	v_ashrrev_i32_e32 v3, 31, v2
	v_and_b32_e32 v6, 63, v0
	s_waitcnt lgkmcnt(0)
	v_lshl_add_u64 v[4:5], v[2:3], 2, s[2:3]
	global_load_dwordx2 v[4:5], v[4:5], off
	s_waitcnt vmcnt(0)
	v_sub_u32_e32 v7, v5, v4
	v_cmp_lt_i32_e32 vcc, v6, v7
	s_and_b64 exec, exec, vcc
	s_cbranch_execz .LBB1_8
; %bb.2:
	s_load_dwordx4 s[4:7], s[0:1], 0x20
	s_load_dword s9, s[0:1], 0x38
	s_load_dwordx2 s[2:3], s[0:1], 0x10
	s_load_dwordx2 s[10:11], s[0:1], 0x30
	v_subrev_u32_e32 v8, s8, v4
	s_waitcnt lgkmcnt(0)
	v_lshl_add_u64 v[0:1], v[2:3], 1, s[6:7]
	s_cmp_lg_u32 s9, 1
	s_cselect_b64 s[0:1], -1, 0
	v_mul_lo_u32 v4, s11, v2
	v_mul_lo_u32 v5, s10, v3
	v_mad_u64_u32 v[2:3], s[12:13], s10, v2, 0
	v_add3_u32 v3, v3, v5, v4
	v_lshl_add_u64 v[2:3], v[2:3], 1, s[6:7]
	s_mov_b64 s[6:7], 0
	s_branch .LBB1_4
.LBB1_3:                                ;   in Loop: Header=BB1_4 Depth=1
	v_add_u32_e32 v6, 64, v6
	v_cmp_ge_i32_e32 vcc, v6, v7
	s_or_b64 s[6:7], vcc, s[6:7]
	s_andn2_b64 exec, exec, s[6:7]
	s_cbranch_execz .LBB1_8
.LBB1_4:                                ; =>This Inner Loop Header: Depth=1
	v_add_u32_e32 v4, v8, v6
	v_ashrrev_i32_e32 v5, 31, v4
	v_lshl_add_u64 v[10:11], v[4:5], 2, s[4:5]
	s_barrier
	global_load_dword v10, v[10:11], off
	v_lshl_add_u64 v[4:5], v[4:5], 1, s[2:3]
	global_load_ushort v9, v[4:5], off
	s_mov_b64 s[12:13], -1
	s_and_b64 vcc, exec, s[0:1]
	s_waitcnt vmcnt(1)
	v_subrev_u32_e32 v4, s8, v10
	v_ashrrev_i32_e32 v5, 31, v4
	s_cbranch_vccz .LBB1_6
; %bb.5:                                ;   in Loop: Header=BB1_4 Depth=1
	v_lshl_add_u64 v[10:11], v[4:5], 1, v[2:3]
	s_waitcnt vmcnt(0)
	global_store_short v[10:11], v9, off
	s_mov_b64 s[12:13], 0
.LBB1_6:                                ;   in Loop: Header=BB1_4 Depth=1
	s_andn2_b64 vcc, exec, s[12:13]
	s_cbranch_vccnz .LBB1_3
; %bb.7:                                ;   in Loop: Header=BB1_4 Depth=1
	v_mul_lo_u32 v10, s11, v4
	v_mul_lo_u32 v11, s10, v5
	v_mad_u64_u32 v[4:5], s[12:13], s10, v4, 0
	v_add3_u32 v5, v5, v11, v10
	v_lshl_add_u64 v[4:5], v[4:5], 1, v[0:1]
	s_waitcnt vmcnt(0)
	global_store_short v[4:5], v9, off
	s_branch .LBB1_3
.LBB1_8:
	s_endpgm
	.section	.rodata,"a",@progbits
	.p2align	6, 0x0
	.amdhsa_kernel _ZN9rocsparseL16csr2dense_kernelILi16ELi64EiiDF16_EEviT2_S1_PKT3_PKT1_PKS1_PS2_l16rocsparse_order_
		.amdhsa_group_segment_fixed_size 0
		.amdhsa_private_segment_fixed_size 0
		.amdhsa_kernarg_size 60
		.amdhsa_user_sgpr_count 2
		.amdhsa_user_sgpr_dispatch_ptr 0
		.amdhsa_user_sgpr_queue_ptr 0
		.amdhsa_user_sgpr_kernarg_segment_ptr 1
		.amdhsa_user_sgpr_dispatch_id 0
		.amdhsa_user_sgpr_kernarg_preload_length 0
		.amdhsa_user_sgpr_kernarg_preload_offset 0
		.amdhsa_user_sgpr_private_segment_size 0
		.amdhsa_uses_dynamic_stack 0
		.amdhsa_enable_private_segment 0
		.amdhsa_system_sgpr_workgroup_id_x 1
		.amdhsa_system_sgpr_workgroup_id_y 0
		.amdhsa_system_sgpr_workgroup_id_z 0
		.amdhsa_system_sgpr_workgroup_info 0
		.amdhsa_system_vgpr_workitem_id 0
		.amdhsa_next_free_vgpr 12
		.amdhsa_next_free_sgpr 14
		.amdhsa_accum_offset 12
		.amdhsa_reserve_vcc 1
		.amdhsa_float_round_mode_32 0
		.amdhsa_float_round_mode_16_64 0
		.amdhsa_float_denorm_mode_32 3
		.amdhsa_float_denorm_mode_16_64 3
		.amdhsa_dx10_clamp 1
		.amdhsa_ieee_mode 1
		.amdhsa_fp16_overflow 0
		.amdhsa_tg_split 0
		.amdhsa_exception_fp_ieee_invalid_op 0
		.amdhsa_exception_fp_denorm_src 0
		.amdhsa_exception_fp_ieee_div_zero 0
		.amdhsa_exception_fp_ieee_overflow 0
		.amdhsa_exception_fp_ieee_underflow 0
		.amdhsa_exception_fp_ieee_inexact 0
		.amdhsa_exception_int_div_zero 0
	.end_amdhsa_kernel
	.section	.text._ZN9rocsparseL16csr2dense_kernelILi16ELi64EiiDF16_EEviT2_S1_PKT3_PKT1_PKS1_PS2_l16rocsparse_order_,"axG",@progbits,_ZN9rocsparseL16csr2dense_kernelILi16ELi64EiiDF16_EEviT2_S1_PKT3_PKT1_PKS1_PS2_l16rocsparse_order_,comdat
.Lfunc_end1:
	.size	_ZN9rocsparseL16csr2dense_kernelILi16ELi64EiiDF16_EEviT2_S1_PKT3_PKT1_PKS1_PS2_l16rocsparse_order_, .Lfunc_end1-_ZN9rocsparseL16csr2dense_kernelILi16ELi64EiiDF16_EEviT2_S1_PKT3_PKT1_PKS1_PS2_l16rocsparse_order_
                                        ; -- End function
	.set _ZN9rocsparseL16csr2dense_kernelILi16ELi64EiiDF16_EEviT2_S1_PKT3_PKT1_PKS1_PS2_l16rocsparse_order_.num_vgpr, 12
	.set _ZN9rocsparseL16csr2dense_kernelILi16ELi64EiiDF16_EEviT2_S1_PKT3_PKT1_PKS1_PS2_l16rocsparse_order_.num_agpr, 0
	.set _ZN9rocsparseL16csr2dense_kernelILi16ELi64EiiDF16_EEviT2_S1_PKT3_PKT1_PKS1_PS2_l16rocsparse_order_.numbered_sgpr, 14
	.set _ZN9rocsparseL16csr2dense_kernelILi16ELi64EiiDF16_EEviT2_S1_PKT3_PKT1_PKS1_PS2_l16rocsparse_order_.num_named_barrier, 0
	.set _ZN9rocsparseL16csr2dense_kernelILi16ELi64EiiDF16_EEviT2_S1_PKT3_PKT1_PKS1_PS2_l16rocsparse_order_.private_seg_size, 0
	.set _ZN9rocsparseL16csr2dense_kernelILi16ELi64EiiDF16_EEviT2_S1_PKT3_PKT1_PKS1_PS2_l16rocsparse_order_.uses_vcc, 1
	.set _ZN9rocsparseL16csr2dense_kernelILi16ELi64EiiDF16_EEviT2_S1_PKT3_PKT1_PKS1_PS2_l16rocsparse_order_.uses_flat_scratch, 0
	.set _ZN9rocsparseL16csr2dense_kernelILi16ELi64EiiDF16_EEviT2_S1_PKT3_PKT1_PKS1_PS2_l16rocsparse_order_.has_dyn_sized_stack, 0
	.set _ZN9rocsparseL16csr2dense_kernelILi16ELi64EiiDF16_EEviT2_S1_PKT3_PKT1_PKS1_PS2_l16rocsparse_order_.has_recursion, 0
	.set _ZN9rocsparseL16csr2dense_kernelILi16ELi64EiiDF16_EEviT2_S1_PKT3_PKT1_PKS1_PS2_l16rocsparse_order_.has_indirect_call, 0
	.section	.AMDGPU.csdata,"",@progbits
; Kernel info:
; codeLenInByte = 376
; TotalNumSgprs: 20
; NumVgprs: 12
; NumAgprs: 0
; TotalNumVgprs: 12
; ScratchSize: 0
; MemoryBound: 0
; FloatMode: 240
; IeeeMode: 1
; LDSByteSize: 0 bytes/workgroup (compile time only)
; SGPRBlocks: 2
; VGPRBlocks: 1
; NumSGPRsForWavesPerEU: 20
; NumVGPRsForWavesPerEU: 12
; AccumOffset: 12
; Occupancy: 8
; WaveLimiterHint : 1
; COMPUTE_PGM_RSRC2:SCRATCH_EN: 0
; COMPUTE_PGM_RSRC2:USER_SGPR: 2
; COMPUTE_PGM_RSRC2:TRAP_HANDLER: 0
; COMPUTE_PGM_RSRC2:TGID_X_EN: 1
; COMPUTE_PGM_RSRC2:TGID_Y_EN: 0
; COMPUTE_PGM_RSRC2:TGID_Z_EN: 0
; COMPUTE_PGM_RSRC2:TIDIG_COMP_CNT: 0
; COMPUTE_PGM_RSRC3_GFX90A:ACCUM_OFFSET: 2
; COMPUTE_PGM_RSRC3_GFX90A:TG_SPLIT: 0
	.section	.text._ZN9rocsparseL16csc2dense_kernelILi16ELi32EiiDF16_EEviT2_S1_PKT3_PKT1_PKS1_PS2_l16rocsparse_order_,"axG",@progbits,_ZN9rocsparseL16csc2dense_kernelILi16ELi32EiiDF16_EEviT2_S1_PKT3_PKT1_PKS1_PS2_l16rocsparse_order_,comdat
	.globl	_ZN9rocsparseL16csc2dense_kernelILi16ELi32EiiDF16_EEviT2_S1_PKT3_PKT1_PKS1_PS2_l16rocsparse_order_ ; -- Begin function _ZN9rocsparseL16csc2dense_kernelILi16ELi32EiiDF16_EEviT2_S1_PKT3_PKT1_PKS1_PS2_l16rocsparse_order_
	.p2align	8
	.type	_ZN9rocsparseL16csc2dense_kernelILi16ELi32EiiDF16_EEviT2_S1_PKT3_PKT1_PKS1_PS2_l16rocsparse_order_,@function
_ZN9rocsparseL16csc2dense_kernelILi16ELi32EiiDF16_EEviT2_S1_PKT3_PKT1_PKS1_PS2_l16rocsparse_order_: ; @_ZN9rocsparseL16csc2dense_kernelILi16ELi32EiiDF16_EEviT2_S1_PKT3_PKT1_PKS1_PS2_l16rocsparse_order_
; %bb.0:
	s_load_dword s3, s[0:1], 0x8
	v_lshrrev_b32_e32 v1, 5, v0
	v_lshl_or_b32 v2, s2, 4, v1
	s_waitcnt lgkmcnt(0)
	v_cmp_gt_i32_e32 vcc, s3, v2
	s_and_saveexec_b64 s[2:3], vcc
	s_cbranch_execz .LBB2_8
; %bb.1:
	s_load_dwordx2 s[2:3], s[0:1], 0x18
	v_ashrrev_i32_e32 v3, 31, v2
	v_and_b32_e32 v6, 31, v0
	s_waitcnt lgkmcnt(0)
	v_lshl_add_u64 v[4:5], v[2:3], 2, s[2:3]
	global_load_dwordx2 v[4:5], v[4:5], off
	s_waitcnt vmcnt(0)
	v_sub_u32_e32 v7, v5, v4
	v_cmp_lt_i32_e32 vcc, v6, v7
	s_and_b64 exec, exec, vcc
	s_cbranch_execz .LBB2_8
; %bb.2:
	s_load_dword s12, s[0:1], 0x0
	s_load_dwordx4 s[4:7], s[0:1], 0x20
	s_load_dword s10, s[0:1], 0x38
	s_load_dwordx2 s[2:3], s[0:1], 0x10
	s_load_dwordx2 s[8:9], s[0:1], 0x30
	s_waitcnt lgkmcnt(0)
	v_subrev_u32_e32 v8, s12, v4
	v_lshl_add_u64 v[0:1], v[2:3], 1, s[6:7]
	s_cmp_lg_u32 s10, 1
	s_cselect_b64 s[0:1], -1, 0
	v_mul_lo_u32 v4, s9, v2
	v_mul_lo_u32 v5, s8, v3
	v_mad_u64_u32 v[2:3], s[10:11], s8, v2, 0
	v_add3_u32 v3, v3, v5, v4
	v_lshl_add_u64 v[2:3], v[2:3], 1, s[6:7]
	s_mov_b64 s[6:7], 0
	s_branch .LBB2_4
.LBB2_3:                                ;   in Loop: Header=BB2_4 Depth=1
	v_add_u32_e32 v6, 32, v6
	v_cmp_ge_i32_e32 vcc, v6, v7
	s_or_b64 s[6:7], vcc, s[6:7]
	s_andn2_b64 exec, exec, s[6:7]
	s_cbranch_execz .LBB2_8
.LBB2_4:                                ; =>This Inner Loop Header: Depth=1
	v_add_u32_e32 v4, v8, v6
	v_ashrrev_i32_e32 v5, 31, v4
	v_lshl_add_u64 v[10:11], v[4:5], 2, s[4:5]
	global_load_dword v10, v[10:11], off
	v_lshl_add_u64 v[4:5], v[4:5], 1, s[2:3]
	global_load_ushort v9, v[4:5], off
	s_mov_b64 s[10:11], -1
	s_and_b64 vcc, exec, s[0:1]
	s_waitcnt vmcnt(1)
	v_subrev_u32_e32 v4, s12, v10
	v_ashrrev_i32_e32 v5, 31, v4
	s_cbranch_vccz .LBB2_6
; %bb.5:                                ;   in Loop: Header=BB2_4 Depth=1
	v_mul_lo_u32 v12, s9, v4
	v_mul_lo_u32 v13, s8, v5
	v_mad_u64_u32 v[10:11], s[10:11], s8, v4, 0
	v_add3_u32 v11, v11, v13, v12
	v_lshl_add_u64 v[10:11], v[10:11], 1, v[0:1]
	s_waitcnt vmcnt(0)
	global_store_short v[10:11], v9, off
	s_mov_b64 s[10:11], 0
.LBB2_6:                                ;   in Loop: Header=BB2_4 Depth=1
	s_andn2_b64 vcc, exec, s[10:11]
	s_cbranch_vccnz .LBB2_3
; %bb.7:                                ;   in Loop: Header=BB2_4 Depth=1
	v_lshl_add_u64 v[4:5], v[4:5], 1, v[2:3]
	s_waitcnt vmcnt(0)
	global_store_short v[4:5], v9, off
	s_branch .LBB2_3
.LBB2_8:
	s_endpgm
	.section	.rodata,"a",@progbits
	.p2align	6, 0x0
	.amdhsa_kernel _ZN9rocsparseL16csc2dense_kernelILi16ELi32EiiDF16_EEviT2_S1_PKT3_PKT1_PKS1_PS2_l16rocsparse_order_
		.amdhsa_group_segment_fixed_size 0
		.amdhsa_private_segment_fixed_size 0
		.amdhsa_kernarg_size 60
		.amdhsa_user_sgpr_count 2
		.amdhsa_user_sgpr_dispatch_ptr 0
		.amdhsa_user_sgpr_queue_ptr 0
		.amdhsa_user_sgpr_kernarg_segment_ptr 1
		.amdhsa_user_sgpr_dispatch_id 0
		.amdhsa_user_sgpr_kernarg_preload_length 0
		.amdhsa_user_sgpr_kernarg_preload_offset 0
		.amdhsa_user_sgpr_private_segment_size 0
		.amdhsa_uses_dynamic_stack 0
		.amdhsa_enable_private_segment 0
		.amdhsa_system_sgpr_workgroup_id_x 1
		.amdhsa_system_sgpr_workgroup_id_y 0
		.amdhsa_system_sgpr_workgroup_id_z 0
		.amdhsa_system_sgpr_workgroup_info 0
		.amdhsa_system_vgpr_workitem_id 0
		.amdhsa_next_free_vgpr 14
		.amdhsa_next_free_sgpr 13
		.amdhsa_accum_offset 16
		.amdhsa_reserve_vcc 1
		.amdhsa_float_round_mode_32 0
		.amdhsa_float_round_mode_16_64 0
		.amdhsa_float_denorm_mode_32 3
		.amdhsa_float_denorm_mode_16_64 3
		.amdhsa_dx10_clamp 1
		.amdhsa_ieee_mode 1
		.amdhsa_fp16_overflow 0
		.amdhsa_tg_split 0
		.amdhsa_exception_fp_ieee_invalid_op 0
		.amdhsa_exception_fp_denorm_src 0
		.amdhsa_exception_fp_ieee_div_zero 0
		.amdhsa_exception_fp_ieee_overflow 0
		.amdhsa_exception_fp_ieee_underflow 0
		.amdhsa_exception_fp_ieee_inexact 0
		.amdhsa_exception_int_div_zero 0
	.end_amdhsa_kernel
	.section	.text._ZN9rocsparseL16csc2dense_kernelILi16ELi32EiiDF16_EEviT2_S1_PKT3_PKT1_PKS1_PS2_l16rocsparse_order_,"axG",@progbits,_ZN9rocsparseL16csc2dense_kernelILi16ELi32EiiDF16_EEviT2_S1_PKT3_PKT1_PKS1_PS2_l16rocsparse_order_,comdat
.Lfunc_end2:
	.size	_ZN9rocsparseL16csc2dense_kernelILi16ELi32EiiDF16_EEviT2_S1_PKT3_PKT1_PKS1_PS2_l16rocsparse_order_, .Lfunc_end2-_ZN9rocsparseL16csc2dense_kernelILi16ELi32EiiDF16_EEviT2_S1_PKT3_PKT1_PKS1_PS2_l16rocsparse_order_
                                        ; -- End function
	.set _ZN9rocsparseL16csc2dense_kernelILi16ELi32EiiDF16_EEviT2_S1_PKT3_PKT1_PKS1_PS2_l16rocsparse_order_.num_vgpr, 14
	.set _ZN9rocsparseL16csc2dense_kernelILi16ELi32EiiDF16_EEviT2_S1_PKT3_PKT1_PKS1_PS2_l16rocsparse_order_.num_agpr, 0
	.set _ZN9rocsparseL16csc2dense_kernelILi16ELi32EiiDF16_EEviT2_S1_PKT3_PKT1_PKS1_PS2_l16rocsparse_order_.numbered_sgpr, 13
	.set _ZN9rocsparseL16csc2dense_kernelILi16ELi32EiiDF16_EEviT2_S1_PKT3_PKT1_PKS1_PS2_l16rocsparse_order_.num_named_barrier, 0
	.set _ZN9rocsparseL16csc2dense_kernelILi16ELi32EiiDF16_EEviT2_S1_PKT3_PKT1_PKS1_PS2_l16rocsparse_order_.private_seg_size, 0
	.set _ZN9rocsparseL16csc2dense_kernelILi16ELi32EiiDF16_EEviT2_S1_PKT3_PKT1_PKS1_PS2_l16rocsparse_order_.uses_vcc, 1
	.set _ZN9rocsparseL16csc2dense_kernelILi16ELi32EiiDF16_EEviT2_S1_PKT3_PKT1_PKS1_PS2_l16rocsparse_order_.uses_flat_scratch, 0
	.set _ZN9rocsparseL16csc2dense_kernelILi16ELi32EiiDF16_EEviT2_S1_PKT3_PKT1_PKS1_PS2_l16rocsparse_order_.has_dyn_sized_stack, 0
	.set _ZN9rocsparseL16csc2dense_kernelILi16ELi32EiiDF16_EEviT2_S1_PKT3_PKT1_PKS1_PS2_l16rocsparse_order_.has_recursion, 0
	.set _ZN9rocsparseL16csc2dense_kernelILi16ELi32EiiDF16_EEviT2_S1_PKT3_PKT1_PKS1_PS2_l16rocsparse_order_.has_indirect_call, 0
	.section	.AMDGPU.csdata,"",@progbits
; Kernel info:
; codeLenInByte = 380
; TotalNumSgprs: 19
; NumVgprs: 14
; NumAgprs: 0
; TotalNumVgprs: 14
; ScratchSize: 0
; MemoryBound: 0
; FloatMode: 240
; IeeeMode: 1
; LDSByteSize: 0 bytes/workgroup (compile time only)
; SGPRBlocks: 2
; VGPRBlocks: 1
; NumSGPRsForWavesPerEU: 19
; NumVGPRsForWavesPerEU: 14
; AccumOffset: 16
; Occupancy: 8
; WaveLimiterHint : 1
; COMPUTE_PGM_RSRC2:SCRATCH_EN: 0
; COMPUTE_PGM_RSRC2:USER_SGPR: 2
; COMPUTE_PGM_RSRC2:TRAP_HANDLER: 0
; COMPUTE_PGM_RSRC2:TGID_X_EN: 1
; COMPUTE_PGM_RSRC2:TGID_Y_EN: 0
; COMPUTE_PGM_RSRC2:TGID_Z_EN: 0
; COMPUTE_PGM_RSRC2:TIDIG_COMP_CNT: 0
; COMPUTE_PGM_RSRC3_GFX90A:ACCUM_OFFSET: 3
; COMPUTE_PGM_RSRC3_GFX90A:TG_SPLIT: 0
	.section	.text._ZN9rocsparseL16csc2dense_kernelILi16ELi64EiiDF16_EEviT2_S1_PKT3_PKT1_PKS1_PS2_l16rocsparse_order_,"axG",@progbits,_ZN9rocsparseL16csc2dense_kernelILi16ELi64EiiDF16_EEviT2_S1_PKT3_PKT1_PKS1_PS2_l16rocsparse_order_,comdat
	.globl	_ZN9rocsparseL16csc2dense_kernelILi16ELi64EiiDF16_EEviT2_S1_PKT3_PKT1_PKS1_PS2_l16rocsparse_order_ ; -- Begin function _ZN9rocsparseL16csc2dense_kernelILi16ELi64EiiDF16_EEviT2_S1_PKT3_PKT1_PKS1_PS2_l16rocsparse_order_
	.p2align	8
	.type	_ZN9rocsparseL16csc2dense_kernelILi16ELi64EiiDF16_EEviT2_S1_PKT3_PKT1_PKS1_PS2_l16rocsparse_order_,@function
_ZN9rocsparseL16csc2dense_kernelILi16ELi64EiiDF16_EEviT2_S1_PKT3_PKT1_PKS1_PS2_l16rocsparse_order_: ; @_ZN9rocsparseL16csc2dense_kernelILi16ELi64EiiDF16_EEviT2_S1_PKT3_PKT1_PKS1_PS2_l16rocsparse_order_
; %bb.0:
	s_load_dword s3, s[0:1], 0x8
	v_lshrrev_b32_e32 v1, 6, v0
	v_lshl_or_b32 v2, s2, 4, v1
	s_waitcnt lgkmcnt(0)
	v_cmp_gt_i32_e32 vcc, s3, v2
	s_and_saveexec_b64 s[2:3], vcc
	s_cbranch_execz .LBB3_8
; %bb.1:
	s_load_dwordx2 s[2:3], s[0:1], 0x18
	v_ashrrev_i32_e32 v3, 31, v2
	v_and_b32_e32 v6, 63, v0
	s_waitcnt lgkmcnt(0)
	v_lshl_add_u64 v[4:5], v[2:3], 2, s[2:3]
	global_load_dwordx2 v[4:5], v[4:5], off
	s_waitcnt vmcnt(0)
	v_sub_u32_e32 v7, v5, v4
	v_cmp_lt_i32_e32 vcc, v6, v7
	s_and_b64 exec, exec, vcc
	s_cbranch_execz .LBB3_8
; %bb.2:
	s_load_dword s12, s[0:1], 0x0
	s_load_dwordx4 s[4:7], s[0:1], 0x20
	s_load_dword s10, s[0:1], 0x38
	s_load_dwordx2 s[2:3], s[0:1], 0x10
	s_load_dwordx2 s[8:9], s[0:1], 0x30
	s_waitcnt lgkmcnt(0)
	v_subrev_u32_e32 v8, s12, v4
	v_lshl_add_u64 v[0:1], v[2:3], 1, s[6:7]
	s_cmp_lg_u32 s10, 1
	s_cselect_b64 s[0:1], -1, 0
	v_mul_lo_u32 v4, s9, v2
	v_mul_lo_u32 v5, s8, v3
	v_mad_u64_u32 v[2:3], s[10:11], s8, v2, 0
	v_add3_u32 v3, v3, v5, v4
	v_lshl_add_u64 v[2:3], v[2:3], 1, s[6:7]
	s_mov_b64 s[6:7], 0
	s_branch .LBB3_4
.LBB3_3:                                ;   in Loop: Header=BB3_4 Depth=1
	v_add_u32_e32 v6, 64, v6
	v_cmp_ge_i32_e32 vcc, v6, v7
	s_or_b64 s[6:7], vcc, s[6:7]
	s_andn2_b64 exec, exec, s[6:7]
	s_cbranch_execz .LBB3_8
.LBB3_4:                                ; =>This Inner Loop Header: Depth=1
	v_add_u32_e32 v4, v8, v6
	v_ashrrev_i32_e32 v5, 31, v4
	v_lshl_add_u64 v[10:11], v[4:5], 2, s[4:5]
	global_load_dword v10, v[10:11], off
	v_lshl_add_u64 v[4:5], v[4:5], 1, s[2:3]
	global_load_ushort v9, v[4:5], off
	s_mov_b64 s[10:11], -1
	s_and_b64 vcc, exec, s[0:1]
	s_waitcnt vmcnt(1)
	v_subrev_u32_e32 v4, s12, v10
	v_ashrrev_i32_e32 v5, 31, v4
	s_cbranch_vccz .LBB3_6
; %bb.5:                                ;   in Loop: Header=BB3_4 Depth=1
	v_mul_lo_u32 v12, s9, v4
	v_mul_lo_u32 v13, s8, v5
	v_mad_u64_u32 v[10:11], s[10:11], s8, v4, 0
	v_add3_u32 v11, v11, v13, v12
	v_lshl_add_u64 v[10:11], v[10:11], 1, v[0:1]
	s_waitcnt vmcnt(0)
	global_store_short v[10:11], v9, off
	s_mov_b64 s[10:11], 0
.LBB3_6:                                ;   in Loop: Header=BB3_4 Depth=1
	s_andn2_b64 vcc, exec, s[10:11]
	s_cbranch_vccnz .LBB3_3
; %bb.7:                                ;   in Loop: Header=BB3_4 Depth=1
	v_lshl_add_u64 v[4:5], v[4:5], 1, v[2:3]
	s_waitcnt vmcnt(0)
	global_store_short v[4:5], v9, off
	s_branch .LBB3_3
.LBB3_8:
	s_endpgm
	.section	.rodata,"a",@progbits
	.p2align	6, 0x0
	.amdhsa_kernel _ZN9rocsparseL16csc2dense_kernelILi16ELi64EiiDF16_EEviT2_S1_PKT3_PKT1_PKS1_PS2_l16rocsparse_order_
		.amdhsa_group_segment_fixed_size 0
		.amdhsa_private_segment_fixed_size 0
		.amdhsa_kernarg_size 60
		.amdhsa_user_sgpr_count 2
		.amdhsa_user_sgpr_dispatch_ptr 0
		.amdhsa_user_sgpr_queue_ptr 0
		.amdhsa_user_sgpr_kernarg_segment_ptr 1
		.amdhsa_user_sgpr_dispatch_id 0
		.amdhsa_user_sgpr_kernarg_preload_length 0
		.amdhsa_user_sgpr_kernarg_preload_offset 0
		.amdhsa_user_sgpr_private_segment_size 0
		.amdhsa_uses_dynamic_stack 0
		.amdhsa_enable_private_segment 0
		.amdhsa_system_sgpr_workgroup_id_x 1
		.amdhsa_system_sgpr_workgroup_id_y 0
		.amdhsa_system_sgpr_workgroup_id_z 0
		.amdhsa_system_sgpr_workgroup_info 0
		.amdhsa_system_vgpr_workitem_id 0
		.amdhsa_next_free_vgpr 14
		.amdhsa_next_free_sgpr 13
		.amdhsa_accum_offset 16
		.amdhsa_reserve_vcc 1
		.amdhsa_float_round_mode_32 0
		.amdhsa_float_round_mode_16_64 0
		.amdhsa_float_denorm_mode_32 3
		.amdhsa_float_denorm_mode_16_64 3
		.amdhsa_dx10_clamp 1
		.amdhsa_ieee_mode 1
		.amdhsa_fp16_overflow 0
		.amdhsa_tg_split 0
		.amdhsa_exception_fp_ieee_invalid_op 0
		.amdhsa_exception_fp_denorm_src 0
		.amdhsa_exception_fp_ieee_div_zero 0
		.amdhsa_exception_fp_ieee_overflow 0
		.amdhsa_exception_fp_ieee_underflow 0
		.amdhsa_exception_fp_ieee_inexact 0
		.amdhsa_exception_int_div_zero 0
	.end_amdhsa_kernel
	.section	.text._ZN9rocsparseL16csc2dense_kernelILi16ELi64EiiDF16_EEviT2_S1_PKT3_PKT1_PKS1_PS2_l16rocsparse_order_,"axG",@progbits,_ZN9rocsparseL16csc2dense_kernelILi16ELi64EiiDF16_EEviT2_S1_PKT3_PKT1_PKS1_PS2_l16rocsparse_order_,comdat
.Lfunc_end3:
	.size	_ZN9rocsparseL16csc2dense_kernelILi16ELi64EiiDF16_EEviT2_S1_PKT3_PKT1_PKS1_PS2_l16rocsparse_order_, .Lfunc_end3-_ZN9rocsparseL16csc2dense_kernelILi16ELi64EiiDF16_EEviT2_S1_PKT3_PKT1_PKS1_PS2_l16rocsparse_order_
                                        ; -- End function
	.set _ZN9rocsparseL16csc2dense_kernelILi16ELi64EiiDF16_EEviT2_S1_PKT3_PKT1_PKS1_PS2_l16rocsparse_order_.num_vgpr, 14
	.set _ZN9rocsparseL16csc2dense_kernelILi16ELi64EiiDF16_EEviT2_S1_PKT3_PKT1_PKS1_PS2_l16rocsparse_order_.num_agpr, 0
	.set _ZN9rocsparseL16csc2dense_kernelILi16ELi64EiiDF16_EEviT2_S1_PKT3_PKT1_PKS1_PS2_l16rocsparse_order_.numbered_sgpr, 13
	.set _ZN9rocsparseL16csc2dense_kernelILi16ELi64EiiDF16_EEviT2_S1_PKT3_PKT1_PKS1_PS2_l16rocsparse_order_.num_named_barrier, 0
	.set _ZN9rocsparseL16csc2dense_kernelILi16ELi64EiiDF16_EEviT2_S1_PKT3_PKT1_PKS1_PS2_l16rocsparse_order_.private_seg_size, 0
	.set _ZN9rocsparseL16csc2dense_kernelILi16ELi64EiiDF16_EEviT2_S1_PKT3_PKT1_PKS1_PS2_l16rocsparse_order_.uses_vcc, 1
	.set _ZN9rocsparseL16csc2dense_kernelILi16ELi64EiiDF16_EEviT2_S1_PKT3_PKT1_PKS1_PS2_l16rocsparse_order_.uses_flat_scratch, 0
	.set _ZN9rocsparseL16csc2dense_kernelILi16ELi64EiiDF16_EEviT2_S1_PKT3_PKT1_PKS1_PS2_l16rocsparse_order_.has_dyn_sized_stack, 0
	.set _ZN9rocsparseL16csc2dense_kernelILi16ELi64EiiDF16_EEviT2_S1_PKT3_PKT1_PKS1_PS2_l16rocsparse_order_.has_recursion, 0
	.set _ZN9rocsparseL16csc2dense_kernelILi16ELi64EiiDF16_EEviT2_S1_PKT3_PKT1_PKS1_PS2_l16rocsparse_order_.has_indirect_call, 0
	.section	.AMDGPU.csdata,"",@progbits
; Kernel info:
; codeLenInByte = 380
; TotalNumSgprs: 19
; NumVgprs: 14
; NumAgprs: 0
; TotalNumVgprs: 14
; ScratchSize: 0
; MemoryBound: 0
; FloatMode: 240
; IeeeMode: 1
; LDSByteSize: 0 bytes/workgroup (compile time only)
; SGPRBlocks: 2
; VGPRBlocks: 1
; NumSGPRsForWavesPerEU: 19
; NumVGPRsForWavesPerEU: 14
; AccumOffset: 16
; Occupancy: 8
; WaveLimiterHint : 1
; COMPUTE_PGM_RSRC2:SCRATCH_EN: 0
; COMPUTE_PGM_RSRC2:USER_SGPR: 2
; COMPUTE_PGM_RSRC2:TRAP_HANDLER: 0
; COMPUTE_PGM_RSRC2:TGID_X_EN: 1
; COMPUTE_PGM_RSRC2:TGID_Y_EN: 0
; COMPUTE_PGM_RSRC2:TGID_Z_EN: 0
; COMPUTE_PGM_RSRC2:TIDIG_COMP_CNT: 0
; COMPUTE_PGM_RSRC3_GFX90A:ACCUM_OFFSET: 3
; COMPUTE_PGM_RSRC3_GFX90A:TG_SPLIT: 0
	.section	.text._ZN9rocsparseL23sddmm_csx_sample_kernelILi512ELi64EL20rocsparse_direction_1EDF16_iiDF16_EEvT4_S2_T3_PKT5_S2_PS4_PKS3_PKS2_21rocsparse_index_base_,"axG",@progbits,_ZN9rocsparseL23sddmm_csx_sample_kernelILi512ELi64EL20rocsparse_direction_1EDF16_iiDF16_EEvT4_S2_T3_PKT5_S2_PS4_PKS3_PKS2_21rocsparse_index_base_,comdat
	.globl	_ZN9rocsparseL23sddmm_csx_sample_kernelILi512ELi64EL20rocsparse_direction_1EDF16_iiDF16_EEvT4_S2_T3_PKT5_S2_PS4_PKS3_PKS2_21rocsparse_index_base_ ; -- Begin function _ZN9rocsparseL23sddmm_csx_sample_kernelILi512ELi64EL20rocsparse_direction_1EDF16_iiDF16_EEvT4_S2_T3_PKT5_S2_PS4_PKS3_PKS2_21rocsparse_index_base_
	.p2align	8
	.type	_ZN9rocsparseL23sddmm_csx_sample_kernelILi512ELi64EL20rocsparse_direction_1EDF16_iiDF16_EEvT4_S2_T3_PKT5_S2_PS4_PKS3_PKS2_21rocsparse_index_base_,@function
_ZN9rocsparseL23sddmm_csx_sample_kernelILi512ELi64EL20rocsparse_direction_1EDF16_iiDF16_EEvT4_S2_T3_PKT5_S2_PS4_PKS3_PKS2_21rocsparse_index_base_: ; @_ZN9rocsparseL23sddmm_csx_sample_kernelILi512ELi64EL20rocsparse_direction_1EDF16_iiDF16_EEvT4_S2_T3_PKT5_S2_PS4_PKS3_PKS2_21rocsparse_index_base_
; %bb.0:
	s_load_dword s3, s[0:1], 0x4
	v_lshrrev_b32_e32 v1, 6, v0
	v_lshl_or_b32 v2, s2, 3, v1
	s_waitcnt lgkmcnt(0)
	v_cmp_gt_u32_e32 vcc, s3, v2
	s_and_saveexec_b64 s[2:3], vcc
	s_cbranch_execz .LBB4_9
; %bb.1:
	s_load_dwordx2 s[2:3], s[0:1], 0x28
	s_load_dword s8, s[0:1], 0x38
	v_mov_b32_e32 v3, 0
	v_and_b32_e32 v1, 63, v0
	s_waitcnt lgkmcnt(0)
	v_lshl_add_u64 v[4:5], v[2:3], 2, s[2:3]
	global_load_dwordx2 v[4:5], v[4:5], off
	v_subrev_u32_e32 v0, s8, v1
	s_waitcnt vmcnt(0)
	v_add_u32_e32 v0, v0, v4
	v_subrev_u32_e32 v8, s8, v5
	v_cmp_lt_i32_e32 vcc, v0, v8
	s_and_b64 exec, exec, vcc
	s_cbranch_execz .LBB4_9
; %bb.2:
	v_add_u32_e32 v3, v4, v1
	v_subrev_u32_e32 v3, s8, v3
	s_load_dwordx2 s[4:5], s[0:1], 0x30
	s_load_dword s9, s[0:1], 0x18
	s_load_dwordx2 s[6:7], s[0:1], 0x20
	s_load_dwordx2 s[2:3], s[0:1], 0x10
	v_add_u32_e32 v3, 64, v3
	v_max_i32_e32 v3, v3, v8
	v_not_b32_e32 v4, v4
	v_add3_u32 v3, s8, v3, v4
	s_waitcnt lgkmcnt(0)
	v_mul_lo_u32 v2, s9, v2
	v_sub_u32_e32 v1, v3, v1
	v_subrev_u32_e32 v2, s8, v2
	v_cmp_lt_u32_e32 vcc, 63, v1
	s_mov_b64 s[8:9], -1
	s_and_saveexec_b64 s[0:1], vcc
	s_cbranch_execz .LBB4_6
; %bb.3:
	v_lshrrev_b32_e32 v1, 6, v1
	v_add_u32_e32 v6, 1, v1
	v_and_b32_e32 v7, 0x7fffffe, v6
	v_add_u32_e32 v1, 64, v0
	v_mov_b32_e32 v3, v2
	s_mov_b64 s[8:9], 0
	v_mov_b32_e32 v9, v7
	v_mov_b64_e32 v[4:5], v[0:1]
.LBB4_4:                                ; =>This Inner Loop Header: Depth=1
	v_ashrrev_i32_e32 v13, 31, v4
	v_mov_b32_e32 v12, v4
	v_ashrrev_i32_e32 v11, 31, v5
	v_mov_b32_e32 v10, v5
	v_lshl_add_u64 v[14:15], v[12:13], 2, s[4:5]
	v_lshl_add_u64 v[16:17], v[10:11], 2, s[4:5]
	global_load_dword v1, v[14:15], off
	global_load_dword v18, v[16:17], off
	v_add_u32_e32 v9, -2, v9
	v_cmp_eq_u32_e32 vcc, 0, v9
	v_add_u32_e32 v5, 0x80, v5
	v_add_u32_e32 v4, 0x80, v4
	v_lshl_add_u64 v[12:13], v[12:13], 1, s[6:7]
	s_or_b64 s[8:9], vcc, s[8:9]
	v_lshl_add_u64 v[10:11], v[10:11], 1, s[6:7]
	s_waitcnt vmcnt(1)
	v_add_u32_e32 v14, v2, v1
	s_waitcnt vmcnt(0)
	v_add_u32_e32 v16, v3, v18
	v_ashrrev_i32_e32 v15, 31, v14
	v_ashrrev_i32_e32 v17, 31, v16
	v_lshl_add_u64 v[14:15], v[14:15], 1, s[2:3]
	v_lshl_add_u64 v[16:17], v[16:17], 1, s[2:3]
	global_load_ushort v1, v[14:15], off
	global_load_ushort v18, v[16:17], off
	s_waitcnt vmcnt(1)
	global_store_short v[12:13], v1, off
	s_waitcnt vmcnt(1)
	global_store_short v[10:11], v18, off
	s_andn2_b64 exec, exec, s[8:9]
	s_cbranch_execnz .LBB4_4
; %bb.5:
	s_or_b64 exec, exec, s[8:9]
	v_cmp_ne_u32_e32 vcc, v6, v7
	v_lshl_add_u32 v0, v7, 6, v0
	s_orn2_b64 s[8:9], vcc, exec
.LBB4_6:
	s_or_b64 exec, exec, s[0:1]
	s_and_b64 exec, exec, s[8:9]
	s_cbranch_execz .LBB4_9
; %bb.7:
	v_ashrrev_i32_e32 v1, 31, v0
	v_lshl_add_u64 v[4:5], v[0:1], 2, s[4:5]
	v_lshl_add_u64 v[6:7], v[0:1], 1, s[6:7]
	s_mov_b64 s[0:1], 0
	s_mov_b64 s[4:5], 0x100
	;; [unrolled: 1-line block ×3, first 2 shown]
.LBB4_8:                                ; =>This Inner Loop Header: Depth=1
	global_load_dword v1, v[4:5], off
	v_add_u32_e32 v0, 64, v0
	v_cmp_ge_i32_e32 vcc, v0, v8
	v_lshl_add_u64 v[4:5], v[4:5], 0, s[4:5]
	s_or_b64 s[0:1], vcc, s[0:1]
	s_waitcnt vmcnt(0)
	v_add_u32_e32 v10, v2, v1
	v_ashrrev_i32_e32 v11, 31, v10
	v_lshl_add_u64 v[10:11], v[10:11], 1, s[2:3]
	global_load_ushort v1, v[10:11], off
	s_waitcnt vmcnt(0)
	global_store_short v[6:7], v1, off
	v_lshl_add_u64 v[6:7], v[6:7], 0, s[6:7]
	s_andn2_b64 exec, exec, s[0:1]
	s_cbranch_execnz .LBB4_8
.LBB4_9:
	s_endpgm
	.section	.rodata,"a",@progbits
	.p2align	6, 0x0
	.amdhsa_kernel _ZN9rocsparseL23sddmm_csx_sample_kernelILi512ELi64EL20rocsparse_direction_1EDF16_iiDF16_EEvT4_S2_T3_PKT5_S2_PS4_PKS3_PKS2_21rocsparse_index_base_
		.amdhsa_group_segment_fixed_size 0
		.amdhsa_private_segment_fixed_size 0
		.amdhsa_kernarg_size 60
		.amdhsa_user_sgpr_count 2
		.amdhsa_user_sgpr_dispatch_ptr 0
		.amdhsa_user_sgpr_queue_ptr 0
		.amdhsa_user_sgpr_kernarg_segment_ptr 1
		.amdhsa_user_sgpr_dispatch_id 0
		.amdhsa_user_sgpr_kernarg_preload_length 0
		.amdhsa_user_sgpr_kernarg_preload_offset 0
		.amdhsa_user_sgpr_private_segment_size 0
		.amdhsa_uses_dynamic_stack 0
		.amdhsa_enable_private_segment 0
		.amdhsa_system_sgpr_workgroup_id_x 1
		.amdhsa_system_sgpr_workgroup_id_y 0
		.amdhsa_system_sgpr_workgroup_id_z 0
		.amdhsa_system_sgpr_workgroup_info 0
		.amdhsa_system_vgpr_workitem_id 0
		.amdhsa_next_free_vgpr 19
		.amdhsa_next_free_sgpr 10
		.amdhsa_accum_offset 20
		.amdhsa_reserve_vcc 1
		.amdhsa_float_round_mode_32 0
		.amdhsa_float_round_mode_16_64 0
		.amdhsa_float_denorm_mode_32 3
		.amdhsa_float_denorm_mode_16_64 3
		.amdhsa_dx10_clamp 1
		.amdhsa_ieee_mode 1
		.amdhsa_fp16_overflow 0
		.amdhsa_tg_split 0
		.amdhsa_exception_fp_ieee_invalid_op 0
		.amdhsa_exception_fp_denorm_src 0
		.amdhsa_exception_fp_ieee_div_zero 0
		.amdhsa_exception_fp_ieee_overflow 0
		.amdhsa_exception_fp_ieee_underflow 0
		.amdhsa_exception_fp_ieee_inexact 0
		.amdhsa_exception_int_div_zero 0
	.end_amdhsa_kernel
	.section	.text._ZN9rocsparseL23sddmm_csx_sample_kernelILi512ELi64EL20rocsparse_direction_1EDF16_iiDF16_EEvT4_S2_T3_PKT5_S2_PS4_PKS3_PKS2_21rocsparse_index_base_,"axG",@progbits,_ZN9rocsparseL23sddmm_csx_sample_kernelILi512ELi64EL20rocsparse_direction_1EDF16_iiDF16_EEvT4_S2_T3_PKT5_S2_PS4_PKS3_PKS2_21rocsparse_index_base_,comdat
.Lfunc_end4:
	.size	_ZN9rocsparseL23sddmm_csx_sample_kernelILi512ELi64EL20rocsparse_direction_1EDF16_iiDF16_EEvT4_S2_T3_PKT5_S2_PS4_PKS3_PKS2_21rocsparse_index_base_, .Lfunc_end4-_ZN9rocsparseL23sddmm_csx_sample_kernelILi512ELi64EL20rocsparse_direction_1EDF16_iiDF16_EEvT4_S2_T3_PKT5_S2_PS4_PKS3_PKS2_21rocsparse_index_base_
                                        ; -- End function
	.set _ZN9rocsparseL23sddmm_csx_sample_kernelILi512ELi64EL20rocsparse_direction_1EDF16_iiDF16_EEvT4_S2_T3_PKT5_S2_PS4_PKS3_PKS2_21rocsparse_index_base_.num_vgpr, 19
	.set _ZN9rocsparseL23sddmm_csx_sample_kernelILi512ELi64EL20rocsparse_direction_1EDF16_iiDF16_EEvT4_S2_T3_PKT5_S2_PS4_PKS3_PKS2_21rocsparse_index_base_.num_agpr, 0
	.set _ZN9rocsparseL23sddmm_csx_sample_kernelILi512ELi64EL20rocsparse_direction_1EDF16_iiDF16_EEvT4_S2_T3_PKT5_S2_PS4_PKS3_PKS2_21rocsparse_index_base_.numbered_sgpr, 10
	.set _ZN9rocsparseL23sddmm_csx_sample_kernelILi512ELi64EL20rocsparse_direction_1EDF16_iiDF16_EEvT4_S2_T3_PKT5_S2_PS4_PKS3_PKS2_21rocsparse_index_base_.num_named_barrier, 0
	.set _ZN9rocsparseL23sddmm_csx_sample_kernelILi512ELi64EL20rocsparse_direction_1EDF16_iiDF16_EEvT4_S2_T3_PKT5_S2_PS4_PKS3_PKS2_21rocsparse_index_base_.private_seg_size, 0
	.set _ZN9rocsparseL23sddmm_csx_sample_kernelILi512ELi64EL20rocsparse_direction_1EDF16_iiDF16_EEvT4_S2_T3_PKT5_S2_PS4_PKS3_PKS2_21rocsparse_index_base_.uses_vcc, 1
	.set _ZN9rocsparseL23sddmm_csx_sample_kernelILi512ELi64EL20rocsparse_direction_1EDF16_iiDF16_EEvT4_S2_T3_PKT5_S2_PS4_PKS3_PKS2_21rocsparse_index_base_.uses_flat_scratch, 0
	.set _ZN9rocsparseL23sddmm_csx_sample_kernelILi512ELi64EL20rocsparse_direction_1EDF16_iiDF16_EEvT4_S2_T3_PKT5_S2_PS4_PKS3_PKS2_21rocsparse_index_base_.has_dyn_sized_stack, 0
	.set _ZN9rocsparseL23sddmm_csx_sample_kernelILi512ELi64EL20rocsparse_direction_1EDF16_iiDF16_EEvT4_S2_T3_PKT5_S2_PS4_PKS3_PKS2_21rocsparse_index_base_.has_recursion, 0
	.set _ZN9rocsparseL23sddmm_csx_sample_kernelILi512ELi64EL20rocsparse_direction_1EDF16_iiDF16_EEvT4_S2_T3_PKT5_S2_PS4_PKS3_PKS2_21rocsparse_index_base_.has_indirect_call, 0
	.section	.AMDGPU.csdata,"",@progbits
; Kernel info:
; codeLenInByte = 580
; TotalNumSgprs: 16
; NumVgprs: 19
; NumAgprs: 0
; TotalNumVgprs: 19
; ScratchSize: 0
; MemoryBound: 0
; FloatMode: 240
; IeeeMode: 1
; LDSByteSize: 0 bytes/workgroup (compile time only)
; SGPRBlocks: 1
; VGPRBlocks: 2
; NumSGPRsForWavesPerEU: 16
; NumVGPRsForWavesPerEU: 19
; AccumOffset: 20
; Occupancy: 8
; WaveLimiterHint : 1
; COMPUTE_PGM_RSRC2:SCRATCH_EN: 0
; COMPUTE_PGM_RSRC2:USER_SGPR: 2
; COMPUTE_PGM_RSRC2:TRAP_HANDLER: 0
; COMPUTE_PGM_RSRC2:TGID_X_EN: 1
; COMPUTE_PGM_RSRC2:TGID_Y_EN: 0
; COMPUTE_PGM_RSRC2:TGID_Z_EN: 0
; COMPUTE_PGM_RSRC2:TIDIG_COMP_CNT: 0
; COMPUTE_PGM_RSRC3_GFX90A:ACCUM_OFFSET: 4
; COMPUTE_PGM_RSRC3_GFX90A:TG_SPLIT: 0
	.section	.text._ZN9rocsparseL23sddmm_csx_sample_kernelILi512ELi32EL20rocsparse_direction_1EDF16_iiDF16_EEvT4_S2_T3_PKT5_S2_PS4_PKS3_PKS2_21rocsparse_index_base_,"axG",@progbits,_ZN9rocsparseL23sddmm_csx_sample_kernelILi512ELi32EL20rocsparse_direction_1EDF16_iiDF16_EEvT4_S2_T3_PKT5_S2_PS4_PKS3_PKS2_21rocsparse_index_base_,comdat
	.globl	_ZN9rocsparseL23sddmm_csx_sample_kernelILi512ELi32EL20rocsparse_direction_1EDF16_iiDF16_EEvT4_S2_T3_PKT5_S2_PS4_PKS3_PKS2_21rocsparse_index_base_ ; -- Begin function _ZN9rocsparseL23sddmm_csx_sample_kernelILi512ELi32EL20rocsparse_direction_1EDF16_iiDF16_EEvT4_S2_T3_PKT5_S2_PS4_PKS3_PKS2_21rocsparse_index_base_
	.p2align	8
	.type	_ZN9rocsparseL23sddmm_csx_sample_kernelILi512ELi32EL20rocsparse_direction_1EDF16_iiDF16_EEvT4_S2_T3_PKT5_S2_PS4_PKS3_PKS2_21rocsparse_index_base_,@function
_ZN9rocsparseL23sddmm_csx_sample_kernelILi512ELi32EL20rocsparse_direction_1EDF16_iiDF16_EEvT4_S2_T3_PKT5_S2_PS4_PKS3_PKS2_21rocsparse_index_base_: ; @_ZN9rocsparseL23sddmm_csx_sample_kernelILi512ELi32EL20rocsparse_direction_1EDF16_iiDF16_EEvT4_S2_T3_PKT5_S2_PS4_PKS3_PKS2_21rocsparse_index_base_
; %bb.0:
	s_load_dword s3, s[0:1], 0x4
	v_lshrrev_b32_e32 v1, 5, v0
	v_lshl_or_b32 v2, s2, 4, v1
	s_waitcnt lgkmcnt(0)
	v_cmp_gt_u32_e32 vcc, s3, v2
	s_and_saveexec_b64 s[2:3], vcc
	s_cbranch_execz .LBB5_9
; %bb.1:
	s_load_dwordx2 s[2:3], s[0:1], 0x28
	s_load_dword s8, s[0:1], 0x38
	v_mov_b32_e32 v3, 0
	v_and_b32_e32 v1, 31, v0
	s_waitcnt lgkmcnt(0)
	v_lshl_add_u64 v[4:5], v[2:3], 2, s[2:3]
	global_load_dwordx2 v[4:5], v[4:5], off
	v_subrev_u32_e32 v0, s8, v1
	s_waitcnt vmcnt(0)
	v_add_u32_e32 v0, v0, v4
	v_subrev_u32_e32 v8, s8, v5
	v_cmp_lt_i32_e32 vcc, v0, v8
	s_and_b64 exec, exec, vcc
	s_cbranch_execz .LBB5_9
; %bb.2:
	v_add_u32_e32 v3, v4, v1
	v_subrev_u32_e32 v3, s8, v3
	s_load_dwordx2 s[4:5], s[0:1], 0x30
	s_load_dword s9, s[0:1], 0x18
	s_load_dwordx2 s[6:7], s[0:1], 0x20
	s_load_dwordx2 s[2:3], s[0:1], 0x10
	v_add_u32_e32 v3, 32, v3
	v_max_i32_e32 v3, v3, v8
	v_not_b32_e32 v4, v4
	v_add3_u32 v3, s8, v3, v4
	s_waitcnt lgkmcnt(0)
	v_mul_lo_u32 v2, s9, v2
	v_sub_u32_e32 v1, v3, v1
	v_subrev_u32_e32 v2, s8, v2
	v_cmp_lt_u32_e32 vcc, 31, v1
	s_mov_b64 s[8:9], -1
	s_and_saveexec_b64 s[0:1], vcc
	s_cbranch_execz .LBB5_6
; %bb.3:
	v_lshrrev_b32_e32 v1, 5, v1
	v_add_u32_e32 v6, 1, v1
	v_and_b32_e32 v7, 0xffffffe, v6
	v_add_u32_e32 v1, 32, v0
	v_mov_b32_e32 v3, v2
	s_mov_b64 s[8:9], 0
	v_mov_b32_e32 v9, v7
	v_mov_b64_e32 v[4:5], v[0:1]
.LBB5_4:                                ; =>This Inner Loop Header: Depth=1
	v_ashrrev_i32_e32 v13, 31, v4
	v_mov_b32_e32 v12, v4
	v_ashrrev_i32_e32 v11, 31, v5
	v_mov_b32_e32 v10, v5
	v_lshl_add_u64 v[14:15], v[12:13], 2, s[4:5]
	v_lshl_add_u64 v[16:17], v[10:11], 2, s[4:5]
	global_load_dword v1, v[14:15], off
	global_load_dword v18, v[16:17], off
	v_add_u32_e32 v9, -2, v9
	v_cmp_eq_u32_e32 vcc, 0, v9
	v_add_u32_e32 v5, 64, v5
	v_add_u32_e32 v4, 64, v4
	v_lshl_add_u64 v[12:13], v[12:13], 1, s[6:7]
	s_or_b64 s[8:9], vcc, s[8:9]
	v_lshl_add_u64 v[10:11], v[10:11], 1, s[6:7]
	s_waitcnt vmcnt(1)
	v_add_u32_e32 v14, v2, v1
	s_waitcnt vmcnt(0)
	v_add_u32_e32 v16, v3, v18
	v_ashrrev_i32_e32 v15, 31, v14
	v_ashrrev_i32_e32 v17, 31, v16
	v_lshl_add_u64 v[14:15], v[14:15], 1, s[2:3]
	v_lshl_add_u64 v[16:17], v[16:17], 1, s[2:3]
	global_load_ushort v1, v[14:15], off
	global_load_ushort v18, v[16:17], off
	s_waitcnt vmcnt(1)
	global_store_short v[12:13], v1, off
	s_waitcnt vmcnt(1)
	global_store_short v[10:11], v18, off
	s_andn2_b64 exec, exec, s[8:9]
	s_cbranch_execnz .LBB5_4
; %bb.5:
	s_or_b64 exec, exec, s[8:9]
	v_cmp_ne_u32_e32 vcc, v6, v7
	v_lshl_add_u32 v0, v7, 5, v0
	s_orn2_b64 s[8:9], vcc, exec
.LBB5_6:
	s_or_b64 exec, exec, s[0:1]
	s_and_b64 exec, exec, s[8:9]
	s_cbranch_execz .LBB5_9
; %bb.7:
	v_ashrrev_i32_e32 v1, 31, v0
	v_lshl_add_u64 v[4:5], v[0:1], 2, s[4:5]
	v_lshl_add_u64 v[6:7], v[0:1], 1, s[6:7]
	s_mov_b64 s[0:1], 0
	s_mov_b64 s[4:5], 0x80
.LBB5_8:                                ; =>This Inner Loop Header: Depth=1
	global_load_dword v1, v[4:5], off
	v_add_u32_e32 v0, 32, v0
	v_cmp_ge_i32_e32 vcc, v0, v8
	v_lshl_add_u64 v[4:5], v[4:5], 0, s[4:5]
	s_or_b64 s[0:1], vcc, s[0:1]
	s_waitcnt vmcnt(0)
	v_add_u32_e32 v10, v2, v1
	v_ashrrev_i32_e32 v11, 31, v10
	v_lshl_add_u64 v[10:11], v[10:11], 1, s[2:3]
	global_load_ushort v1, v[10:11], off
	s_waitcnt vmcnt(0)
	global_store_short v[6:7], v1, off
	v_lshl_add_u64 v[6:7], v[6:7], 0, 64
	s_andn2_b64 exec, exec, s[0:1]
	s_cbranch_execnz .LBB5_8
.LBB5_9:
	s_endpgm
	.section	.rodata,"a",@progbits
	.p2align	6, 0x0
	.amdhsa_kernel _ZN9rocsparseL23sddmm_csx_sample_kernelILi512ELi32EL20rocsparse_direction_1EDF16_iiDF16_EEvT4_S2_T3_PKT5_S2_PS4_PKS3_PKS2_21rocsparse_index_base_
		.amdhsa_group_segment_fixed_size 0
		.amdhsa_private_segment_fixed_size 0
		.amdhsa_kernarg_size 60
		.amdhsa_user_sgpr_count 2
		.amdhsa_user_sgpr_dispatch_ptr 0
		.amdhsa_user_sgpr_queue_ptr 0
		.amdhsa_user_sgpr_kernarg_segment_ptr 1
		.amdhsa_user_sgpr_dispatch_id 0
		.amdhsa_user_sgpr_kernarg_preload_length 0
		.amdhsa_user_sgpr_kernarg_preload_offset 0
		.amdhsa_user_sgpr_private_segment_size 0
		.amdhsa_uses_dynamic_stack 0
		.amdhsa_enable_private_segment 0
		.amdhsa_system_sgpr_workgroup_id_x 1
		.amdhsa_system_sgpr_workgroup_id_y 0
		.amdhsa_system_sgpr_workgroup_id_z 0
		.amdhsa_system_sgpr_workgroup_info 0
		.amdhsa_system_vgpr_workitem_id 0
		.amdhsa_next_free_vgpr 19
		.amdhsa_next_free_sgpr 10
		.amdhsa_accum_offset 20
		.amdhsa_reserve_vcc 1
		.amdhsa_float_round_mode_32 0
		.amdhsa_float_round_mode_16_64 0
		.amdhsa_float_denorm_mode_32 3
		.amdhsa_float_denorm_mode_16_64 3
		.amdhsa_dx10_clamp 1
		.amdhsa_ieee_mode 1
		.amdhsa_fp16_overflow 0
		.amdhsa_tg_split 0
		.amdhsa_exception_fp_ieee_invalid_op 0
		.amdhsa_exception_fp_denorm_src 0
		.amdhsa_exception_fp_ieee_div_zero 0
		.amdhsa_exception_fp_ieee_overflow 0
		.amdhsa_exception_fp_ieee_underflow 0
		.amdhsa_exception_fp_ieee_inexact 0
		.amdhsa_exception_int_div_zero 0
	.end_amdhsa_kernel
	.section	.text._ZN9rocsparseL23sddmm_csx_sample_kernelILi512ELi32EL20rocsparse_direction_1EDF16_iiDF16_EEvT4_S2_T3_PKT5_S2_PS4_PKS3_PKS2_21rocsparse_index_base_,"axG",@progbits,_ZN9rocsparseL23sddmm_csx_sample_kernelILi512ELi32EL20rocsparse_direction_1EDF16_iiDF16_EEvT4_S2_T3_PKT5_S2_PS4_PKS3_PKS2_21rocsparse_index_base_,comdat
.Lfunc_end5:
	.size	_ZN9rocsparseL23sddmm_csx_sample_kernelILi512ELi32EL20rocsparse_direction_1EDF16_iiDF16_EEvT4_S2_T3_PKT5_S2_PS4_PKS3_PKS2_21rocsparse_index_base_, .Lfunc_end5-_ZN9rocsparseL23sddmm_csx_sample_kernelILi512ELi32EL20rocsparse_direction_1EDF16_iiDF16_EEvT4_S2_T3_PKT5_S2_PS4_PKS3_PKS2_21rocsparse_index_base_
                                        ; -- End function
	.set _ZN9rocsparseL23sddmm_csx_sample_kernelILi512ELi32EL20rocsparse_direction_1EDF16_iiDF16_EEvT4_S2_T3_PKT5_S2_PS4_PKS3_PKS2_21rocsparse_index_base_.num_vgpr, 19
	.set _ZN9rocsparseL23sddmm_csx_sample_kernelILi512ELi32EL20rocsparse_direction_1EDF16_iiDF16_EEvT4_S2_T3_PKT5_S2_PS4_PKS3_PKS2_21rocsparse_index_base_.num_agpr, 0
	.set _ZN9rocsparseL23sddmm_csx_sample_kernelILi512ELi32EL20rocsparse_direction_1EDF16_iiDF16_EEvT4_S2_T3_PKT5_S2_PS4_PKS3_PKS2_21rocsparse_index_base_.numbered_sgpr, 10
	.set _ZN9rocsparseL23sddmm_csx_sample_kernelILi512ELi32EL20rocsparse_direction_1EDF16_iiDF16_EEvT4_S2_T3_PKT5_S2_PS4_PKS3_PKS2_21rocsparse_index_base_.num_named_barrier, 0
	.set _ZN9rocsparseL23sddmm_csx_sample_kernelILi512ELi32EL20rocsparse_direction_1EDF16_iiDF16_EEvT4_S2_T3_PKT5_S2_PS4_PKS3_PKS2_21rocsparse_index_base_.private_seg_size, 0
	.set _ZN9rocsparseL23sddmm_csx_sample_kernelILi512ELi32EL20rocsparse_direction_1EDF16_iiDF16_EEvT4_S2_T3_PKT5_S2_PS4_PKS3_PKS2_21rocsparse_index_base_.uses_vcc, 1
	.set _ZN9rocsparseL23sddmm_csx_sample_kernelILi512ELi32EL20rocsparse_direction_1EDF16_iiDF16_EEvT4_S2_T3_PKT5_S2_PS4_PKS3_PKS2_21rocsparse_index_base_.uses_flat_scratch, 0
	.set _ZN9rocsparseL23sddmm_csx_sample_kernelILi512ELi32EL20rocsparse_direction_1EDF16_iiDF16_EEvT4_S2_T3_PKT5_S2_PS4_PKS3_PKS2_21rocsparse_index_base_.has_dyn_sized_stack, 0
	.set _ZN9rocsparseL23sddmm_csx_sample_kernelILi512ELi32EL20rocsparse_direction_1EDF16_iiDF16_EEvT4_S2_T3_PKT5_S2_PS4_PKS3_PKS2_21rocsparse_index_base_.has_recursion, 0
	.set _ZN9rocsparseL23sddmm_csx_sample_kernelILi512ELi32EL20rocsparse_direction_1EDF16_iiDF16_EEvT4_S2_T3_PKT5_S2_PS4_PKS3_PKS2_21rocsparse_index_base_.has_indirect_call, 0
	.section	.AMDGPU.csdata,"",@progbits
; Kernel info:
; codeLenInByte = 564
; TotalNumSgprs: 16
; NumVgprs: 19
; NumAgprs: 0
; TotalNumVgprs: 19
; ScratchSize: 0
; MemoryBound: 0
; FloatMode: 240
; IeeeMode: 1
; LDSByteSize: 0 bytes/workgroup (compile time only)
; SGPRBlocks: 1
; VGPRBlocks: 2
; NumSGPRsForWavesPerEU: 16
; NumVGPRsForWavesPerEU: 19
; AccumOffset: 20
; Occupancy: 8
; WaveLimiterHint : 1
; COMPUTE_PGM_RSRC2:SCRATCH_EN: 0
; COMPUTE_PGM_RSRC2:USER_SGPR: 2
; COMPUTE_PGM_RSRC2:TRAP_HANDLER: 0
; COMPUTE_PGM_RSRC2:TGID_X_EN: 1
; COMPUTE_PGM_RSRC2:TGID_Y_EN: 0
; COMPUTE_PGM_RSRC2:TGID_Z_EN: 0
; COMPUTE_PGM_RSRC2:TIDIG_COMP_CNT: 0
; COMPUTE_PGM_RSRC3_GFX90A:ACCUM_OFFSET: 4
; COMPUTE_PGM_RSRC3_GFX90A:TG_SPLIT: 0
	.section	.text._ZN9rocsparseL23sddmm_csx_sample_kernelILi512ELi16EL20rocsparse_direction_1EDF16_iiDF16_EEvT4_S2_T3_PKT5_S2_PS4_PKS3_PKS2_21rocsparse_index_base_,"axG",@progbits,_ZN9rocsparseL23sddmm_csx_sample_kernelILi512ELi16EL20rocsparse_direction_1EDF16_iiDF16_EEvT4_S2_T3_PKT5_S2_PS4_PKS3_PKS2_21rocsparse_index_base_,comdat
	.globl	_ZN9rocsparseL23sddmm_csx_sample_kernelILi512ELi16EL20rocsparse_direction_1EDF16_iiDF16_EEvT4_S2_T3_PKT5_S2_PS4_PKS3_PKS2_21rocsparse_index_base_ ; -- Begin function _ZN9rocsparseL23sddmm_csx_sample_kernelILi512ELi16EL20rocsparse_direction_1EDF16_iiDF16_EEvT4_S2_T3_PKT5_S2_PS4_PKS3_PKS2_21rocsparse_index_base_
	.p2align	8
	.type	_ZN9rocsparseL23sddmm_csx_sample_kernelILi512ELi16EL20rocsparse_direction_1EDF16_iiDF16_EEvT4_S2_T3_PKT5_S2_PS4_PKS3_PKS2_21rocsparse_index_base_,@function
_ZN9rocsparseL23sddmm_csx_sample_kernelILi512ELi16EL20rocsparse_direction_1EDF16_iiDF16_EEvT4_S2_T3_PKT5_S2_PS4_PKS3_PKS2_21rocsparse_index_base_: ; @_ZN9rocsparseL23sddmm_csx_sample_kernelILi512ELi16EL20rocsparse_direction_1EDF16_iiDF16_EEvT4_S2_T3_PKT5_S2_PS4_PKS3_PKS2_21rocsparse_index_base_
; %bb.0:
	s_load_dword s3, s[0:1], 0x4
	v_lshrrev_b32_e32 v1, 4, v0
	v_lshl_or_b32 v2, s2, 5, v1
	s_waitcnt lgkmcnt(0)
	v_cmp_gt_u32_e32 vcc, s3, v2
	s_and_saveexec_b64 s[2:3], vcc
	s_cbranch_execz .LBB6_9
; %bb.1:
	s_load_dwordx2 s[2:3], s[0:1], 0x28
	s_load_dword s8, s[0:1], 0x38
	v_mov_b32_e32 v3, 0
	v_and_b32_e32 v1, 15, v0
	s_waitcnt lgkmcnt(0)
	v_lshl_add_u64 v[4:5], v[2:3], 2, s[2:3]
	global_load_dwordx2 v[4:5], v[4:5], off
	v_subrev_u32_e32 v0, s8, v1
	s_waitcnt vmcnt(0)
	v_add_u32_e32 v0, v0, v4
	v_subrev_u32_e32 v8, s8, v5
	v_cmp_lt_i32_e32 vcc, v0, v8
	s_and_b64 exec, exec, vcc
	s_cbranch_execz .LBB6_9
; %bb.2:
	v_add_u32_e32 v3, v4, v1
	v_subrev_u32_e32 v3, s8, v3
	s_load_dwordx2 s[4:5], s[0:1], 0x30
	s_load_dword s9, s[0:1], 0x18
	s_load_dwordx2 s[6:7], s[0:1], 0x20
	s_load_dwordx2 s[2:3], s[0:1], 0x10
	v_add_u32_e32 v3, 16, v3
	v_max_i32_e32 v3, v3, v8
	v_not_b32_e32 v4, v4
	v_add3_u32 v3, s8, v3, v4
	s_waitcnt lgkmcnt(0)
	v_mul_lo_u32 v2, s9, v2
	v_sub_u32_e32 v1, v3, v1
	v_subrev_u32_e32 v2, s8, v2
	v_cmp_lt_u32_e32 vcc, 15, v1
	s_mov_b64 s[8:9], -1
	s_and_saveexec_b64 s[0:1], vcc
	s_cbranch_execz .LBB6_6
; %bb.3:
	v_lshrrev_b32_e32 v1, 4, v1
	v_add_u32_e32 v6, 1, v1
	v_and_b32_e32 v7, 0x1ffffffe, v6
	v_add_u32_e32 v1, 16, v0
	v_mov_b32_e32 v3, v2
	s_mov_b64 s[8:9], 0
	v_mov_b32_e32 v9, v7
	v_mov_b64_e32 v[4:5], v[0:1]
.LBB6_4:                                ; =>This Inner Loop Header: Depth=1
	v_ashrrev_i32_e32 v13, 31, v4
	v_mov_b32_e32 v12, v4
	v_ashrrev_i32_e32 v11, 31, v5
	v_mov_b32_e32 v10, v5
	v_lshl_add_u64 v[14:15], v[12:13], 2, s[4:5]
	v_lshl_add_u64 v[16:17], v[10:11], 2, s[4:5]
	global_load_dword v1, v[14:15], off
	global_load_dword v18, v[16:17], off
	v_add_u32_e32 v9, -2, v9
	v_cmp_eq_u32_e32 vcc, 0, v9
	v_add_u32_e32 v5, 32, v5
	v_add_u32_e32 v4, 32, v4
	v_lshl_add_u64 v[12:13], v[12:13], 1, s[6:7]
	s_or_b64 s[8:9], vcc, s[8:9]
	v_lshl_add_u64 v[10:11], v[10:11], 1, s[6:7]
	s_waitcnt vmcnt(1)
	v_add_u32_e32 v14, v2, v1
	s_waitcnt vmcnt(0)
	v_add_u32_e32 v16, v3, v18
	v_ashrrev_i32_e32 v15, 31, v14
	v_ashrrev_i32_e32 v17, 31, v16
	v_lshl_add_u64 v[14:15], v[14:15], 1, s[2:3]
	v_lshl_add_u64 v[16:17], v[16:17], 1, s[2:3]
	global_load_ushort v1, v[14:15], off
	global_load_ushort v18, v[16:17], off
	s_waitcnt vmcnt(1)
	global_store_short v[12:13], v1, off
	s_waitcnt vmcnt(1)
	global_store_short v[10:11], v18, off
	s_andn2_b64 exec, exec, s[8:9]
	s_cbranch_execnz .LBB6_4
; %bb.5:
	s_or_b64 exec, exec, s[8:9]
	v_cmp_ne_u32_e32 vcc, v6, v7
	v_lshl_add_u32 v0, v7, 4, v0
	s_orn2_b64 s[8:9], vcc, exec
.LBB6_6:
	s_or_b64 exec, exec, s[0:1]
	s_and_b64 exec, exec, s[8:9]
	s_cbranch_execz .LBB6_9
; %bb.7:
	v_ashrrev_i32_e32 v1, 31, v0
	v_lshl_add_u64 v[4:5], v[0:1], 2, s[4:5]
	v_lshl_add_u64 v[6:7], v[0:1], 1, s[6:7]
	s_mov_b64 s[0:1], 0
.LBB6_8:                                ; =>This Inner Loop Header: Depth=1
	global_load_dword v1, v[4:5], off
	v_add_u32_e32 v0, 16, v0
	v_cmp_ge_i32_e32 vcc, v0, v8
	v_lshl_add_u64 v[4:5], v[4:5], 0, 64
	s_or_b64 s[0:1], vcc, s[0:1]
	s_waitcnt vmcnt(0)
	v_add_u32_e32 v10, v2, v1
	v_ashrrev_i32_e32 v11, 31, v10
	v_lshl_add_u64 v[10:11], v[10:11], 1, s[2:3]
	global_load_ushort v1, v[10:11], off
	s_waitcnt vmcnt(0)
	global_store_short v[6:7], v1, off
	v_lshl_add_u64 v[6:7], v[6:7], 0, 32
	s_andn2_b64 exec, exec, s[0:1]
	s_cbranch_execnz .LBB6_8
.LBB6_9:
	s_endpgm
	.section	.rodata,"a",@progbits
	.p2align	6, 0x0
	.amdhsa_kernel _ZN9rocsparseL23sddmm_csx_sample_kernelILi512ELi16EL20rocsparse_direction_1EDF16_iiDF16_EEvT4_S2_T3_PKT5_S2_PS4_PKS3_PKS2_21rocsparse_index_base_
		.amdhsa_group_segment_fixed_size 0
		.amdhsa_private_segment_fixed_size 0
		.amdhsa_kernarg_size 60
		.amdhsa_user_sgpr_count 2
		.amdhsa_user_sgpr_dispatch_ptr 0
		.amdhsa_user_sgpr_queue_ptr 0
		.amdhsa_user_sgpr_kernarg_segment_ptr 1
		.amdhsa_user_sgpr_dispatch_id 0
		.amdhsa_user_sgpr_kernarg_preload_length 0
		.amdhsa_user_sgpr_kernarg_preload_offset 0
		.amdhsa_user_sgpr_private_segment_size 0
		.amdhsa_uses_dynamic_stack 0
		.amdhsa_enable_private_segment 0
		.amdhsa_system_sgpr_workgroup_id_x 1
		.amdhsa_system_sgpr_workgroup_id_y 0
		.amdhsa_system_sgpr_workgroup_id_z 0
		.amdhsa_system_sgpr_workgroup_info 0
		.amdhsa_system_vgpr_workitem_id 0
		.amdhsa_next_free_vgpr 19
		.amdhsa_next_free_sgpr 10
		.amdhsa_accum_offset 20
		.amdhsa_reserve_vcc 1
		.amdhsa_float_round_mode_32 0
		.amdhsa_float_round_mode_16_64 0
		.amdhsa_float_denorm_mode_32 3
		.amdhsa_float_denorm_mode_16_64 3
		.amdhsa_dx10_clamp 1
		.amdhsa_ieee_mode 1
		.amdhsa_fp16_overflow 0
		.amdhsa_tg_split 0
		.amdhsa_exception_fp_ieee_invalid_op 0
		.amdhsa_exception_fp_denorm_src 0
		.amdhsa_exception_fp_ieee_div_zero 0
		.amdhsa_exception_fp_ieee_overflow 0
		.amdhsa_exception_fp_ieee_underflow 0
		.amdhsa_exception_fp_ieee_inexact 0
		.amdhsa_exception_int_div_zero 0
	.end_amdhsa_kernel
	.section	.text._ZN9rocsparseL23sddmm_csx_sample_kernelILi512ELi16EL20rocsparse_direction_1EDF16_iiDF16_EEvT4_S2_T3_PKT5_S2_PS4_PKS3_PKS2_21rocsparse_index_base_,"axG",@progbits,_ZN9rocsparseL23sddmm_csx_sample_kernelILi512ELi16EL20rocsparse_direction_1EDF16_iiDF16_EEvT4_S2_T3_PKT5_S2_PS4_PKS3_PKS2_21rocsparse_index_base_,comdat
.Lfunc_end6:
	.size	_ZN9rocsparseL23sddmm_csx_sample_kernelILi512ELi16EL20rocsparse_direction_1EDF16_iiDF16_EEvT4_S2_T3_PKT5_S2_PS4_PKS3_PKS2_21rocsparse_index_base_, .Lfunc_end6-_ZN9rocsparseL23sddmm_csx_sample_kernelILi512ELi16EL20rocsparse_direction_1EDF16_iiDF16_EEvT4_S2_T3_PKT5_S2_PS4_PKS3_PKS2_21rocsparse_index_base_
                                        ; -- End function
	.set _ZN9rocsparseL23sddmm_csx_sample_kernelILi512ELi16EL20rocsparse_direction_1EDF16_iiDF16_EEvT4_S2_T3_PKT5_S2_PS4_PKS3_PKS2_21rocsparse_index_base_.num_vgpr, 19
	.set _ZN9rocsparseL23sddmm_csx_sample_kernelILi512ELi16EL20rocsparse_direction_1EDF16_iiDF16_EEvT4_S2_T3_PKT5_S2_PS4_PKS3_PKS2_21rocsparse_index_base_.num_agpr, 0
	.set _ZN9rocsparseL23sddmm_csx_sample_kernelILi512ELi16EL20rocsparse_direction_1EDF16_iiDF16_EEvT4_S2_T3_PKT5_S2_PS4_PKS3_PKS2_21rocsparse_index_base_.numbered_sgpr, 10
	.set _ZN9rocsparseL23sddmm_csx_sample_kernelILi512ELi16EL20rocsparse_direction_1EDF16_iiDF16_EEvT4_S2_T3_PKT5_S2_PS4_PKS3_PKS2_21rocsparse_index_base_.num_named_barrier, 0
	.set _ZN9rocsparseL23sddmm_csx_sample_kernelILi512ELi16EL20rocsparse_direction_1EDF16_iiDF16_EEvT4_S2_T3_PKT5_S2_PS4_PKS3_PKS2_21rocsparse_index_base_.private_seg_size, 0
	.set _ZN9rocsparseL23sddmm_csx_sample_kernelILi512ELi16EL20rocsparse_direction_1EDF16_iiDF16_EEvT4_S2_T3_PKT5_S2_PS4_PKS3_PKS2_21rocsparse_index_base_.uses_vcc, 1
	.set _ZN9rocsparseL23sddmm_csx_sample_kernelILi512ELi16EL20rocsparse_direction_1EDF16_iiDF16_EEvT4_S2_T3_PKT5_S2_PS4_PKS3_PKS2_21rocsparse_index_base_.uses_flat_scratch, 0
	.set _ZN9rocsparseL23sddmm_csx_sample_kernelILi512ELi16EL20rocsparse_direction_1EDF16_iiDF16_EEvT4_S2_T3_PKT5_S2_PS4_PKS3_PKS2_21rocsparse_index_base_.has_dyn_sized_stack, 0
	.set _ZN9rocsparseL23sddmm_csx_sample_kernelILi512ELi16EL20rocsparse_direction_1EDF16_iiDF16_EEvT4_S2_T3_PKT5_S2_PS4_PKS3_PKS2_21rocsparse_index_base_.has_recursion, 0
	.set _ZN9rocsparseL23sddmm_csx_sample_kernelILi512ELi16EL20rocsparse_direction_1EDF16_iiDF16_EEvT4_S2_T3_PKT5_S2_PS4_PKS3_PKS2_21rocsparse_index_base_.has_indirect_call, 0
	.section	.AMDGPU.csdata,"",@progbits
; Kernel info:
; codeLenInByte = 556
; TotalNumSgprs: 16
; NumVgprs: 19
; NumAgprs: 0
; TotalNumVgprs: 19
; ScratchSize: 0
; MemoryBound: 0
; FloatMode: 240
; IeeeMode: 1
; LDSByteSize: 0 bytes/workgroup (compile time only)
; SGPRBlocks: 1
; VGPRBlocks: 2
; NumSGPRsForWavesPerEU: 16
; NumVGPRsForWavesPerEU: 19
; AccumOffset: 20
; Occupancy: 8
; WaveLimiterHint : 1
; COMPUTE_PGM_RSRC2:SCRATCH_EN: 0
; COMPUTE_PGM_RSRC2:USER_SGPR: 2
; COMPUTE_PGM_RSRC2:TRAP_HANDLER: 0
; COMPUTE_PGM_RSRC2:TGID_X_EN: 1
; COMPUTE_PGM_RSRC2:TGID_Y_EN: 0
; COMPUTE_PGM_RSRC2:TGID_Z_EN: 0
; COMPUTE_PGM_RSRC2:TIDIG_COMP_CNT: 0
; COMPUTE_PGM_RSRC3_GFX90A:ACCUM_OFFSET: 4
; COMPUTE_PGM_RSRC3_GFX90A:TG_SPLIT: 0
	.section	.text._ZN9rocsparseL23sddmm_csx_sample_kernelILi512ELi8EL20rocsparse_direction_1EDF16_iiDF16_EEvT4_S2_T3_PKT5_S2_PS4_PKS3_PKS2_21rocsparse_index_base_,"axG",@progbits,_ZN9rocsparseL23sddmm_csx_sample_kernelILi512ELi8EL20rocsparse_direction_1EDF16_iiDF16_EEvT4_S2_T3_PKT5_S2_PS4_PKS3_PKS2_21rocsparse_index_base_,comdat
	.globl	_ZN9rocsparseL23sddmm_csx_sample_kernelILi512ELi8EL20rocsparse_direction_1EDF16_iiDF16_EEvT4_S2_T3_PKT5_S2_PS4_PKS3_PKS2_21rocsparse_index_base_ ; -- Begin function _ZN9rocsparseL23sddmm_csx_sample_kernelILi512ELi8EL20rocsparse_direction_1EDF16_iiDF16_EEvT4_S2_T3_PKT5_S2_PS4_PKS3_PKS2_21rocsparse_index_base_
	.p2align	8
	.type	_ZN9rocsparseL23sddmm_csx_sample_kernelILi512ELi8EL20rocsparse_direction_1EDF16_iiDF16_EEvT4_S2_T3_PKT5_S2_PS4_PKS3_PKS2_21rocsparse_index_base_,@function
_ZN9rocsparseL23sddmm_csx_sample_kernelILi512ELi8EL20rocsparse_direction_1EDF16_iiDF16_EEvT4_S2_T3_PKT5_S2_PS4_PKS3_PKS2_21rocsparse_index_base_: ; @_ZN9rocsparseL23sddmm_csx_sample_kernelILi512ELi8EL20rocsparse_direction_1EDF16_iiDF16_EEvT4_S2_T3_PKT5_S2_PS4_PKS3_PKS2_21rocsparse_index_base_
; %bb.0:
	s_load_dword s3, s[0:1], 0x4
	v_lshrrev_b32_e32 v1, 3, v0
	v_lshl_or_b32 v2, s2, 6, v1
	s_waitcnt lgkmcnt(0)
	v_cmp_gt_u32_e32 vcc, s3, v2
	s_and_saveexec_b64 s[2:3], vcc
	s_cbranch_execz .LBB7_9
; %bb.1:
	s_load_dwordx2 s[2:3], s[0:1], 0x28
	s_load_dword s8, s[0:1], 0x38
	v_mov_b32_e32 v3, 0
	v_and_b32_e32 v1, 7, v0
	s_waitcnt lgkmcnt(0)
	v_lshl_add_u64 v[4:5], v[2:3], 2, s[2:3]
	global_load_dwordx2 v[4:5], v[4:5], off
	v_subrev_u32_e32 v0, s8, v1
	s_waitcnt vmcnt(0)
	v_add_u32_e32 v0, v0, v4
	v_subrev_u32_e32 v8, s8, v5
	v_cmp_lt_i32_e32 vcc, v0, v8
	s_and_b64 exec, exec, vcc
	s_cbranch_execz .LBB7_9
; %bb.2:
	v_add_u32_e32 v3, v4, v1
	v_subrev_u32_e32 v3, s8, v3
	s_load_dwordx2 s[4:5], s[0:1], 0x30
	s_load_dword s9, s[0:1], 0x18
	s_load_dwordx2 s[6:7], s[0:1], 0x20
	s_load_dwordx2 s[2:3], s[0:1], 0x10
	v_add_u32_e32 v3, 8, v3
	v_max_i32_e32 v3, v3, v8
	v_not_b32_e32 v4, v4
	v_add3_u32 v3, s8, v3, v4
	s_waitcnt lgkmcnt(0)
	v_mul_lo_u32 v2, s9, v2
	v_sub_u32_e32 v1, v3, v1
	v_subrev_u32_e32 v2, s8, v2
	v_cmp_lt_u32_e32 vcc, 7, v1
	s_mov_b64 s[8:9], -1
	s_and_saveexec_b64 s[0:1], vcc
	s_cbranch_execz .LBB7_6
; %bb.3:
	v_lshrrev_b32_e32 v1, 3, v1
	v_add_u32_e32 v6, 1, v1
	v_and_b32_e32 v7, 0x3ffffffe, v6
	v_add_u32_e32 v1, 8, v0
	v_mov_b32_e32 v3, v2
	s_mov_b64 s[8:9], 0
	v_mov_b32_e32 v9, v7
	v_mov_b64_e32 v[4:5], v[0:1]
.LBB7_4:                                ; =>This Inner Loop Header: Depth=1
	v_ashrrev_i32_e32 v13, 31, v4
	v_mov_b32_e32 v12, v4
	v_ashrrev_i32_e32 v11, 31, v5
	v_mov_b32_e32 v10, v5
	v_lshl_add_u64 v[14:15], v[12:13], 2, s[4:5]
	v_lshl_add_u64 v[16:17], v[10:11], 2, s[4:5]
	global_load_dword v1, v[14:15], off
	global_load_dword v18, v[16:17], off
	v_add_u32_e32 v9, -2, v9
	v_cmp_eq_u32_e32 vcc, 0, v9
	v_add_u32_e32 v5, 16, v5
	v_add_u32_e32 v4, 16, v4
	v_lshl_add_u64 v[12:13], v[12:13], 1, s[6:7]
	s_or_b64 s[8:9], vcc, s[8:9]
	v_lshl_add_u64 v[10:11], v[10:11], 1, s[6:7]
	s_waitcnt vmcnt(1)
	v_add_u32_e32 v14, v2, v1
	s_waitcnt vmcnt(0)
	v_add_u32_e32 v16, v3, v18
	v_ashrrev_i32_e32 v15, 31, v14
	v_ashrrev_i32_e32 v17, 31, v16
	v_lshl_add_u64 v[14:15], v[14:15], 1, s[2:3]
	v_lshl_add_u64 v[16:17], v[16:17], 1, s[2:3]
	global_load_ushort v1, v[14:15], off
	global_load_ushort v18, v[16:17], off
	s_waitcnt vmcnt(1)
	global_store_short v[12:13], v1, off
	s_waitcnt vmcnt(1)
	global_store_short v[10:11], v18, off
	s_andn2_b64 exec, exec, s[8:9]
	s_cbranch_execnz .LBB7_4
; %bb.5:
	s_or_b64 exec, exec, s[8:9]
	v_cmp_ne_u32_e32 vcc, v6, v7
	v_lshl_add_u32 v0, v7, 3, v0
	s_orn2_b64 s[8:9], vcc, exec
.LBB7_6:
	s_or_b64 exec, exec, s[0:1]
	s_and_b64 exec, exec, s[8:9]
	s_cbranch_execz .LBB7_9
; %bb.7:
	v_ashrrev_i32_e32 v1, 31, v0
	v_lshl_add_u64 v[4:5], v[0:1], 2, s[4:5]
	v_lshl_add_u64 v[6:7], v[0:1], 1, s[6:7]
	s_mov_b64 s[0:1], 0
.LBB7_8:                                ; =>This Inner Loop Header: Depth=1
	global_load_dword v1, v[4:5], off
	v_add_u32_e32 v0, 8, v0
	v_cmp_ge_i32_e32 vcc, v0, v8
	v_lshl_add_u64 v[4:5], v[4:5], 0, 32
	s_or_b64 s[0:1], vcc, s[0:1]
	s_waitcnt vmcnt(0)
	v_add_u32_e32 v10, v2, v1
	v_ashrrev_i32_e32 v11, 31, v10
	v_lshl_add_u64 v[10:11], v[10:11], 1, s[2:3]
	global_load_ushort v1, v[10:11], off
	s_waitcnt vmcnt(0)
	global_store_short v[6:7], v1, off
	v_lshl_add_u64 v[6:7], v[6:7], 0, 16
	s_andn2_b64 exec, exec, s[0:1]
	s_cbranch_execnz .LBB7_8
.LBB7_9:
	s_endpgm
	.section	.rodata,"a",@progbits
	.p2align	6, 0x0
	.amdhsa_kernel _ZN9rocsparseL23sddmm_csx_sample_kernelILi512ELi8EL20rocsparse_direction_1EDF16_iiDF16_EEvT4_S2_T3_PKT5_S2_PS4_PKS3_PKS2_21rocsparse_index_base_
		.amdhsa_group_segment_fixed_size 0
		.amdhsa_private_segment_fixed_size 0
		.amdhsa_kernarg_size 60
		.amdhsa_user_sgpr_count 2
		.amdhsa_user_sgpr_dispatch_ptr 0
		.amdhsa_user_sgpr_queue_ptr 0
		.amdhsa_user_sgpr_kernarg_segment_ptr 1
		.amdhsa_user_sgpr_dispatch_id 0
		.amdhsa_user_sgpr_kernarg_preload_length 0
		.amdhsa_user_sgpr_kernarg_preload_offset 0
		.amdhsa_user_sgpr_private_segment_size 0
		.amdhsa_uses_dynamic_stack 0
		.amdhsa_enable_private_segment 0
		.amdhsa_system_sgpr_workgroup_id_x 1
		.amdhsa_system_sgpr_workgroup_id_y 0
		.amdhsa_system_sgpr_workgroup_id_z 0
		.amdhsa_system_sgpr_workgroup_info 0
		.amdhsa_system_vgpr_workitem_id 0
		.amdhsa_next_free_vgpr 19
		.amdhsa_next_free_sgpr 10
		.amdhsa_accum_offset 20
		.amdhsa_reserve_vcc 1
		.amdhsa_float_round_mode_32 0
		.amdhsa_float_round_mode_16_64 0
		.amdhsa_float_denorm_mode_32 3
		.amdhsa_float_denorm_mode_16_64 3
		.amdhsa_dx10_clamp 1
		.amdhsa_ieee_mode 1
		.amdhsa_fp16_overflow 0
		.amdhsa_tg_split 0
		.amdhsa_exception_fp_ieee_invalid_op 0
		.amdhsa_exception_fp_denorm_src 0
		.amdhsa_exception_fp_ieee_div_zero 0
		.amdhsa_exception_fp_ieee_overflow 0
		.amdhsa_exception_fp_ieee_underflow 0
		.amdhsa_exception_fp_ieee_inexact 0
		.amdhsa_exception_int_div_zero 0
	.end_amdhsa_kernel
	.section	.text._ZN9rocsparseL23sddmm_csx_sample_kernelILi512ELi8EL20rocsparse_direction_1EDF16_iiDF16_EEvT4_S2_T3_PKT5_S2_PS4_PKS3_PKS2_21rocsparse_index_base_,"axG",@progbits,_ZN9rocsparseL23sddmm_csx_sample_kernelILi512ELi8EL20rocsparse_direction_1EDF16_iiDF16_EEvT4_S2_T3_PKT5_S2_PS4_PKS3_PKS2_21rocsparse_index_base_,comdat
.Lfunc_end7:
	.size	_ZN9rocsparseL23sddmm_csx_sample_kernelILi512ELi8EL20rocsparse_direction_1EDF16_iiDF16_EEvT4_S2_T3_PKT5_S2_PS4_PKS3_PKS2_21rocsparse_index_base_, .Lfunc_end7-_ZN9rocsparseL23sddmm_csx_sample_kernelILi512ELi8EL20rocsparse_direction_1EDF16_iiDF16_EEvT4_S2_T3_PKT5_S2_PS4_PKS3_PKS2_21rocsparse_index_base_
                                        ; -- End function
	.set _ZN9rocsparseL23sddmm_csx_sample_kernelILi512ELi8EL20rocsparse_direction_1EDF16_iiDF16_EEvT4_S2_T3_PKT5_S2_PS4_PKS3_PKS2_21rocsparse_index_base_.num_vgpr, 19
	.set _ZN9rocsparseL23sddmm_csx_sample_kernelILi512ELi8EL20rocsparse_direction_1EDF16_iiDF16_EEvT4_S2_T3_PKT5_S2_PS4_PKS3_PKS2_21rocsparse_index_base_.num_agpr, 0
	.set _ZN9rocsparseL23sddmm_csx_sample_kernelILi512ELi8EL20rocsparse_direction_1EDF16_iiDF16_EEvT4_S2_T3_PKT5_S2_PS4_PKS3_PKS2_21rocsparse_index_base_.numbered_sgpr, 10
	.set _ZN9rocsparseL23sddmm_csx_sample_kernelILi512ELi8EL20rocsparse_direction_1EDF16_iiDF16_EEvT4_S2_T3_PKT5_S2_PS4_PKS3_PKS2_21rocsparse_index_base_.num_named_barrier, 0
	.set _ZN9rocsparseL23sddmm_csx_sample_kernelILi512ELi8EL20rocsparse_direction_1EDF16_iiDF16_EEvT4_S2_T3_PKT5_S2_PS4_PKS3_PKS2_21rocsparse_index_base_.private_seg_size, 0
	.set _ZN9rocsparseL23sddmm_csx_sample_kernelILi512ELi8EL20rocsparse_direction_1EDF16_iiDF16_EEvT4_S2_T3_PKT5_S2_PS4_PKS3_PKS2_21rocsparse_index_base_.uses_vcc, 1
	.set _ZN9rocsparseL23sddmm_csx_sample_kernelILi512ELi8EL20rocsparse_direction_1EDF16_iiDF16_EEvT4_S2_T3_PKT5_S2_PS4_PKS3_PKS2_21rocsparse_index_base_.uses_flat_scratch, 0
	.set _ZN9rocsparseL23sddmm_csx_sample_kernelILi512ELi8EL20rocsparse_direction_1EDF16_iiDF16_EEvT4_S2_T3_PKT5_S2_PS4_PKS3_PKS2_21rocsparse_index_base_.has_dyn_sized_stack, 0
	.set _ZN9rocsparseL23sddmm_csx_sample_kernelILi512ELi8EL20rocsparse_direction_1EDF16_iiDF16_EEvT4_S2_T3_PKT5_S2_PS4_PKS3_PKS2_21rocsparse_index_base_.has_recursion, 0
	.set _ZN9rocsparseL23sddmm_csx_sample_kernelILi512ELi8EL20rocsparse_direction_1EDF16_iiDF16_EEvT4_S2_T3_PKT5_S2_PS4_PKS3_PKS2_21rocsparse_index_base_.has_indirect_call, 0
	.section	.AMDGPU.csdata,"",@progbits
; Kernel info:
; codeLenInByte = 556
; TotalNumSgprs: 16
; NumVgprs: 19
; NumAgprs: 0
; TotalNumVgprs: 19
; ScratchSize: 0
; MemoryBound: 0
; FloatMode: 240
; IeeeMode: 1
; LDSByteSize: 0 bytes/workgroup (compile time only)
; SGPRBlocks: 1
; VGPRBlocks: 2
; NumSGPRsForWavesPerEU: 16
; NumVGPRsForWavesPerEU: 19
; AccumOffset: 20
; Occupancy: 8
; WaveLimiterHint : 1
; COMPUTE_PGM_RSRC2:SCRATCH_EN: 0
; COMPUTE_PGM_RSRC2:USER_SGPR: 2
; COMPUTE_PGM_RSRC2:TRAP_HANDLER: 0
; COMPUTE_PGM_RSRC2:TGID_X_EN: 1
; COMPUTE_PGM_RSRC2:TGID_Y_EN: 0
; COMPUTE_PGM_RSRC2:TGID_Z_EN: 0
; COMPUTE_PGM_RSRC2:TIDIG_COMP_CNT: 0
; COMPUTE_PGM_RSRC3_GFX90A:ACCUM_OFFSET: 4
; COMPUTE_PGM_RSRC3_GFX90A:TG_SPLIT: 0
	.section	.text._ZN9rocsparseL23sddmm_csx_sample_kernelILi512ELi4EL20rocsparse_direction_1EDF16_iiDF16_EEvT4_S2_T3_PKT5_S2_PS4_PKS3_PKS2_21rocsparse_index_base_,"axG",@progbits,_ZN9rocsparseL23sddmm_csx_sample_kernelILi512ELi4EL20rocsparse_direction_1EDF16_iiDF16_EEvT4_S2_T3_PKT5_S2_PS4_PKS3_PKS2_21rocsparse_index_base_,comdat
	.globl	_ZN9rocsparseL23sddmm_csx_sample_kernelILi512ELi4EL20rocsparse_direction_1EDF16_iiDF16_EEvT4_S2_T3_PKT5_S2_PS4_PKS3_PKS2_21rocsparse_index_base_ ; -- Begin function _ZN9rocsparseL23sddmm_csx_sample_kernelILi512ELi4EL20rocsparse_direction_1EDF16_iiDF16_EEvT4_S2_T3_PKT5_S2_PS4_PKS3_PKS2_21rocsparse_index_base_
	.p2align	8
	.type	_ZN9rocsparseL23sddmm_csx_sample_kernelILi512ELi4EL20rocsparse_direction_1EDF16_iiDF16_EEvT4_S2_T3_PKT5_S2_PS4_PKS3_PKS2_21rocsparse_index_base_,@function
_ZN9rocsparseL23sddmm_csx_sample_kernelILi512ELi4EL20rocsparse_direction_1EDF16_iiDF16_EEvT4_S2_T3_PKT5_S2_PS4_PKS3_PKS2_21rocsparse_index_base_: ; @_ZN9rocsparseL23sddmm_csx_sample_kernelILi512ELi4EL20rocsparse_direction_1EDF16_iiDF16_EEvT4_S2_T3_PKT5_S2_PS4_PKS3_PKS2_21rocsparse_index_base_
; %bb.0:
	s_load_dword s3, s[0:1], 0x4
	v_lshrrev_b32_e32 v1, 2, v0
	v_lshl_or_b32 v2, s2, 7, v1
	s_waitcnt lgkmcnt(0)
	v_cmp_gt_u32_e32 vcc, s3, v2
	s_and_saveexec_b64 s[2:3], vcc
	s_cbranch_execz .LBB8_9
; %bb.1:
	s_load_dwordx2 s[2:3], s[0:1], 0x28
	s_load_dword s8, s[0:1], 0x38
	v_mov_b32_e32 v3, 0
	v_and_b32_e32 v1, 3, v0
	s_waitcnt lgkmcnt(0)
	v_lshl_add_u64 v[4:5], v[2:3], 2, s[2:3]
	global_load_dwordx2 v[4:5], v[4:5], off
	v_subrev_u32_e32 v0, s8, v1
	s_waitcnt vmcnt(0)
	v_add_u32_e32 v0, v0, v4
	v_subrev_u32_e32 v8, s8, v5
	v_cmp_lt_i32_e32 vcc, v0, v8
	s_and_b64 exec, exec, vcc
	s_cbranch_execz .LBB8_9
; %bb.2:
	v_add_u32_e32 v3, v4, v1
	v_subrev_u32_e32 v3, s8, v3
	s_load_dwordx2 s[4:5], s[0:1], 0x30
	s_load_dword s9, s[0:1], 0x18
	s_load_dwordx2 s[6:7], s[0:1], 0x20
	s_load_dwordx2 s[2:3], s[0:1], 0x10
	v_add_u32_e32 v3, 4, v3
	v_max_i32_e32 v3, v3, v8
	v_not_b32_e32 v4, v4
	v_add3_u32 v3, s8, v3, v4
	s_waitcnt lgkmcnt(0)
	v_mul_lo_u32 v2, s9, v2
	v_sub_u32_e32 v1, v3, v1
	v_subrev_u32_e32 v2, s8, v2
	v_cmp_lt_u32_e32 vcc, 3, v1
	s_mov_b64 s[8:9], -1
	s_and_saveexec_b64 s[0:1], vcc
	s_cbranch_execz .LBB8_6
; %bb.3:
	v_lshrrev_b32_e32 v1, 2, v1
	v_add_u32_e32 v6, 1, v1
	v_and_b32_e32 v7, 0x7ffffffe, v6
	v_add_u32_e32 v1, 4, v0
	v_mov_b32_e32 v3, v2
	s_mov_b64 s[8:9], 0
	v_mov_b32_e32 v9, v7
	v_mov_b64_e32 v[4:5], v[0:1]
.LBB8_4:                                ; =>This Inner Loop Header: Depth=1
	v_ashrrev_i32_e32 v13, 31, v4
	v_mov_b32_e32 v12, v4
	v_ashrrev_i32_e32 v11, 31, v5
	v_mov_b32_e32 v10, v5
	v_lshl_add_u64 v[14:15], v[12:13], 2, s[4:5]
	v_lshl_add_u64 v[16:17], v[10:11], 2, s[4:5]
	global_load_dword v1, v[14:15], off
	global_load_dword v18, v[16:17], off
	v_add_u32_e32 v9, -2, v9
	v_cmp_eq_u32_e32 vcc, 0, v9
	v_add_u32_e32 v5, 8, v5
	v_add_u32_e32 v4, 8, v4
	v_lshl_add_u64 v[12:13], v[12:13], 1, s[6:7]
	s_or_b64 s[8:9], vcc, s[8:9]
	v_lshl_add_u64 v[10:11], v[10:11], 1, s[6:7]
	s_waitcnt vmcnt(1)
	v_add_u32_e32 v14, v2, v1
	s_waitcnt vmcnt(0)
	v_add_u32_e32 v16, v3, v18
	v_ashrrev_i32_e32 v15, 31, v14
	v_ashrrev_i32_e32 v17, 31, v16
	v_lshl_add_u64 v[14:15], v[14:15], 1, s[2:3]
	v_lshl_add_u64 v[16:17], v[16:17], 1, s[2:3]
	global_load_ushort v1, v[14:15], off
	global_load_ushort v18, v[16:17], off
	s_waitcnt vmcnt(1)
	global_store_short v[12:13], v1, off
	s_waitcnt vmcnt(1)
	global_store_short v[10:11], v18, off
	s_andn2_b64 exec, exec, s[8:9]
	s_cbranch_execnz .LBB8_4
; %bb.5:
	s_or_b64 exec, exec, s[8:9]
	v_cmp_ne_u32_e32 vcc, v6, v7
	v_lshl_add_u32 v0, v7, 2, v0
	s_orn2_b64 s[8:9], vcc, exec
.LBB8_6:
	s_or_b64 exec, exec, s[0:1]
	s_and_b64 exec, exec, s[8:9]
	s_cbranch_execz .LBB8_9
; %bb.7:
	v_ashrrev_i32_e32 v1, 31, v0
	v_lshl_add_u64 v[4:5], v[0:1], 2, s[4:5]
	v_lshl_add_u64 v[6:7], v[0:1], 1, s[6:7]
	s_mov_b64 s[0:1], 0
.LBB8_8:                                ; =>This Inner Loop Header: Depth=1
	global_load_dword v1, v[4:5], off
	v_add_u32_e32 v0, 4, v0
	v_cmp_ge_i32_e32 vcc, v0, v8
	v_lshl_add_u64 v[4:5], v[4:5], 0, 16
	s_or_b64 s[0:1], vcc, s[0:1]
	s_waitcnt vmcnt(0)
	v_add_u32_e32 v10, v2, v1
	v_ashrrev_i32_e32 v11, 31, v10
	v_lshl_add_u64 v[10:11], v[10:11], 1, s[2:3]
	global_load_ushort v1, v[10:11], off
	s_waitcnt vmcnt(0)
	global_store_short v[6:7], v1, off
	v_lshl_add_u64 v[6:7], v[6:7], 0, 8
	s_andn2_b64 exec, exec, s[0:1]
	s_cbranch_execnz .LBB8_8
.LBB8_9:
	s_endpgm
	.section	.rodata,"a",@progbits
	.p2align	6, 0x0
	.amdhsa_kernel _ZN9rocsparseL23sddmm_csx_sample_kernelILi512ELi4EL20rocsparse_direction_1EDF16_iiDF16_EEvT4_S2_T3_PKT5_S2_PS4_PKS3_PKS2_21rocsparse_index_base_
		.amdhsa_group_segment_fixed_size 0
		.amdhsa_private_segment_fixed_size 0
		.amdhsa_kernarg_size 60
		.amdhsa_user_sgpr_count 2
		.amdhsa_user_sgpr_dispatch_ptr 0
		.amdhsa_user_sgpr_queue_ptr 0
		.amdhsa_user_sgpr_kernarg_segment_ptr 1
		.amdhsa_user_sgpr_dispatch_id 0
		.amdhsa_user_sgpr_kernarg_preload_length 0
		.amdhsa_user_sgpr_kernarg_preload_offset 0
		.amdhsa_user_sgpr_private_segment_size 0
		.amdhsa_uses_dynamic_stack 0
		.amdhsa_enable_private_segment 0
		.amdhsa_system_sgpr_workgroup_id_x 1
		.amdhsa_system_sgpr_workgroup_id_y 0
		.amdhsa_system_sgpr_workgroup_id_z 0
		.amdhsa_system_sgpr_workgroup_info 0
		.amdhsa_system_vgpr_workitem_id 0
		.amdhsa_next_free_vgpr 19
		.amdhsa_next_free_sgpr 10
		.amdhsa_accum_offset 20
		.amdhsa_reserve_vcc 1
		.amdhsa_float_round_mode_32 0
		.amdhsa_float_round_mode_16_64 0
		.amdhsa_float_denorm_mode_32 3
		.amdhsa_float_denorm_mode_16_64 3
		.amdhsa_dx10_clamp 1
		.amdhsa_ieee_mode 1
		.amdhsa_fp16_overflow 0
		.amdhsa_tg_split 0
		.amdhsa_exception_fp_ieee_invalid_op 0
		.amdhsa_exception_fp_denorm_src 0
		.amdhsa_exception_fp_ieee_div_zero 0
		.amdhsa_exception_fp_ieee_overflow 0
		.amdhsa_exception_fp_ieee_underflow 0
		.amdhsa_exception_fp_ieee_inexact 0
		.amdhsa_exception_int_div_zero 0
	.end_amdhsa_kernel
	.section	.text._ZN9rocsparseL23sddmm_csx_sample_kernelILi512ELi4EL20rocsparse_direction_1EDF16_iiDF16_EEvT4_S2_T3_PKT5_S2_PS4_PKS3_PKS2_21rocsparse_index_base_,"axG",@progbits,_ZN9rocsparseL23sddmm_csx_sample_kernelILi512ELi4EL20rocsparse_direction_1EDF16_iiDF16_EEvT4_S2_T3_PKT5_S2_PS4_PKS3_PKS2_21rocsparse_index_base_,comdat
.Lfunc_end8:
	.size	_ZN9rocsparseL23sddmm_csx_sample_kernelILi512ELi4EL20rocsparse_direction_1EDF16_iiDF16_EEvT4_S2_T3_PKT5_S2_PS4_PKS3_PKS2_21rocsparse_index_base_, .Lfunc_end8-_ZN9rocsparseL23sddmm_csx_sample_kernelILi512ELi4EL20rocsparse_direction_1EDF16_iiDF16_EEvT4_S2_T3_PKT5_S2_PS4_PKS3_PKS2_21rocsparse_index_base_
                                        ; -- End function
	.set _ZN9rocsparseL23sddmm_csx_sample_kernelILi512ELi4EL20rocsparse_direction_1EDF16_iiDF16_EEvT4_S2_T3_PKT5_S2_PS4_PKS3_PKS2_21rocsparse_index_base_.num_vgpr, 19
	.set _ZN9rocsparseL23sddmm_csx_sample_kernelILi512ELi4EL20rocsparse_direction_1EDF16_iiDF16_EEvT4_S2_T3_PKT5_S2_PS4_PKS3_PKS2_21rocsparse_index_base_.num_agpr, 0
	.set _ZN9rocsparseL23sddmm_csx_sample_kernelILi512ELi4EL20rocsparse_direction_1EDF16_iiDF16_EEvT4_S2_T3_PKT5_S2_PS4_PKS3_PKS2_21rocsparse_index_base_.numbered_sgpr, 10
	.set _ZN9rocsparseL23sddmm_csx_sample_kernelILi512ELi4EL20rocsparse_direction_1EDF16_iiDF16_EEvT4_S2_T3_PKT5_S2_PS4_PKS3_PKS2_21rocsparse_index_base_.num_named_barrier, 0
	.set _ZN9rocsparseL23sddmm_csx_sample_kernelILi512ELi4EL20rocsparse_direction_1EDF16_iiDF16_EEvT4_S2_T3_PKT5_S2_PS4_PKS3_PKS2_21rocsparse_index_base_.private_seg_size, 0
	.set _ZN9rocsparseL23sddmm_csx_sample_kernelILi512ELi4EL20rocsparse_direction_1EDF16_iiDF16_EEvT4_S2_T3_PKT5_S2_PS4_PKS3_PKS2_21rocsparse_index_base_.uses_vcc, 1
	.set _ZN9rocsparseL23sddmm_csx_sample_kernelILi512ELi4EL20rocsparse_direction_1EDF16_iiDF16_EEvT4_S2_T3_PKT5_S2_PS4_PKS3_PKS2_21rocsparse_index_base_.uses_flat_scratch, 0
	.set _ZN9rocsparseL23sddmm_csx_sample_kernelILi512ELi4EL20rocsparse_direction_1EDF16_iiDF16_EEvT4_S2_T3_PKT5_S2_PS4_PKS3_PKS2_21rocsparse_index_base_.has_dyn_sized_stack, 0
	.set _ZN9rocsparseL23sddmm_csx_sample_kernelILi512ELi4EL20rocsparse_direction_1EDF16_iiDF16_EEvT4_S2_T3_PKT5_S2_PS4_PKS3_PKS2_21rocsparse_index_base_.has_recursion, 0
	.set _ZN9rocsparseL23sddmm_csx_sample_kernelILi512ELi4EL20rocsparse_direction_1EDF16_iiDF16_EEvT4_S2_T3_PKT5_S2_PS4_PKS3_PKS2_21rocsparse_index_base_.has_indirect_call, 0
	.section	.AMDGPU.csdata,"",@progbits
; Kernel info:
; codeLenInByte = 556
; TotalNumSgprs: 16
; NumVgprs: 19
; NumAgprs: 0
; TotalNumVgprs: 19
; ScratchSize: 0
; MemoryBound: 0
; FloatMode: 240
; IeeeMode: 1
; LDSByteSize: 0 bytes/workgroup (compile time only)
; SGPRBlocks: 1
; VGPRBlocks: 2
; NumSGPRsForWavesPerEU: 16
; NumVGPRsForWavesPerEU: 19
; AccumOffset: 20
; Occupancy: 8
; WaveLimiterHint : 1
; COMPUTE_PGM_RSRC2:SCRATCH_EN: 0
; COMPUTE_PGM_RSRC2:USER_SGPR: 2
; COMPUTE_PGM_RSRC2:TRAP_HANDLER: 0
; COMPUTE_PGM_RSRC2:TGID_X_EN: 1
; COMPUTE_PGM_RSRC2:TGID_Y_EN: 0
; COMPUTE_PGM_RSRC2:TGID_Z_EN: 0
; COMPUTE_PGM_RSRC2:TIDIG_COMP_CNT: 0
; COMPUTE_PGM_RSRC3_GFX90A:ACCUM_OFFSET: 4
; COMPUTE_PGM_RSRC3_GFX90A:TG_SPLIT: 0
	.section	.text._ZN9rocsparseL23sddmm_csx_sample_kernelILi512ELi2EL20rocsparse_direction_1EDF16_iiDF16_EEvT4_S2_T3_PKT5_S2_PS4_PKS3_PKS2_21rocsparse_index_base_,"axG",@progbits,_ZN9rocsparseL23sddmm_csx_sample_kernelILi512ELi2EL20rocsparse_direction_1EDF16_iiDF16_EEvT4_S2_T3_PKT5_S2_PS4_PKS3_PKS2_21rocsparse_index_base_,comdat
	.globl	_ZN9rocsparseL23sddmm_csx_sample_kernelILi512ELi2EL20rocsparse_direction_1EDF16_iiDF16_EEvT4_S2_T3_PKT5_S2_PS4_PKS3_PKS2_21rocsparse_index_base_ ; -- Begin function _ZN9rocsparseL23sddmm_csx_sample_kernelILi512ELi2EL20rocsparse_direction_1EDF16_iiDF16_EEvT4_S2_T3_PKT5_S2_PS4_PKS3_PKS2_21rocsparse_index_base_
	.p2align	8
	.type	_ZN9rocsparseL23sddmm_csx_sample_kernelILi512ELi2EL20rocsparse_direction_1EDF16_iiDF16_EEvT4_S2_T3_PKT5_S2_PS4_PKS3_PKS2_21rocsparse_index_base_,@function
_ZN9rocsparseL23sddmm_csx_sample_kernelILi512ELi2EL20rocsparse_direction_1EDF16_iiDF16_EEvT4_S2_T3_PKT5_S2_PS4_PKS3_PKS2_21rocsparse_index_base_: ; @_ZN9rocsparseL23sddmm_csx_sample_kernelILi512ELi2EL20rocsparse_direction_1EDF16_iiDF16_EEvT4_S2_T3_PKT5_S2_PS4_PKS3_PKS2_21rocsparse_index_base_
; %bb.0:
	s_load_dword s3, s[0:1], 0x4
	v_lshrrev_b32_e32 v1, 1, v0
	v_lshl_or_b32 v2, s2, 8, v1
	s_waitcnt lgkmcnt(0)
	v_cmp_gt_u32_e32 vcc, s3, v2
	s_and_saveexec_b64 s[2:3], vcc
	s_cbranch_execz .LBB9_9
; %bb.1:
	s_load_dwordx2 s[2:3], s[0:1], 0x28
	s_load_dword s8, s[0:1], 0x38
	v_mov_b32_e32 v3, 0
	v_and_b32_e32 v1, 1, v0
	s_waitcnt lgkmcnt(0)
	v_lshl_add_u64 v[4:5], v[2:3], 2, s[2:3]
	global_load_dwordx2 v[4:5], v[4:5], off
	v_subrev_u32_e32 v0, s8, v1
	s_waitcnt vmcnt(0)
	v_add_u32_e32 v0, v0, v4
	v_subrev_u32_e32 v8, s8, v5
	v_cmp_lt_i32_e32 vcc, v0, v8
	s_and_b64 exec, exec, vcc
	s_cbranch_execz .LBB9_9
; %bb.2:
	v_add_u32_e32 v3, v4, v1
	v_subrev_u32_e32 v3, s8, v3
	s_load_dwordx2 s[4:5], s[0:1], 0x30
	s_load_dword s9, s[0:1], 0x18
	s_load_dwordx2 s[6:7], s[0:1], 0x20
	s_load_dwordx2 s[2:3], s[0:1], 0x10
	v_add_u32_e32 v3, 2, v3
	v_max_i32_e32 v3, v3, v8
	v_not_b32_e32 v4, v4
	v_add3_u32 v3, s8, v3, v4
	s_waitcnt lgkmcnt(0)
	v_mul_lo_u32 v2, s9, v2
	v_sub_u32_e32 v1, v3, v1
	v_subrev_u32_e32 v2, s8, v2
	v_cmp_lt_u32_e32 vcc, 1, v1
	s_mov_b64 s[8:9], -1
	s_and_saveexec_b64 s[0:1], vcc
	s_cbranch_execz .LBB9_6
; %bb.3:
	v_lshrrev_b32_e32 v1, 1, v1
	v_add_u32_e32 v6, 1, v1
	v_and_b32_e32 v7, -2, v6
	v_add_u32_e32 v1, 2, v0
	v_mov_b32_e32 v3, v2
	s_mov_b64 s[8:9], 0
	v_mov_b32_e32 v9, v7
	v_mov_b64_e32 v[4:5], v[0:1]
.LBB9_4:                                ; =>This Inner Loop Header: Depth=1
	v_ashrrev_i32_e32 v13, 31, v4
	v_mov_b32_e32 v12, v4
	v_ashrrev_i32_e32 v11, 31, v5
	v_mov_b32_e32 v10, v5
	v_lshl_add_u64 v[14:15], v[12:13], 2, s[4:5]
	v_lshl_add_u64 v[16:17], v[10:11], 2, s[4:5]
	global_load_dword v1, v[14:15], off
	global_load_dword v18, v[16:17], off
	v_add_u32_e32 v9, -2, v9
	v_cmp_eq_u32_e32 vcc, 0, v9
	v_add_u32_e32 v5, 4, v5
	v_add_u32_e32 v4, 4, v4
	v_lshl_add_u64 v[12:13], v[12:13], 1, s[6:7]
	s_or_b64 s[8:9], vcc, s[8:9]
	v_lshl_add_u64 v[10:11], v[10:11], 1, s[6:7]
	s_waitcnt vmcnt(1)
	v_add_u32_e32 v14, v2, v1
	s_waitcnt vmcnt(0)
	v_add_u32_e32 v16, v3, v18
	v_ashrrev_i32_e32 v15, 31, v14
	v_ashrrev_i32_e32 v17, 31, v16
	v_lshl_add_u64 v[14:15], v[14:15], 1, s[2:3]
	v_lshl_add_u64 v[16:17], v[16:17], 1, s[2:3]
	global_load_ushort v1, v[14:15], off
	global_load_ushort v18, v[16:17], off
	s_waitcnt vmcnt(1)
	global_store_short v[12:13], v1, off
	s_waitcnt vmcnt(1)
	global_store_short v[10:11], v18, off
	s_andn2_b64 exec, exec, s[8:9]
	s_cbranch_execnz .LBB9_4
; %bb.5:
	s_or_b64 exec, exec, s[8:9]
	v_cmp_ne_u32_e32 vcc, v6, v7
	v_lshl_add_u32 v0, v7, 1, v0
	s_orn2_b64 s[8:9], vcc, exec
.LBB9_6:
	s_or_b64 exec, exec, s[0:1]
	s_and_b64 exec, exec, s[8:9]
	s_cbranch_execz .LBB9_9
; %bb.7:
	v_ashrrev_i32_e32 v1, 31, v0
	v_lshl_add_u64 v[4:5], v[0:1], 2, s[4:5]
	v_lshl_add_u64 v[6:7], v[0:1], 1, s[6:7]
	s_mov_b64 s[0:1], 0
.LBB9_8:                                ; =>This Inner Loop Header: Depth=1
	global_load_dword v1, v[4:5], off
	v_add_u32_e32 v0, 2, v0
	v_cmp_ge_i32_e32 vcc, v0, v8
	v_lshl_add_u64 v[4:5], v[4:5], 0, 8
	s_or_b64 s[0:1], vcc, s[0:1]
	s_waitcnt vmcnt(0)
	v_add_u32_e32 v10, v2, v1
	v_ashrrev_i32_e32 v11, 31, v10
	v_lshl_add_u64 v[10:11], v[10:11], 1, s[2:3]
	global_load_ushort v1, v[10:11], off
	s_waitcnt vmcnt(0)
	global_store_short v[6:7], v1, off
	v_lshl_add_u64 v[6:7], v[6:7], 0, 4
	s_andn2_b64 exec, exec, s[0:1]
	s_cbranch_execnz .LBB9_8
.LBB9_9:
	s_endpgm
	.section	.rodata,"a",@progbits
	.p2align	6, 0x0
	.amdhsa_kernel _ZN9rocsparseL23sddmm_csx_sample_kernelILi512ELi2EL20rocsparse_direction_1EDF16_iiDF16_EEvT4_S2_T3_PKT5_S2_PS4_PKS3_PKS2_21rocsparse_index_base_
		.amdhsa_group_segment_fixed_size 0
		.amdhsa_private_segment_fixed_size 0
		.amdhsa_kernarg_size 60
		.amdhsa_user_sgpr_count 2
		.amdhsa_user_sgpr_dispatch_ptr 0
		.amdhsa_user_sgpr_queue_ptr 0
		.amdhsa_user_sgpr_kernarg_segment_ptr 1
		.amdhsa_user_sgpr_dispatch_id 0
		.amdhsa_user_sgpr_kernarg_preload_length 0
		.amdhsa_user_sgpr_kernarg_preload_offset 0
		.amdhsa_user_sgpr_private_segment_size 0
		.amdhsa_uses_dynamic_stack 0
		.amdhsa_enable_private_segment 0
		.amdhsa_system_sgpr_workgroup_id_x 1
		.amdhsa_system_sgpr_workgroup_id_y 0
		.amdhsa_system_sgpr_workgroup_id_z 0
		.amdhsa_system_sgpr_workgroup_info 0
		.amdhsa_system_vgpr_workitem_id 0
		.amdhsa_next_free_vgpr 19
		.amdhsa_next_free_sgpr 10
		.amdhsa_accum_offset 20
		.amdhsa_reserve_vcc 1
		.amdhsa_float_round_mode_32 0
		.amdhsa_float_round_mode_16_64 0
		.amdhsa_float_denorm_mode_32 3
		.amdhsa_float_denorm_mode_16_64 3
		.amdhsa_dx10_clamp 1
		.amdhsa_ieee_mode 1
		.amdhsa_fp16_overflow 0
		.amdhsa_tg_split 0
		.amdhsa_exception_fp_ieee_invalid_op 0
		.amdhsa_exception_fp_denorm_src 0
		.amdhsa_exception_fp_ieee_div_zero 0
		.amdhsa_exception_fp_ieee_overflow 0
		.amdhsa_exception_fp_ieee_underflow 0
		.amdhsa_exception_fp_ieee_inexact 0
		.amdhsa_exception_int_div_zero 0
	.end_amdhsa_kernel
	.section	.text._ZN9rocsparseL23sddmm_csx_sample_kernelILi512ELi2EL20rocsparse_direction_1EDF16_iiDF16_EEvT4_S2_T3_PKT5_S2_PS4_PKS3_PKS2_21rocsparse_index_base_,"axG",@progbits,_ZN9rocsparseL23sddmm_csx_sample_kernelILi512ELi2EL20rocsparse_direction_1EDF16_iiDF16_EEvT4_S2_T3_PKT5_S2_PS4_PKS3_PKS2_21rocsparse_index_base_,comdat
.Lfunc_end9:
	.size	_ZN9rocsparseL23sddmm_csx_sample_kernelILi512ELi2EL20rocsparse_direction_1EDF16_iiDF16_EEvT4_S2_T3_PKT5_S2_PS4_PKS3_PKS2_21rocsparse_index_base_, .Lfunc_end9-_ZN9rocsparseL23sddmm_csx_sample_kernelILi512ELi2EL20rocsparse_direction_1EDF16_iiDF16_EEvT4_S2_T3_PKT5_S2_PS4_PKS3_PKS2_21rocsparse_index_base_
                                        ; -- End function
	.set _ZN9rocsparseL23sddmm_csx_sample_kernelILi512ELi2EL20rocsparse_direction_1EDF16_iiDF16_EEvT4_S2_T3_PKT5_S2_PS4_PKS3_PKS2_21rocsparse_index_base_.num_vgpr, 19
	.set _ZN9rocsparseL23sddmm_csx_sample_kernelILi512ELi2EL20rocsparse_direction_1EDF16_iiDF16_EEvT4_S2_T3_PKT5_S2_PS4_PKS3_PKS2_21rocsparse_index_base_.num_agpr, 0
	.set _ZN9rocsparseL23sddmm_csx_sample_kernelILi512ELi2EL20rocsparse_direction_1EDF16_iiDF16_EEvT4_S2_T3_PKT5_S2_PS4_PKS3_PKS2_21rocsparse_index_base_.numbered_sgpr, 10
	.set _ZN9rocsparseL23sddmm_csx_sample_kernelILi512ELi2EL20rocsparse_direction_1EDF16_iiDF16_EEvT4_S2_T3_PKT5_S2_PS4_PKS3_PKS2_21rocsparse_index_base_.num_named_barrier, 0
	.set _ZN9rocsparseL23sddmm_csx_sample_kernelILi512ELi2EL20rocsparse_direction_1EDF16_iiDF16_EEvT4_S2_T3_PKT5_S2_PS4_PKS3_PKS2_21rocsparse_index_base_.private_seg_size, 0
	.set _ZN9rocsparseL23sddmm_csx_sample_kernelILi512ELi2EL20rocsparse_direction_1EDF16_iiDF16_EEvT4_S2_T3_PKT5_S2_PS4_PKS3_PKS2_21rocsparse_index_base_.uses_vcc, 1
	.set _ZN9rocsparseL23sddmm_csx_sample_kernelILi512ELi2EL20rocsparse_direction_1EDF16_iiDF16_EEvT4_S2_T3_PKT5_S2_PS4_PKS3_PKS2_21rocsparse_index_base_.uses_flat_scratch, 0
	.set _ZN9rocsparseL23sddmm_csx_sample_kernelILi512ELi2EL20rocsparse_direction_1EDF16_iiDF16_EEvT4_S2_T3_PKT5_S2_PS4_PKS3_PKS2_21rocsparse_index_base_.has_dyn_sized_stack, 0
	.set _ZN9rocsparseL23sddmm_csx_sample_kernelILi512ELi2EL20rocsparse_direction_1EDF16_iiDF16_EEvT4_S2_T3_PKT5_S2_PS4_PKS3_PKS2_21rocsparse_index_base_.has_recursion, 0
	.set _ZN9rocsparseL23sddmm_csx_sample_kernelILi512ELi2EL20rocsparse_direction_1EDF16_iiDF16_EEvT4_S2_T3_PKT5_S2_PS4_PKS3_PKS2_21rocsparse_index_base_.has_indirect_call, 0
	.section	.AMDGPU.csdata,"",@progbits
; Kernel info:
; codeLenInByte = 552
; TotalNumSgprs: 16
; NumVgprs: 19
; NumAgprs: 0
; TotalNumVgprs: 19
; ScratchSize: 0
; MemoryBound: 0
; FloatMode: 240
; IeeeMode: 1
; LDSByteSize: 0 bytes/workgroup (compile time only)
; SGPRBlocks: 1
; VGPRBlocks: 2
; NumSGPRsForWavesPerEU: 16
; NumVGPRsForWavesPerEU: 19
; AccumOffset: 20
; Occupancy: 8
; WaveLimiterHint : 1
; COMPUTE_PGM_RSRC2:SCRATCH_EN: 0
; COMPUTE_PGM_RSRC2:USER_SGPR: 2
; COMPUTE_PGM_RSRC2:TRAP_HANDLER: 0
; COMPUTE_PGM_RSRC2:TGID_X_EN: 1
; COMPUTE_PGM_RSRC2:TGID_Y_EN: 0
; COMPUTE_PGM_RSRC2:TGID_Z_EN: 0
; COMPUTE_PGM_RSRC2:TIDIG_COMP_CNT: 0
; COMPUTE_PGM_RSRC3_GFX90A:ACCUM_OFFSET: 4
; COMPUTE_PGM_RSRC3_GFX90A:TG_SPLIT: 0
	.section	.text._ZN9rocsparseL23sddmm_csx_sample_kernelILi512ELi1EL20rocsparse_direction_1EDF16_iiDF16_EEvT4_S2_T3_PKT5_S2_PS4_PKS3_PKS2_21rocsparse_index_base_,"axG",@progbits,_ZN9rocsparseL23sddmm_csx_sample_kernelILi512ELi1EL20rocsparse_direction_1EDF16_iiDF16_EEvT4_S2_T3_PKT5_S2_PS4_PKS3_PKS2_21rocsparse_index_base_,comdat
	.globl	_ZN9rocsparseL23sddmm_csx_sample_kernelILi512ELi1EL20rocsparse_direction_1EDF16_iiDF16_EEvT4_S2_T3_PKT5_S2_PS4_PKS3_PKS2_21rocsparse_index_base_ ; -- Begin function _ZN9rocsparseL23sddmm_csx_sample_kernelILi512ELi1EL20rocsparse_direction_1EDF16_iiDF16_EEvT4_S2_T3_PKT5_S2_PS4_PKS3_PKS2_21rocsparse_index_base_
	.p2align	8
	.type	_ZN9rocsparseL23sddmm_csx_sample_kernelILi512ELi1EL20rocsparse_direction_1EDF16_iiDF16_EEvT4_S2_T3_PKT5_S2_PS4_PKS3_PKS2_21rocsparse_index_base_,@function
_ZN9rocsparseL23sddmm_csx_sample_kernelILi512ELi1EL20rocsparse_direction_1EDF16_iiDF16_EEvT4_S2_T3_PKT5_S2_PS4_PKS3_PKS2_21rocsparse_index_base_: ; @_ZN9rocsparseL23sddmm_csx_sample_kernelILi512ELi1EL20rocsparse_direction_1EDF16_iiDF16_EEvT4_S2_T3_PKT5_S2_PS4_PKS3_PKS2_21rocsparse_index_base_
; %bb.0:
	s_load_dword s3, s[0:1], 0x4
	v_lshl_or_b32 v2, s2, 9, v0
	s_waitcnt lgkmcnt(0)
	v_cmp_gt_u32_e32 vcc, s3, v2
	s_and_saveexec_b64 s[2:3], vcc
	s_cbranch_execz .LBB10_9
; %bb.1:
	s_load_dwordx2 s[2:3], s[0:1], 0x28
	v_mov_b32_e32 v3, 0
	s_waitcnt lgkmcnt(0)
	v_lshl_add_u64 v[0:1], v[2:3], 2, s[2:3]
	global_load_dwordx2 v[4:5], v[0:1], off
	s_waitcnt vmcnt(0)
	v_cmp_lt_i32_e32 vcc, v4, v5
	s_and_b64 exec, exec, vcc
	s_cbranch_execz .LBB10_9
; %bb.2:
	s_load_dword s8, s[0:1], 0x38
	s_load_dwordx2 s[4:5], s[0:1], 0x30
	s_load_dword s9, s[0:1], 0x18
	s_load_dwordx2 s[6:7], s[0:1], 0x20
	s_load_dwordx2 s[2:3], s[0:1], 0x10
	s_waitcnt lgkmcnt(0)
	v_subrev_u32_e32 v0, s8, v4
	v_subrev_u32_e32 v3, s8, v5
	v_mul_lo_u32 v1, s9, v2
	v_subrev_u32_e32 v2, s8, v1
	v_add_u32_e32 v1, 1, v0
	v_max_i32_e32 v1, v1, v3
	v_add_u32_e32 v1, s8, v1
	v_sub_u32_e32 v6, v1, v4
	v_cmp_lt_u32_e32 vcc, 1, v6
	s_mov_b64 s[8:9], -1
	s_and_saveexec_b64 s[0:1], vcc
	s_cbranch_execz .LBB10_6
; %bb.3:
	v_and_b32_e32 v7, -2, v6
	v_mov_b32_e32 v1, v2
	s_mov_b64 s[8:9], 0
	s_mov_b32 s10, 0x5040100
	v_mov_b32_e32 v4, v0
	v_mov_b32_e32 v8, v7
.LBB10_4:                               ; =>This Inner Loop Header: Depth=1
	v_ashrrev_i32_e32 v5, 31, v4
	v_lshl_add_u64 v[10:11], v[4:5], 2, s[4:5]
	global_load_dwordx2 v[10:11], v[10:11], off
	v_add_u32_e32 v8, -2, v8
	v_cmp_eq_u32_e32 vcc, 0, v8
	s_or_b64 s[8:9], vcc, s[8:9]
	s_waitcnt vmcnt(0)
	v_add_u32_e32 v10, v2, v10
	v_add_u32_e32 v12, v1, v11
	v_ashrrev_i32_e32 v11, 31, v10
	v_ashrrev_i32_e32 v13, 31, v12
	v_lshl_add_u64 v[10:11], v[10:11], 1, s[2:3]
	v_lshl_add_u64 v[12:13], v[12:13], 1, s[2:3]
	global_load_ushort v9, v[10:11], off
	global_load_ushort v14, v[12:13], off
	v_lshl_add_u64 v[10:11], v[4:5], 1, s[6:7]
	v_add_u32_e32 v4, 2, v4
	s_waitcnt vmcnt(0)
	v_perm_b32 v5, v14, v9, s10
	global_store_dword v[10:11], v5, off
	s_andn2_b64 exec, exec, s[8:9]
	s_cbranch_execnz .LBB10_4
; %bb.5:
	s_or_b64 exec, exec, s[8:9]
	v_cmp_ne_u32_e32 vcc, v6, v7
	v_add_u32_e32 v0, v0, v7
	s_orn2_b64 s[8:9], vcc, exec
.LBB10_6:
	s_or_b64 exec, exec, s[0:1]
	s_and_b64 exec, exec, s[8:9]
	s_cbranch_execz .LBB10_9
; %bb.7:
	v_ashrrev_i32_e32 v1, 31, v0
	v_lshl_add_u64 v[4:5], v[0:1], 2, s[4:5]
	v_lshl_add_u64 v[6:7], v[0:1], 1, s[6:7]
	s_mov_b64 s[0:1], 0
.LBB10_8:                               ; =>This Inner Loop Header: Depth=1
	global_load_dword v1, v[4:5], off
	v_add_u32_e32 v0, 1, v0
	v_cmp_ge_i32_e32 vcc, v0, v3
	v_lshl_add_u64 v[4:5], v[4:5], 0, 4
	s_or_b64 s[0:1], vcc, s[0:1]
	s_waitcnt vmcnt(0)
	v_add_u32_e32 v8, v2, v1
	v_ashrrev_i32_e32 v9, 31, v8
	v_lshl_add_u64 v[8:9], v[8:9], 1, s[2:3]
	global_load_ushort v1, v[8:9], off
	s_waitcnt vmcnt(0)
	global_store_short v[6:7], v1, off
	v_lshl_add_u64 v[6:7], v[6:7], 0, 2
	s_andn2_b64 exec, exec, s[0:1]
	s_cbranch_execnz .LBB10_8
.LBB10_9:
	s_endpgm
	.section	.rodata,"a",@progbits
	.p2align	6, 0x0
	.amdhsa_kernel _ZN9rocsparseL23sddmm_csx_sample_kernelILi512ELi1EL20rocsparse_direction_1EDF16_iiDF16_EEvT4_S2_T3_PKT5_S2_PS4_PKS3_PKS2_21rocsparse_index_base_
		.amdhsa_group_segment_fixed_size 0
		.amdhsa_private_segment_fixed_size 0
		.amdhsa_kernarg_size 60
		.amdhsa_user_sgpr_count 2
		.amdhsa_user_sgpr_dispatch_ptr 0
		.amdhsa_user_sgpr_queue_ptr 0
		.amdhsa_user_sgpr_kernarg_segment_ptr 1
		.amdhsa_user_sgpr_dispatch_id 0
		.amdhsa_user_sgpr_kernarg_preload_length 0
		.amdhsa_user_sgpr_kernarg_preload_offset 0
		.amdhsa_user_sgpr_private_segment_size 0
		.amdhsa_uses_dynamic_stack 0
		.amdhsa_enable_private_segment 0
		.amdhsa_system_sgpr_workgroup_id_x 1
		.amdhsa_system_sgpr_workgroup_id_y 0
		.amdhsa_system_sgpr_workgroup_id_z 0
		.amdhsa_system_sgpr_workgroup_info 0
		.amdhsa_system_vgpr_workitem_id 0
		.amdhsa_next_free_vgpr 15
		.amdhsa_next_free_sgpr 11
		.amdhsa_accum_offset 16
		.amdhsa_reserve_vcc 1
		.amdhsa_float_round_mode_32 0
		.amdhsa_float_round_mode_16_64 0
		.amdhsa_float_denorm_mode_32 3
		.amdhsa_float_denorm_mode_16_64 3
		.amdhsa_dx10_clamp 1
		.amdhsa_ieee_mode 1
		.amdhsa_fp16_overflow 0
		.amdhsa_tg_split 0
		.amdhsa_exception_fp_ieee_invalid_op 0
		.amdhsa_exception_fp_denorm_src 0
		.amdhsa_exception_fp_ieee_div_zero 0
		.amdhsa_exception_fp_ieee_overflow 0
		.amdhsa_exception_fp_ieee_underflow 0
		.amdhsa_exception_fp_ieee_inexact 0
		.amdhsa_exception_int_div_zero 0
	.end_amdhsa_kernel
	.section	.text._ZN9rocsparseL23sddmm_csx_sample_kernelILi512ELi1EL20rocsparse_direction_1EDF16_iiDF16_EEvT4_S2_T3_PKT5_S2_PS4_PKS3_PKS2_21rocsparse_index_base_,"axG",@progbits,_ZN9rocsparseL23sddmm_csx_sample_kernelILi512ELi1EL20rocsparse_direction_1EDF16_iiDF16_EEvT4_S2_T3_PKT5_S2_PS4_PKS3_PKS2_21rocsparse_index_base_,comdat
.Lfunc_end10:
	.size	_ZN9rocsparseL23sddmm_csx_sample_kernelILi512ELi1EL20rocsparse_direction_1EDF16_iiDF16_EEvT4_S2_T3_PKT5_S2_PS4_PKS3_PKS2_21rocsparse_index_base_, .Lfunc_end10-_ZN9rocsparseL23sddmm_csx_sample_kernelILi512ELi1EL20rocsparse_direction_1EDF16_iiDF16_EEvT4_S2_T3_PKT5_S2_PS4_PKS3_PKS2_21rocsparse_index_base_
                                        ; -- End function
	.set _ZN9rocsparseL23sddmm_csx_sample_kernelILi512ELi1EL20rocsparse_direction_1EDF16_iiDF16_EEvT4_S2_T3_PKT5_S2_PS4_PKS3_PKS2_21rocsparse_index_base_.num_vgpr, 15
	.set _ZN9rocsparseL23sddmm_csx_sample_kernelILi512ELi1EL20rocsparse_direction_1EDF16_iiDF16_EEvT4_S2_T3_PKT5_S2_PS4_PKS3_PKS2_21rocsparse_index_base_.num_agpr, 0
	.set _ZN9rocsparseL23sddmm_csx_sample_kernelILi512ELi1EL20rocsparse_direction_1EDF16_iiDF16_EEvT4_S2_T3_PKT5_S2_PS4_PKS3_PKS2_21rocsparse_index_base_.numbered_sgpr, 11
	.set _ZN9rocsparseL23sddmm_csx_sample_kernelILi512ELi1EL20rocsparse_direction_1EDF16_iiDF16_EEvT4_S2_T3_PKT5_S2_PS4_PKS3_PKS2_21rocsparse_index_base_.num_named_barrier, 0
	.set _ZN9rocsparseL23sddmm_csx_sample_kernelILi512ELi1EL20rocsparse_direction_1EDF16_iiDF16_EEvT4_S2_T3_PKT5_S2_PS4_PKS3_PKS2_21rocsparse_index_base_.private_seg_size, 0
	.set _ZN9rocsparseL23sddmm_csx_sample_kernelILi512ELi1EL20rocsparse_direction_1EDF16_iiDF16_EEvT4_S2_T3_PKT5_S2_PS4_PKS3_PKS2_21rocsparse_index_base_.uses_vcc, 1
	.set _ZN9rocsparseL23sddmm_csx_sample_kernelILi512ELi1EL20rocsparse_direction_1EDF16_iiDF16_EEvT4_S2_T3_PKT5_S2_PS4_PKS3_PKS2_21rocsparse_index_base_.uses_flat_scratch, 0
	.set _ZN9rocsparseL23sddmm_csx_sample_kernelILi512ELi1EL20rocsparse_direction_1EDF16_iiDF16_EEvT4_S2_T3_PKT5_S2_PS4_PKS3_PKS2_21rocsparse_index_base_.has_dyn_sized_stack, 0
	.set _ZN9rocsparseL23sddmm_csx_sample_kernelILi512ELi1EL20rocsparse_direction_1EDF16_iiDF16_EEvT4_S2_T3_PKT5_S2_PS4_PKS3_PKS2_21rocsparse_index_base_.has_recursion, 0
	.set _ZN9rocsparseL23sddmm_csx_sample_kernelILi512ELi1EL20rocsparse_direction_1EDF16_iiDF16_EEvT4_S2_T3_PKT5_S2_PS4_PKS3_PKS2_21rocsparse_index_base_.has_indirect_call, 0
	.section	.AMDGPU.csdata,"",@progbits
; Kernel info:
; codeLenInByte = 468
; TotalNumSgprs: 17
; NumVgprs: 15
; NumAgprs: 0
; TotalNumVgprs: 15
; ScratchSize: 0
; MemoryBound: 0
; FloatMode: 240
; IeeeMode: 1
; LDSByteSize: 0 bytes/workgroup (compile time only)
; SGPRBlocks: 2
; VGPRBlocks: 1
; NumSGPRsForWavesPerEU: 17
; NumVGPRsForWavesPerEU: 15
; AccumOffset: 16
; Occupancy: 8
; WaveLimiterHint : 1
; COMPUTE_PGM_RSRC2:SCRATCH_EN: 0
; COMPUTE_PGM_RSRC2:USER_SGPR: 2
; COMPUTE_PGM_RSRC2:TRAP_HANDLER: 0
; COMPUTE_PGM_RSRC2:TGID_X_EN: 1
; COMPUTE_PGM_RSRC2:TGID_Y_EN: 0
; COMPUTE_PGM_RSRC2:TGID_Z_EN: 0
; COMPUTE_PGM_RSRC2:TIDIG_COMP_CNT: 0
; COMPUTE_PGM_RSRC3_GFX90A:ACCUM_OFFSET: 3
; COMPUTE_PGM_RSRC3_GFX90A:TG_SPLIT: 0
	.section	.text._ZN9rocsparseL16sddmm_csx_kernelILi512ELi8EL20rocsparse_direction_0EDF16_iiDF16_DF16_DF16_EEv20rocsparse_operation_S2_16rocsparse_order_S3_T4_S4_S4_T3_NS_24const_host_device_scalarIT2_EEPKT5_lPKT6_lS8_PT7_PKS5_PKS4_21rocsparse_index_base_b,"axG",@progbits,_ZN9rocsparseL16sddmm_csx_kernelILi512ELi8EL20rocsparse_direction_0EDF16_iiDF16_DF16_DF16_EEv20rocsparse_operation_S2_16rocsparse_order_S3_T4_S4_S4_T3_NS_24const_host_device_scalarIT2_EEPKT5_lPKT6_lS8_PT7_PKS5_PKS4_21rocsparse_index_base_b,comdat
	.globl	_ZN9rocsparseL16sddmm_csx_kernelILi512ELi8EL20rocsparse_direction_0EDF16_iiDF16_DF16_DF16_EEv20rocsparse_operation_S2_16rocsparse_order_S3_T4_S4_S4_T3_NS_24const_host_device_scalarIT2_EEPKT5_lPKT6_lS8_PT7_PKS5_PKS4_21rocsparse_index_base_b ; -- Begin function _ZN9rocsparseL16sddmm_csx_kernelILi512ELi8EL20rocsparse_direction_0EDF16_iiDF16_DF16_DF16_EEv20rocsparse_operation_S2_16rocsparse_order_S3_T4_S4_S4_T3_NS_24const_host_device_scalarIT2_EEPKT5_lPKT6_lS8_PT7_PKS5_PKS4_21rocsparse_index_base_b
	.p2align	8
	.type	_ZN9rocsparseL16sddmm_csx_kernelILi512ELi8EL20rocsparse_direction_0EDF16_iiDF16_DF16_DF16_EEv20rocsparse_operation_S2_16rocsparse_order_S3_T4_S4_S4_T3_NS_24const_host_device_scalarIT2_EEPKT5_lPKT6_lS8_PT7_PKS5_PKS4_21rocsparse_index_base_b,@function
_ZN9rocsparseL16sddmm_csx_kernelILi512ELi8EL20rocsparse_direction_0EDF16_iiDF16_DF16_DF16_EEv20rocsparse_operation_S2_16rocsparse_order_S3_T4_S4_S4_T3_NS_24const_host_device_scalarIT2_EEPKT5_lPKT6_lS8_PT7_PKS5_PKS4_21rocsparse_index_base_b: ; @_ZN9rocsparseL16sddmm_csx_kernelILi512ELi8EL20rocsparse_direction_0EDF16_iiDF16_DF16_DF16_EEv20rocsparse_operation_S2_16rocsparse_order_S3_T4_S4_S4_T3_NS_24const_host_device_scalarIT2_EEPKT5_lPKT6_lS8_PT7_PKS5_PKS4_21rocsparse_index_base_b
; %bb.0:
	s_load_dwordx2 s[16:17], s[0:1], 0x68
	s_load_dwordx2 s[6:7], s[0:1], 0x20
	s_load_dwordx4 s[12:15], s[0:1], 0x40
	s_waitcnt lgkmcnt(0)
	s_bitcmp1_b32 s17, 0
	s_cselect_b64 s[8:9], -1, 0
	s_xor_b64 s[4:5], s[8:9], -1
	s_and_b64 vcc, exec, s[8:9]
	v_mov_b32_e32 v10, s6
	s_cbranch_vccnz .LBB11_2
; %bb.1:
	v_mov_b32_e32 v1, 0
	global_load_ushort v10, v1, s[6:7]
.LBB11_2:
	s_andn2_b64 vcc, exec, s[4:5]
	v_mov_b32_e32 v11, s14
	s_cbranch_vccnz .LBB11_4
; %bb.3:
	v_mov_b32_e32 v1, 0
	global_load_ushort v11, v1, s[14:15]
.LBB11_4:
	s_waitcnt vmcnt(0)
	v_cmp_eq_f16_e32 vcc, 0, v10
	v_cmp_eq_f16_e64 s[4:5], 1.0, v11
	s_and_b64 s[4:5], vcc, s[4:5]
	s_and_b64 vcc, exec, s[4:5]
	s_cbranch_vccnz .LBB11_36
; %bb.5:
	s_load_dword s3, s[0:1], 0x10
	v_lshrrev_b32_e32 v1, 3, v0
	v_lshl_or_b32 v4, s2, 6, v1
	s_waitcnt lgkmcnt(0)
	v_cmp_gt_i32_e32 vcc, s3, v4
	s_and_saveexec_b64 s[2:3], vcc
	s_cbranch_execz .LBB11_36
; %bb.6:
	s_load_dwordx4 s[4:7], s[0:1], 0x0
	s_load_dwordx2 s[14:15], s[0:1], 0x58
	s_load_dwordx2 s[2:3], s[0:1], 0x30
	v_ashrrev_i32_e32 v5, 31, v4
	s_waitcnt lgkmcnt(0)
	s_cmp_eq_u32 s6, 1
	s_cselect_b64 s[8:9], -1, 0
	s_cmpk_eq_i32 s4, 0x6f
	s_cselect_b64 s[10:11], -1, 0
	s_cmpk_lg_i32 s4, 0x6f
	s_cselect_b64 s[18:19], -1, 0
	s_cmp_lg_u32 s6, 1
	s_cbranch_scc0 .LBB11_10
; %bb.7:
	s_andn2_b64 vcc, exec, s[10:11]
	v_mov_b64_e32 v[2:3], v[4:5]
	s_cbranch_vccnz .LBB11_9
; %bb.8:
	v_mul_lo_u32 v6, s3, v4
	v_mul_lo_u32 v7, s2, v5
	v_mad_u64_u32 v[2:3], s[20:21], s2, v4, 0
	v_add3_u32 v3, v3, v7, v6
.LBB11_9:
	s_cbranch_execz .LBB11_11
	s_branch .LBB11_13
.LBB11_10:
                                        ; implicit-def: $vgpr2_vgpr3
.LBB11_11:
	s_andn2_b64 vcc, exec, s[18:19]
	v_mov_b64_e32 v[2:3], v[4:5]
	s_cbranch_vccnz .LBB11_13
; %bb.12:
	v_mul_lo_u32 v6, s3, v4
	v_mul_lo_u32 v7, s2, v5
	v_mad_u64_u32 v[2:3], s[18:19], s2, v4, 0
	v_add3_u32 v3, v3, v7, v6
.LBB11_13:
	v_lshl_add_u64 v[4:5], v[4:5], 2, s[14:15]
	global_load_dwordx2 v[4:5], v[4:5], off
	s_waitcnt vmcnt(0)
	v_cmp_lt_i32_e32 vcc, v4, v5
	s_and_b64 exec, exec, vcc
	s_cbranch_execz .LBB11_36
; %bb.14:
	s_xor_b64 s[8:9], s[10:11], s[8:9]
	s_and_b64 s[8:9], s[8:9], exec
	s_cselect_b32 s9, 0, s3
	s_cselect_b32 s8, 1, s2
	s_cmp_lg_u32 s7, 1
	s_cselect_b64 s[18:19], -1, 0
	s_cmp_eq_u32 s7, 1
	v_and_b32_e32 v12, 7, v0
	s_cselect_b64 s[2:3], -1, 0
	s_cmpk_eq_i32 s5, 0x6f
	v_subrev_u32_e32 v0, s16, v4
	v_subrev_u32_e32 v15, s16, v5
	v_mad_u64_u32 v[4:5], s[28:29], s8, v12, 0
	s_cselect_b64 s[6:7], -1, 0
	s_cmpk_lg_i32 s5, 0x6f
	s_load_dwordx2 s[24:25], s[0:1], 0x38
	s_load_dwordx2 s[20:21], s[0:1], 0x50
	;; [unrolled: 1-line block ×3, first 2 shown]
	s_load_dword s17, s[0:1], 0x18
	v_mov_b32_e32 v6, v5
	s_cselect_b64 s[10:11], -1, 0
	s_xor_b64 s[2:3], s[6:7], s[2:3]
	v_mad_u64_u32 v[6:7], s[28:29], s9, v12, v[6:7]
	s_and_b64 s[2:3], s[2:3], exec
	v_mov_b32_e32 v5, v6
	v_lshlrev_b64 v[2:3], 1, v[2:3]
	s_cselect_b32 s26, s12, 1
	v_lshl_add_u64 v[2:3], v[4:5], 1, v[2:3]
	s_load_dwordx2 s[14:15], s[0:1], 0x60
	s_cselect_b32 s27, s13, 0
	s_waitcnt lgkmcnt(0)
	v_lshl_add_u64 v[2:3], s[22:23], 0, v[2:3]
	s_lshl_b64 s[22:23], s[8:9], 4
	v_mad_u64_u32 v[4:5], s[8:9], s26, v12, 0
	v_mov_b32_e32 v6, v5
	v_mad_u64_u32 v[6:7], s[8:9], s27, v12, v[6:7]
	v_cndmask_b32_e64 v8, 0, 1, s[6:7]
	v_lshlrev_b32_e32 v13, 4, v1
	v_mov_b32_e32 v5, v6
	v_cndmask_b32_e64 v1, 0, 1, s[10:11]
	v_cmp_gt_i32_e64 s[0:1], s17, v12
	v_lshl_or_b32 v14, v12, 1, v13
	v_cmp_eq_u32_e64 s[2:3], 0, v12
	v_cmp_gt_u32_e64 s[4:5], 4, v12
	v_cmp_gt_u32_e64 s[6:7], 2, v12
	v_lshl_add_u64 v[4:5], v[4:5], 1, s[24:25]
	s_lshl_b64 s[24:25], s[26:27], 4
	s_mov_b64 s[26:27], 0
	v_cmp_ne_u32_e64 s[8:9], 1, v1
	v_cmp_ne_u32_e64 s[10:11], 1, v8
	s_branch .LBB11_16
.LBB11_15:                              ;   in Loop: Header=BB11_16 Depth=1
	s_or_b64 exec, exec, s[28:29]
	v_add_u32_e32 v0, 1, v0
	v_cmp_ge_i32_e32 vcc, v0, v15
	s_or_b64 s[26:27], vcc, s[26:27]
	s_andn2_b64 exec, exec, s[26:27]
	s_cbranch_execz .LBB11_36
.LBB11_16:                              ; =>This Loop Header: Depth=1
                                        ;     Child Loop BB11_26 Depth 2
	v_ashrrev_i32_e32 v1, 31, v0
	v_lshl_add_u64 v[6:7], v[0:1], 2, s[14:15]
	global_load_dword v6, v[6:7], off
	s_mov_b64 s[28:29], -1
	s_and_b64 vcc, exec, s[18:19]
                                        ; implicit-def: $vgpr8_vgpr9
	s_waitcnt vmcnt(0)
	v_subrev_u32_e32 v6, s16, v6
	v_ashrrev_i32_e32 v7, 31, v6
	s_cbranch_vccnz .LBB11_19
; %bb.17:                               ;   in Loop: Header=BB11_16 Depth=1
	s_andn2_b64 vcc, exec, s[28:29]
	s_cbranch_vccz .LBB11_22
.LBB11_18:                              ;   in Loop: Header=BB11_16 Depth=1
	v_mov_b32_e32 v16, 0
	s_and_saveexec_b64 s[28:29], s[0:1]
	s_cbranch_execnz .LBB11_25
	s_branch .LBB11_28
.LBB11_19:                              ;   in Loop: Header=BB11_16 Depth=1
	s_and_b64 vcc, exec, s[8:9]
	v_mov_b64_e32 v[8:9], v[6:7]
	s_cbranch_vccnz .LBB11_21
; %bb.20:                               ;   in Loop: Header=BB11_16 Depth=1
	v_mul_lo_u32 v16, s13, v6
	v_mul_lo_u32 v17, s12, v7
	v_mad_u64_u32 v[8:9], s[28:29], s12, v6, 0
	v_add3_u32 v9, v9, v17, v16
.LBB11_21:                              ;   in Loop: Header=BB11_16 Depth=1
	s_cbranch_execnz .LBB11_18
.LBB11_22:                              ;   in Loop: Header=BB11_16 Depth=1
	s_and_b64 vcc, exec, s[10:11]
	s_cbranch_vccnz .LBB11_24
; %bb.23:                               ;   in Loop: Header=BB11_16 Depth=1
	v_mul_lo_u32 v8, s13, v6
	v_mul_lo_u32 v9, s12, v7
	v_mad_u64_u32 v[6:7], s[28:29], s12, v6, 0
	v_add3_u32 v7, v7, v9, v8
.LBB11_24:                              ;   in Loop: Header=BB11_16 Depth=1
	v_mov_b64_e32 v[8:9], v[6:7]
	v_mov_b32_e32 v16, 0
	s_and_saveexec_b64 s[28:29], s[0:1]
	s_cbranch_execz .LBB11_28
.LBB11_25:                              ;   in Loop: Header=BB11_16 Depth=1
	v_lshl_add_u64 v[6:7], v[8:9], 1, v[4:5]
	v_mov_b32_e32 v16, 0
	s_mov_b64 s[30:31], 0
	v_mov_b64_e32 v[8:9], v[2:3]
	v_mov_b32_e32 v17, v12
.LBB11_26:                              ;   Parent Loop BB11_16 Depth=1
                                        ; =>  This Inner Loop Header: Depth=2
	global_load_ushort v18, v[8:9], off
	global_load_ushort v19, v[6:7], off
	v_add_u32_e32 v17, 8, v17
	v_cmp_le_i32_e32 vcc, s17, v17
	v_lshl_add_u64 v[8:9], v[8:9], 0, s[22:23]
	v_lshl_add_u64 v[6:7], v[6:7], 0, s[24:25]
	s_or_b64 s[30:31], vcc, s[30:31]
	s_waitcnt vmcnt(0)
	v_fma_f16 v16, v18, v19, v16
	s_andn2_b64 exec, exec, s[30:31]
	s_cbranch_execnz .LBB11_26
; %bb.27:                               ;   in Loop: Header=BB11_16 Depth=1
	s_or_b64 exec, exec, s[30:31]
.LBB11_28:                              ;   in Loop: Header=BB11_16 Depth=1
	s_or_b64 exec, exec, s[28:29]
	ds_write_b16 v14, v16
	s_waitcnt lgkmcnt(0)
	s_barrier
	s_and_saveexec_b64 s[28:29], s[4:5]
	s_cbranch_execz .LBB11_30
; %bb.29:                               ;   in Loop: Header=BB11_16 Depth=1
	ds_read_u16 v6, v14
	ds_read_u16 v7, v14 offset:8
	s_waitcnt lgkmcnt(0)
	v_add_f16_e32 v6, v7, v6
	ds_write_b16 v14, v6
.LBB11_30:                              ;   in Loop: Header=BB11_16 Depth=1
	s_or_b64 exec, exec, s[28:29]
	s_waitcnt lgkmcnt(0)
	s_barrier
	s_and_saveexec_b64 s[28:29], s[6:7]
	s_cbranch_execz .LBB11_32
; %bb.31:                               ;   in Loop: Header=BB11_16 Depth=1
	ds_read_u16 v6, v14
	ds_read_u16 v7, v14 offset:4
	s_waitcnt lgkmcnt(0)
	v_add_f16_e32 v6, v7, v6
	ds_write_b16 v14, v6
.LBB11_32:                              ;   in Loop: Header=BB11_16 Depth=1
	s_or_b64 exec, exec, s[28:29]
	;; [unrolled: 12-line block ×3, first 2 shown]
	s_waitcnt lgkmcnt(0)
	s_barrier
	s_and_saveexec_b64 s[28:29], s[2:3]
	s_cbranch_execz .LBB11_15
; %bb.35:                               ;   in Loop: Header=BB11_16 Depth=1
	v_lshl_add_u64 v[6:7], v[0:1], 1, s[20:21]
	global_load_ushort v1, v[6:7], off
	ds_read_u16 v8, v13
	s_waitcnt lgkmcnt(0)
	v_mul_f16_e32 v8, v10, v8
	s_waitcnt vmcnt(0)
	v_fma_f16 v1, v11, v1, v8
	global_store_short v[6:7], v1, off
	s_branch .LBB11_15
.LBB11_36:
	s_endpgm
	.section	.rodata,"a",@progbits
	.p2align	6, 0x0
	.amdhsa_kernel _ZN9rocsparseL16sddmm_csx_kernelILi512ELi8EL20rocsparse_direction_0EDF16_iiDF16_DF16_DF16_EEv20rocsparse_operation_S2_16rocsparse_order_S3_T4_S4_S4_T3_NS_24const_host_device_scalarIT2_EEPKT5_lPKT6_lS8_PT7_PKS5_PKS4_21rocsparse_index_base_b
		.amdhsa_group_segment_fixed_size 1024
		.amdhsa_private_segment_fixed_size 0
		.amdhsa_kernarg_size 112
		.amdhsa_user_sgpr_count 2
		.amdhsa_user_sgpr_dispatch_ptr 0
		.amdhsa_user_sgpr_queue_ptr 0
		.amdhsa_user_sgpr_kernarg_segment_ptr 1
		.amdhsa_user_sgpr_dispatch_id 0
		.amdhsa_user_sgpr_kernarg_preload_length 0
		.amdhsa_user_sgpr_kernarg_preload_offset 0
		.amdhsa_user_sgpr_private_segment_size 0
		.amdhsa_uses_dynamic_stack 0
		.amdhsa_enable_private_segment 0
		.amdhsa_system_sgpr_workgroup_id_x 1
		.amdhsa_system_sgpr_workgroup_id_y 0
		.amdhsa_system_sgpr_workgroup_id_z 0
		.amdhsa_system_sgpr_workgroup_info 0
		.amdhsa_system_vgpr_workitem_id 0
		.amdhsa_next_free_vgpr 20
		.amdhsa_next_free_sgpr 32
		.amdhsa_accum_offset 20
		.amdhsa_reserve_vcc 1
		.amdhsa_float_round_mode_32 0
		.amdhsa_float_round_mode_16_64 0
		.amdhsa_float_denorm_mode_32 3
		.amdhsa_float_denorm_mode_16_64 3
		.amdhsa_dx10_clamp 1
		.amdhsa_ieee_mode 1
		.amdhsa_fp16_overflow 0
		.amdhsa_tg_split 0
		.amdhsa_exception_fp_ieee_invalid_op 0
		.amdhsa_exception_fp_denorm_src 0
		.amdhsa_exception_fp_ieee_div_zero 0
		.amdhsa_exception_fp_ieee_overflow 0
		.amdhsa_exception_fp_ieee_underflow 0
		.amdhsa_exception_fp_ieee_inexact 0
		.amdhsa_exception_int_div_zero 0
	.end_amdhsa_kernel
	.section	.text._ZN9rocsparseL16sddmm_csx_kernelILi512ELi8EL20rocsparse_direction_0EDF16_iiDF16_DF16_DF16_EEv20rocsparse_operation_S2_16rocsparse_order_S3_T4_S4_S4_T3_NS_24const_host_device_scalarIT2_EEPKT5_lPKT6_lS8_PT7_PKS5_PKS4_21rocsparse_index_base_b,"axG",@progbits,_ZN9rocsparseL16sddmm_csx_kernelILi512ELi8EL20rocsparse_direction_0EDF16_iiDF16_DF16_DF16_EEv20rocsparse_operation_S2_16rocsparse_order_S3_T4_S4_S4_T3_NS_24const_host_device_scalarIT2_EEPKT5_lPKT6_lS8_PT7_PKS5_PKS4_21rocsparse_index_base_b,comdat
.Lfunc_end11:
	.size	_ZN9rocsparseL16sddmm_csx_kernelILi512ELi8EL20rocsparse_direction_0EDF16_iiDF16_DF16_DF16_EEv20rocsparse_operation_S2_16rocsparse_order_S3_T4_S4_S4_T3_NS_24const_host_device_scalarIT2_EEPKT5_lPKT6_lS8_PT7_PKS5_PKS4_21rocsparse_index_base_b, .Lfunc_end11-_ZN9rocsparseL16sddmm_csx_kernelILi512ELi8EL20rocsparse_direction_0EDF16_iiDF16_DF16_DF16_EEv20rocsparse_operation_S2_16rocsparse_order_S3_T4_S4_S4_T3_NS_24const_host_device_scalarIT2_EEPKT5_lPKT6_lS8_PT7_PKS5_PKS4_21rocsparse_index_base_b
                                        ; -- End function
	.set _ZN9rocsparseL16sddmm_csx_kernelILi512ELi8EL20rocsparse_direction_0EDF16_iiDF16_DF16_DF16_EEv20rocsparse_operation_S2_16rocsparse_order_S3_T4_S4_S4_T3_NS_24const_host_device_scalarIT2_EEPKT5_lPKT6_lS8_PT7_PKS5_PKS4_21rocsparse_index_base_b.num_vgpr, 20
	.set _ZN9rocsparseL16sddmm_csx_kernelILi512ELi8EL20rocsparse_direction_0EDF16_iiDF16_DF16_DF16_EEv20rocsparse_operation_S2_16rocsparse_order_S3_T4_S4_S4_T3_NS_24const_host_device_scalarIT2_EEPKT5_lPKT6_lS8_PT7_PKS5_PKS4_21rocsparse_index_base_b.num_agpr, 0
	.set _ZN9rocsparseL16sddmm_csx_kernelILi512ELi8EL20rocsparse_direction_0EDF16_iiDF16_DF16_DF16_EEv20rocsparse_operation_S2_16rocsparse_order_S3_T4_S4_S4_T3_NS_24const_host_device_scalarIT2_EEPKT5_lPKT6_lS8_PT7_PKS5_PKS4_21rocsparse_index_base_b.numbered_sgpr, 32
	.set _ZN9rocsparseL16sddmm_csx_kernelILi512ELi8EL20rocsparse_direction_0EDF16_iiDF16_DF16_DF16_EEv20rocsparse_operation_S2_16rocsparse_order_S3_T4_S4_S4_T3_NS_24const_host_device_scalarIT2_EEPKT5_lPKT6_lS8_PT7_PKS5_PKS4_21rocsparse_index_base_b.num_named_barrier, 0
	.set _ZN9rocsparseL16sddmm_csx_kernelILi512ELi8EL20rocsparse_direction_0EDF16_iiDF16_DF16_DF16_EEv20rocsparse_operation_S2_16rocsparse_order_S3_T4_S4_S4_T3_NS_24const_host_device_scalarIT2_EEPKT5_lPKT6_lS8_PT7_PKS5_PKS4_21rocsparse_index_base_b.private_seg_size, 0
	.set _ZN9rocsparseL16sddmm_csx_kernelILi512ELi8EL20rocsparse_direction_0EDF16_iiDF16_DF16_DF16_EEv20rocsparse_operation_S2_16rocsparse_order_S3_T4_S4_S4_T3_NS_24const_host_device_scalarIT2_EEPKT5_lPKT6_lS8_PT7_PKS5_PKS4_21rocsparse_index_base_b.uses_vcc, 1
	.set _ZN9rocsparseL16sddmm_csx_kernelILi512ELi8EL20rocsparse_direction_0EDF16_iiDF16_DF16_DF16_EEv20rocsparse_operation_S2_16rocsparse_order_S3_T4_S4_S4_T3_NS_24const_host_device_scalarIT2_EEPKT5_lPKT6_lS8_PT7_PKS5_PKS4_21rocsparse_index_base_b.uses_flat_scratch, 0
	.set _ZN9rocsparseL16sddmm_csx_kernelILi512ELi8EL20rocsparse_direction_0EDF16_iiDF16_DF16_DF16_EEv20rocsparse_operation_S2_16rocsparse_order_S3_T4_S4_S4_T3_NS_24const_host_device_scalarIT2_EEPKT5_lPKT6_lS8_PT7_PKS5_PKS4_21rocsparse_index_base_b.has_dyn_sized_stack, 0
	.set _ZN9rocsparseL16sddmm_csx_kernelILi512ELi8EL20rocsparse_direction_0EDF16_iiDF16_DF16_DF16_EEv20rocsparse_operation_S2_16rocsparse_order_S3_T4_S4_S4_T3_NS_24const_host_device_scalarIT2_EEPKT5_lPKT6_lS8_PT7_PKS5_PKS4_21rocsparse_index_base_b.has_recursion, 0
	.set _ZN9rocsparseL16sddmm_csx_kernelILi512ELi8EL20rocsparse_direction_0EDF16_iiDF16_DF16_DF16_EEv20rocsparse_operation_S2_16rocsparse_order_S3_T4_S4_S4_T3_NS_24const_host_device_scalarIT2_EEPKT5_lPKT6_lS8_PT7_PKS5_PKS4_21rocsparse_index_base_b.has_indirect_call, 0
	.section	.AMDGPU.csdata,"",@progbits
; Kernel info:
; codeLenInByte = 1168
; TotalNumSgprs: 38
; NumVgprs: 20
; NumAgprs: 0
; TotalNumVgprs: 20
; ScratchSize: 0
; MemoryBound: 0
; FloatMode: 240
; IeeeMode: 1
; LDSByteSize: 1024 bytes/workgroup (compile time only)
; SGPRBlocks: 4
; VGPRBlocks: 2
; NumSGPRsForWavesPerEU: 38
; NumVGPRsForWavesPerEU: 20
; AccumOffset: 20
; Occupancy: 8
; WaveLimiterHint : 0
; COMPUTE_PGM_RSRC2:SCRATCH_EN: 0
; COMPUTE_PGM_RSRC2:USER_SGPR: 2
; COMPUTE_PGM_RSRC2:TRAP_HANDLER: 0
; COMPUTE_PGM_RSRC2:TGID_X_EN: 1
; COMPUTE_PGM_RSRC2:TGID_Y_EN: 0
; COMPUTE_PGM_RSRC2:TGID_Z_EN: 0
; COMPUTE_PGM_RSRC2:TIDIG_COMP_CNT: 0
; COMPUTE_PGM_RSRC3_GFX90A:ACCUM_OFFSET: 4
; COMPUTE_PGM_RSRC3_GFX90A:TG_SPLIT: 0
	.section	.text._ZN9rocsparseL16sddmm_csx_kernelILi512ELi4EL20rocsparse_direction_0EDF16_iiDF16_DF16_DF16_EEv20rocsparse_operation_S2_16rocsparse_order_S3_T4_S4_S4_T3_NS_24const_host_device_scalarIT2_EEPKT5_lPKT6_lS8_PT7_PKS5_PKS4_21rocsparse_index_base_b,"axG",@progbits,_ZN9rocsparseL16sddmm_csx_kernelILi512ELi4EL20rocsparse_direction_0EDF16_iiDF16_DF16_DF16_EEv20rocsparse_operation_S2_16rocsparse_order_S3_T4_S4_S4_T3_NS_24const_host_device_scalarIT2_EEPKT5_lPKT6_lS8_PT7_PKS5_PKS4_21rocsparse_index_base_b,comdat
	.globl	_ZN9rocsparseL16sddmm_csx_kernelILi512ELi4EL20rocsparse_direction_0EDF16_iiDF16_DF16_DF16_EEv20rocsparse_operation_S2_16rocsparse_order_S3_T4_S4_S4_T3_NS_24const_host_device_scalarIT2_EEPKT5_lPKT6_lS8_PT7_PKS5_PKS4_21rocsparse_index_base_b ; -- Begin function _ZN9rocsparseL16sddmm_csx_kernelILi512ELi4EL20rocsparse_direction_0EDF16_iiDF16_DF16_DF16_EEv20rocsparse_operation_S2_16rocsparse_order_S3_T4_S4_S4_T3_NS_24const_host_device_scalarIT2_EEPKT5_lPKT6_lS8_PT7_PKS5_PKS4_21rocsparse_index_base_b
	.p2align	8
	.type	_ZN9rocsparseL16sddmm_csx_kernelILi512ELi4EL20rocsparse_direction_0EDF16_iiDF16_DF16_DF16_EEv20rocsparse_operation_S2_16rocsparse_order_S3_T4_S4_S4_T3_NS_24const_host_device_scalarIT2_EEPKT5_lPKT6_lS8_PT7_PKS5_PKS4_21rocsparse_index_base_b,@function
_ZN9rocsparseL16sddmm_csx_kernelILi512ELi4EL20rocsparse_direction_0EDF16_iiDF16_DF16_DF16_EEv20rocsparse_operation_S2_16rocsparse_order_S3_T4_S4_S4_T3_NS_24const_host_device_scalarIT2_EEPKT5_lPKT6_lS8_PT7_PKS5_PKS4_21rocsparse_index_base_b: ; @_ZN9rocsparseL16sddmm_csx_kernelILi512ELi4EL20rocsparse_direction_0EDF16_iiDF16_DF16_DF16_EEv20rocsparse_operation_S2_16rocsparse_order_S3_T4_S4_S4_T3_NS_24const_host_device_scalarIT2_EEPKT5_lPKT6_lS8_PT7_PKS5_PKS4_21rocsparse_index_base_b
; %bb.0:
	s_load_dwordx2 s[10:11], s[0:1], 0x68
	s_load_dwordx2 s[6:7], s[0:1], 0x20
	s_load_dwordx4 s[12:15], s[0:1], 0x40
	s_waitcnt lgkmcnt(0)
	s_bitcmp1_b32 s11, 0
	s_cselect_b64 s[8:9], -1, 0
	s_xor_b64 s[4:5], s[8:9], -1
	s_and_b64 vcc, exec, s[8:9]
	v_mov_b32_e32 v10, s6
	s_cbranch_vccnz .LBB12_2
; %bb.1:
	v_mov_b32_e32 v1, 0
	global_load_ushort v10, v1, s[6:7]
.LBB12_2:
	s_andn2_b64 vcc, exec, s[4:5]
	v_mov_b32_e32 v11, s14
	s_cbranch_vccnz .LBB12_4
; %bb.3:
	v_mov_b32_e32 v1, 0
	global_load_ushort v11, v1, s[14:15]
.LBB12_4:
	s_waitcnt vmcnt(0)
	v_cmp_eq_f16_e32 vcc, 0, v10
	v_cmp_eq_f16_e64 s[4:5], 1.0, v11
	s_and_b64 s[4:5], vcc, s[4:5]
	s_and_b64 vcc, exec, s[4:5]
	s_cbranch_vccnz .LBB12_34
; %bb.5:
	s_load_dword s3, s[0:1], 0x10
	v_lshrrev_b32_e32 v1, 2, v0
	v_lshl_or_b32 v4, s2, 7, v1
	s_waitcnt lgkmcnt(0)
	v_cmp_gt_i32_e32 vcc, s3, v4
	s_and_saveexec_b64 s[2:3], vcc
	s_cbranch_execz .LBB12_34
; %bb.6:
	s_load_dwordx4 s[4:7], s[0:1], 0x0
	s_load_dwordx2 s[14:15], s[0:1], 0x58
	s_load_dwordx2 s[2:3], s[0:1], 0x30
	v_ashrrev_i32_e32 v5, 31, v4
	s_waitcnt lgkmcnt(0)
	s_cmp_eq_u32 s6, 1
	s_cselect_b64 s[8:9], -1, 0
	s_cmpk_eq_i32 s4, 0x6f
	s_cselect_b64 s[16:17], -1, 0
	s_cmpk_lg_i32 s4, 0x6f
	s_cselect_b64 s[18:19], -1, 0
	s_cmp_lg_u32 s6, 1
	s_cbranch_scc0 .LBB12_10
; %bb.7:
	s_andn2_b64 vcc, exec, s[16:17]
	v_mov_b64_e32 v[2:3], v[4:5]
	s_cbranch_vccnz .LBB12_9
; %bb.8:
	v_mul_lo_u32 v6, s3, v4
	v_mul_lo_u32 v7, s2, v5
	v_mad_u64_u32 v[2:3], s[20:21], s2, v4, 0
	v_add3_u32 v3, v3, v7, v6
.LBB12_9:
	s_cbranch_execz .LBB12_11
	s_branch .LBB12_13
.LBB12_10:
                                        ; implicit-def: $vgpr2_vgpr3
.LBB12_11:
	s_andn2_b64 vcc, exec, s[18:19]
	v_mov_b64_e32 v[2:3], v[4:5]
	s_cbranch_vccnz .LBB12_13
; %bb.12:
	v_mul_lo_u32 v6, s3, v4
	v_mul_lo_u32 v7, s2, v5
	v_mad_u64_u32 v[2:3], s[18:19], s2, v4, 0
	v_add3_u32 v3, v3, v7, v6
.LBB12_13:
	v_lshl_add_u64 v[4:5], v[4:5], 2, s[14:15]
	global_load_dwordx2 v[4:5], v[4:5], off
	s_waitcnt vmcnt(0)
	v_cmp_lt_i32_e32 vcc, v4, v5
	s_and_b64 exec, exec, vcc
	s_cbranch_execz .LBB12_34
; %bb.14:
	s_xor_b64 s[8:9], s[16:17], s[8:9]
	s_and_b64 s[8:9], s[8:9], exec
	s_cselect_b32 s9, 0, s3
	s_cselect_b32 s8, 1, s2
	s_cmp_lg_u32 s7, 1
	s_cselect_b64 s[16:17], -1, 0
	s_cmp_eq_u32 s7, 1
	s_cselect_b64 s[2:3], -1, 0
	s_cmpk_eq_i32 s5, 0x6f
	v_and_b32_e32 v12, 3, v0
	s_cselect_b64 s[6:7], -1, 0
	s_cmpk_lg_i32 s5, 0x6f
	v_subrev_u32_e32 v0, s10, v4
	v_subrev_u32_e32 v15, s10, v5
	v_mad_u64_u32 v[4:5], s[24:25], s8, v12, 0
	s_cselect_b64 s[26:27], -1, 0
	v_cndmask_b32_e64 v8, 0, 1, s[6:7]
	s_xor_b64 s[2:3], s[6:7], s[2:3]
	s_load_dwordx2 s[6:7], s[0:1], 0x38
	s_load_dwordx2 s[18:19], s[0:1], 0x50
	;; [unrolled: 1-line block ×3, first 2 shown]
	s_load_dword s11, s[0:1], 0x18
	v_mov_b32_e32 v6, v5
	v_mad_u64_u32 v[6:7], s[24:25], s9, v12, v[6:7]
	s_and_b64 s[2:3], s[2:3], exec
	v_mov_b32_e32 v5, v6
	v_lshlrev_b64 v[2:3], 1, v[2:3]
	s_cselect_b32 s22, s12, 1
	v_lshl_add_u64 v[2:3], v[4:5], 1, v[2:3]
	s_load_dwordx2 s[14:15], s[0:1], 0x60
	s_cselect_b32 s23, s13, 0
	s_waitcnt lgkmcnt(0)
	v_lshl_add_u64 v[2:3], s[20:21], 0, v[2:3]
	s_lshl_b64 s[20:21], s[8:9], 3
	v_mad_u64_u32 v[4:5], s[8:9], s22, v12, 0
	v_mov_b32_e32 v6, v5
	v_mad_u64_u32 v[6:7], s[8:9], s23, v12, v[6:7]
	v_lshlrev_b32_e32 v13, 3, v1
	v_mov_b32_e32 v5, v6
	v_cndmask_b32_e64 v1, 0, 1, s[26:27]
	v_cmp_gt_i32_e64 s[0:1], s11, v12
	v_lshl_or_b32 v14, v12, 1, v13
	v_cmp_eq_u32_e64 s[2:3], 0, v12
	v_cmp_gt_u32_e64 s[4:5], 2, v12
	v_lshl_add_u64 v[4:5], v[4:5], 1, s[6:7]
	s_lshl_b64 s[22:23], s[22:23], 3
	s_mov_b64 s[24:25], 0
	v_cmp_ne_u32_e64 s[6:7], 1, v1
	v_cmp_ne_u32_e64 s[8:9], 1, v8
	s_branch .LBB12_16
.LBB12_15:                              ;   in Loop: Header=BB12_16 Depth=1
	s_or_b64 exec, exec, s[26:27]
	v_add_u32_e32 v0, 1, v0
	v_cmp_ge_i32_e32 vcc, v0, v15
	s_or_b64 s[24:25], vcc, s[24:25]
	s_andn2_b64 exec, exec, s[24:25]
	s_cbranch_execz .LBB12_34
.LBB12_16:                              ; =>This Loop Header: Depth=1
                                        ;     Child Loop BB12_26 Depth 2
	v_ashrrev_i32_e32 v1, 31, v0
	v_lshl_add_u64 v[6:7], v[0:1], 2, s[14:15]
	global_load_dword v6, v[6:7], off
	s_mov_b64 s[26:27], -1
	s_and_b64 vcc, exec, s[16:17]
                                        ; implicit-def: $vgpr8_vgpr9
	s_waitcnt vmcnt(0)
	v_subrev_u32_e32 v6, s10, v6
	v_ashrrev_i32_e32 v7, 31, v6
	s_cbranch_vccnz .LBB12_19
; %bb.17:                               ;   in Loop: Header=BB12_16 Depth=1
	s_andn2_b64 vcc, exec, s[26:27]
	s_cbranch_vccz .LBB12_22
.LBB12_18:                              ;   in Loop: Header=BB12_16 Depth=1
	v_mov_b32_e32 v16, 0
	s_and_saveexec_b64 s[26:27], s[0:1]
	s_cbranch_execnz .LBB12_25
	s_branch .LBB12_28
.LBB12_19:                              ;   in Loop: Header=BB12_16 Depth=1
	s_and_b64 vcc, exec, s[6:7]
	v_mov_b64_e32 v[8:9], v[6:7]
	s_cbranch_vccnz .LBB12_21
; %bb.20:                               ;   in Loop: Header=BB12_16 Depth=1
	v_mul_lo_u32 v16, s13, v6
	v_mul_lo_u32 v17, s12, v7
	v_mad_u64_u32 v[8:9], s[26:27], s12, v6, 0
	v_add3_u32 v9, v9, v17, v16
.LBB12_21:                              ;   in Loop: Header=BB12_16 Depth=1
	s_cbranch_execnz .LBB12_18
.LBB12_22:                              ;   in Loop: Header=BB12_16 Depth=1
	s_and_b64 vcc, exec, s[8:9]
	s_cbranch_vccnz .LBB12_24
; %bb.23:                               ;   in Loop: Header=BB12_16 Depth=1
	v_mul_lo_u32 v8, s13, v6
	v_mul_lo_u32 v9, s12, v7
	v_mad_u64_u32 v[6:7], s[26:27], s12, v6, 0
	v_add3_u32 v7, v7, v9, v8
.LBB12_24:                              ;   in Loop: Header=BB12_16 Depth=1
	v_mov_b64_e32 v[8:9], v[6:7]
	v_mov_b32_e32 v16, 0
	s_and_saveexec_b64 s[26:27], s[0:1]
	s_cbranch_execz .LBB12_28
.LBB12_25:                              ;   in Loop: Header=BB12_16 Depth=1
	v_lshl_add_u64 v[6:7], v[8:9], 1, v[4:5]
	v_mov_b32_e32 v16, 0
	s_mov_b64 s[28:29], 0
	v_mov_b64_e32 v[8:9], v[2:3]
	v_mov_b32_e32 v17, v12
.LBB12_26:                              ;   Parent Loop BB12_16 Depth=1
                                        ; =>  This Inner Loop Header: Depth=2
	global_load_ushort v18, v[8:9], off
	global_load_ushort v19, v[6:7], off
	v_add_u32_e32 v17, 4, v17
	v_cmp_le_i32_e32 vcc, s11, v17
	v_lshl_add_u64 v[8:9], v[8:9], 0, s[20:21]
	v_lshl_add_u64 v[6:7], v[6:7], 0, s[22:23]
	s_or_b64 s[28:29], vcc, s[28:29]
	s_waitcnt vmcnt(0)
	v_fma_f16 v16, v18, v19, v16
	s_andn2_b64 exec, exec, s[28:29]
	s_cbranch_execnz .LBB12_26
; %bb.27:                               ;   in Loop: Header=BB12_16 Depth=1
	s_or_b64 exec, exec, s[28:29]
.LBB12_28:                              ;   in Loop: Header=BB12_16 Depth=1
	s_or_b64 exec, exec, s[26:27]
	ds_write_b16 v14, v16
	s_waitcnt lgkmcnt(0)
	s_barrier
	s_and_saveexec_b64 s[26:27], s[4:5]
	s_cbranch_execz .LBB12_30
; %bb.29:                               ;   in Loop: Header=BB12_16 Depth=1
	ds_read_u16 v6, v14
	ds_read_u16 v7, v14 offset:4
	s_waitcnt lgkmcnt(0)
	v_add_f16_e32 v6, v7, v6
	ds_write_b16 v14, v6
.LBB12_30:                              ;   in Loop: Header=BB12_16 Depth=1
	s_or_b64 exec, exec, s[26:27]
	s_waitcnt lgkmcnt(0)
	s_barrier
	s_and_saveexec_b64 s[26:27], s[2:3]
	s_cbranch_execz .LBB12_32
; %bb.31:                               ;   in Loop: Header=BB12_16 Depth=1
	ds_read_u16 v6, v14
	ds_read_u16 v7, v14 offset:2
	s_waitcnt lgkmcnt(0)
	v_add_f16_e32 v6, v7, v6
	ds_write_b16 v14, v6
.LBB12_32:                              ;   in Loop: Header=BB12_16 Depth=1
	s_or_b64 exec, exec, s[26:27]
	s_waitcnt lgkmcnt(0)
	s_barrier
	s_and_saveexec_b64 s[26:27], s[2:3]
	s_cbranch_execz .LBB12_15
; %bb.33:                               ;   in Loop: Header=BB12_16 Depth=1
	v_lshl_add_u64 v[6:7], v[0:1], 1, s[18:19]
	global_load_ushort v1, v[6:7], off
	ds_read_u16 v8, v13
	s_waitcnt lgkmcnt(0)
	v_mul_f16_e32 v8, v10, v8
	s_waitcnt vmcnt(0)
	v_fma_f16 v1, v11, v1, v8
	global_store_short v[6:7], v1, off
	s_branch .LBB12_15
.LBB12_34:
	s_endpgm
	.section	.rodata,"a",@progbits
	.p2align	6, 0x0
	.amdhsa_kernel _ZN9rocsparseL16sddmm_csx_kernelILi512ELi4EL20rocsparse_direction_0EDF16_iiDF16_DF16_DF16_EEv20rocsparse_operation_S2_16rocsparse_order_S3_T4_S4_S4_T3_NS_24const_host_device_scalarIT2_EEPKT5_lPKT6_lS8_PT7_PKS5_PKS4_21rocsparse_index_base_b
		.amdhsa_group_segment_fixed_size 1024
		.amdhsa_private_segment_fixed_size 0
		.amdhsa_kernarg_size 112
		.amdhsa_user_sgpr_count 2
		.amdhsa_user_sgpr_dispatch_ptr 0
		.amdhsa_user_sgpr_queue_ptr 0
		.amdhsa_user_sgpr_kernarg_segment_ptr 1
		.amdhsa_user_sgpr_dispatch_id 0
		.amdhsa_user_sgpr_kernarg_preload_length 0
		.amdhsa_user_sgpr_kernarg_preload_offset 0
		.amdhsa_user_sgpr_private_segment_size 0
		.amdhsa_uses_dynamic_stack 0
		.amdhsa_enable_private_segment 0
		.amdhsa_system_sgpr_workgroup_id_x 1
		.amdhsa_system_sgpr_workgroup_id_y 0
		.amdhsa_system_sgpr_workgroup_id_z 0
		.amdhsa_system_sgpr_workgroup_info 0
		.amdhsa_system_vgpr_workitem_id 0
		.amdhsa_next_free_vgpr 20
		.amdhsa_next_free_sgpr 30
		.amdhsa_accum_offset 20
		.amdhsa_reserve_vcc 1
		.amdhsa_float_round_mode_32 0
		.amdhsa_float_round_mode_16_64 0
		.amdhsa_float_denorm_mode_32 3
		.amdhsa_float_denorm_mode_16_64 3
		.amdhsa_dx10_clamp 1
		.amdhsa_ieee_mode 1
		.amdhsa_fp16_overflow 0
		.amdhsa_tg_split 0
		.amdhsa_exception_fp_ieee_invalid_op 0
		.amdhsa_exception_fp_denorm_src 0
		.amdhsa_exception_fp_ieee_div_zero 0
		.amdhsa_exception_fp_ieee_overflow 0
		.amdhsa_exception_fp_ieee_underflow 0
		.amdhsa_exception_fp_ieee_inexact 0
		.amdhsa_exception_int_div_zero 0
	.end_amdhsa_kernel
	.section	.text._ZN9rocsparseL16sddmm_csx_kernelILi512ELi4EL20rocsparse_direction_0EDF16_iiDF16_DF16_DF16_EEv20rocsparse_operation_S2_16rocsparse_order_S3_T4_S4_S4_T3_NS_24const_host_device_scalarIT2_EEPKT5_lPKT6_lS8_PT7_PKS5_PKS4_21rocsparse_index_base_b,"axG",@progbits,_ZN9rocsparseL16sddmm_csx_kernelILi512ELi4EL20rocsparse_direction_0EDF16_iiDF16_DF16_DF16_EEv20rocsparse_operation_S2_16rocsparse_order_S3_T4_S4_S4_T3_NS_24const_host_device_scalarIT2_EEPKT5_lPKT6_lS8_PT7_PKS5_PKS4_21rocsparse_index_base_b,comdat
.Lfunc_end12:
	.size	_ZN9rocsparseL16sddmm_csx_kernelILi512ELi4EL20rocsparse_direction_0EDF16_iiDF16_DF16_DF16_EEv20rocsparse_operation_S2_16rocsparse_order_S3_T4_S4_S4_T3_NS_24const_host_device_scalarIT2_EEPKT5_lPKT6_lS8_PT7_PKS5_PKS4_21rocsparse_index_base_b, .Lfunc_end12-_ZN9rocsparseL16sddmm_csx_kernelILi512ELi4EL20rocsparse_direction_0EDF16_iiDF16_DF16_DF16_EEv20rocsparse_operation_S2_16rocsparse_order_S3_T4_S4_S4_T3_NS_24const_host_device_scalarIT2_EEPKT5_lPKT6_lS8_PT7_PKS5_PKS4_21rocsparse_index_base_b
                                        ; -- End function
	.set _ZN9rocsparseL16sddmm_csx_kernelILi512ELi4EL20rocsparse_direction_0EDF16_iiDF16_DF16_DF16_EEv20rocsparse_operation_S2_16rocsparse_order_S3_T4_S4_S4_T3_NS_24const_host_device_scalarIT2_EEPKT5_lPKT6_lS8_PT7_PKS5_PKS4_21rocsparse_index_base_b.num_vgpr, 20
	.set _ZN9rocsparseL16sddmm_csx_kernelILi512ELi4EL20rocsparse_direction_0EDF16_iiDF16_DF16_DF16_EEv20rocsparse_operation_S2_16rocsparse_order_S3_T4_S4_S4_T3_NS_24const_host_device_scalarIT2_EEPKT5_lPKT6_lS8_PT7_PKS5_PKS4_21rocsparse_index_base_b.num_agpr, 0
	.set _ZN9rocsparseL16sddmm_csx_kernelILi512ELi4EL20rocsparse_direction_0EDF16_iiDF16_DF16_DF16_EEv20rocsparse_operation_S2_16rocsparse_order_S3_T4_S4_S4_T3_NS_24const_host_device_scalarIT2_EEPKT5_lPKT6_lS8_PT7_PKS5_PKS4_21rocsparse_index_base_b.numbered_sgpr, 30
	.set _ZN9rocsparseL16sddmm_csx_kernelILi512ELi4EL20rocsparse_direction_0EDF16_iiDF16_DF16_DF16_EEv20rocsparse_operation_S2_16rocsparse_order_S3_T4_S4_S4_T3_NS_24const_host_device_scalarIT2_EEPKT5_lPKT6_lS8_PT7_PKS5_PKS4_21rocsparse_index_base_b.num_named_barrier, 0
	.set _ZN9rocsparseL16sddmm_csx_kernelILi512ELi4EL20rocsparse_direction_0EDF16_iiDF16_DF16_DF16_EEv20rocsparse_operation_S2_16rocsparse_order_S3_T4_S4_S4_T3_NS_24const_host_device_scalarIT2_EEPKT5_lPKT6_lS8_PT7_PKS5_PKS4_21rocsparse_index_base_b.private_seg_size, 0
	.set _ZN9rocsparseL16sddmm_csx_kernelILi512ELi4EL20rocsparse_direction_0EDF16_iiDF16_DF16_DF16_EEv20rocsparse_operation_S2_16rocsparse_order_S3_T4_S4_S4_T3_NS_24const_host_device_scalarIT2_EEPKT5_lPKT6_lS8_PT7_PKS5_PKS4_21rocsparse_index_base_b.uses_vcc, 1
	.set _ZN9rocsparseL16sddmm_csx_kernelILi512ELi4EL20rocsparse_direction_0EDF16_iiDF16_DF16_DF16_EEv20rocsparse_operation_S2_16rocsparse_order_S3_T4_S4_S4_T3_NS_24const_host_device_scalarIT2_EEPKT5_lPKT6_lS8_PT7_PKS5_PKS4_21rocsparse_index_base_b.uses_flat_scratch, 0
	.set _ZN9rocsparseL16sddmm_csx_kernelILi512ELi4EL20rocsparse_direction_0EDF16_iiDF16_DF16_DF16_EEv20rocsparse_operation_S2_16rocsparse_order_S3_T4_S4_S4_T3_NS_24const_host_device_scalarIT2_EEPKT5_lPKT6_lS8_PT7_PKS5_PKS4_21rocsparse_index_base_b.has_dyn_sized_stack, 0
	.set _ZN9rocsparseL16sddmm_csx_kernelILi512ELi4EL20rocsparse_direction_0EDF16_iiDF16_DF16_DF16_EEv20rocsparse_operation_S2_16rocsparse_order_S3_T4_S4_S4_T3_NS_24const_host_device_scalarIT2_EEPKT5_lPKT6_lS8_PT7_PKS5_PKS4_21rocsparse_index_base_b.has_recursion, 0
	.set _ZN9rocsparseL16sddmm_csx_kernelILi512ELi4EL20rocsparse_direction_0EDF16_iiDF16_DF16_DF16_EEv20rocsparse_operation_S2_16rocsparse_order_S3_T4_S4_S4_T3_NS_24const_host_device_scalarIT2_EEPKT5_lPKT6_lS8_PT7_PKS5_PKS4_21rocsparse_index_base_b.has_indirect_call, 0
	.section	.AMDGPU.csdata,"",@progbits
; Kernel info:
; codeLenInByte = 1108
; TotalNumSgprs: 36
; NumVgprs: 20
; NumAgprs: 0
; TotalNumVgprs: 20
; ScratchSize: 0
; MemoryBound: 0
; FloatMode: 240
; IeeeMode: 1
; LDSByteSize: 1024 bytes/workgroup (compile time only)
; SGPRBlocks: 4
; VGPRBlocks: 2
; NumSGPRsForWavesPerEU: 36
; NumVGPRsForWavesPerEU: 20
; AccumOffset: 20
; Occupancy: 8
; WaveLimiterHint : 0
; COMPUTE_PGM_RSRC2:SCRATCH_EN: 0
; COMPUTE_PGM_RSRC2:USER_SGPR: 2
; COMPUTE_PGM_RSRC2:TRAP_HANDLER: 0
; COMPUTE_PGM_RSRC2:TGID_X_EN: 1
; COMPUTE_PGM_RSRC2:TGID_Y_EN: 0
; COMPUTE_PGM_RSRC2:TGID_Z_EN: 0
; COMPUTE_PGM_RSRC2:TIDIG_COMP_CNT: 0
; COMPUTE_PGM_RSRC3_GFX90A:ACCUM_OFFSET: 4
; COMPUTE_PGM_RSRC3_GFX90A:TG_SPLIT: 0
	.section	.text._ZN9rocsparseL16sddmm_csx_kernelILi512ELi2EL20rocsparse_direction_0EDF16_iiDF16_DF16_DF16_EEv20rocsparse_operation_S2_16rocsparse_order_S3_T4_S4_S4_T3_NS_24const_host_device_scalarIT2_EEPKT5_lPKT6_lS8_PT7_PKS5_PKS4_21rocsparse_index_base_b,"axG",@progbits,_ZN9rocsparseL16sddmm_csx_kernelILi512ELi2EL20rocsparse_direction_0EDF16_iiDF16_DF16_DF16_EEv20rocsparse_operation_S2_16rocsparse_order_S3_T4_S4_S4_T3_NS_24const_host_device_scalarIT2_EEPKT5_lPKT6_lS8_PT7_PKS5_PKS4_21rocsparse_index_base_b,comdat
	.globl	_ZN9rocsparseL16sddmm_csx_kernelILi512ELi2EL20rocsparse_direction_0EDF16_iiDF16_DF16_DF16_EEv20rocsparse_operation_S2_16rocsparse_order_S3_T4_S4_S4_T3_NS_24const_host_device_scalarIT2_EEPKT5_lPKT6_lS8_PT7_PKS5_PKS4_21rocsparse_index_base_b ; -- Begin function _ZN9rocsparseL16sddmm_csx_kernelILi512ELi2EL20rocsparse_direction_0EDF16_iiDF16_DF16_DF16_EEv20rocsparse_operation_S2_16rocsparse_order_S3_T4_S4_S4_T3_NS_24const_host_device_scalarIT2_EEPKT5_lPKT6_lS8_PT7_PKS5_PKS4_21rocsparse_index_base_b
	.p2align	8
	.type	_ZN9rocsparseL16sddmm_csx_kernelILi512ELi2EL20rocsparse_direction_0EDF16_iiDF16_DF16_DF16_EEv20rocsparse_operation_S2_16rocsparse_order_S3_T4_S4_S4_T3_NS_24const_host_device_scalarIT2_EEPKT5_lPKT6_lS8_PT7_PKS5_PKS4_21rocsparse_index_base_b,@function
_ZN9rocsparseL16sddmm_csx_kernelILi512ELi2EL20rocsparse_direction_0EDF16_iiDF16_DF16_DF16_EEv20rocsparse_operation_S2_16rocsparse_order_S3_T4_S4_S4_T3_NS_24const_host_device_scalarIT2_EEPKT5_lPKT6_lS8_PT7_PKS5_PKS4_21rocsparse_index_base_b: ; @_ZN9rocsparseL16sddmm_csx_kernelILi512ELi2EL20rocsparse_direction_0EDF16_iiDF16_DF16_DF16_EEv20rocsparse_operation_S2_16rocsparse_order_S3_T4_S4_S4_T3_NS_24const_host_device_scalarIT2_EEPKT5_lPKT6_lS8_PT7_PKS5_PKS4_21rocsparse_index_base_b
; %bb.0:
	s_load_dwordx2 s[12:13], s[0:1], 0x68
	s_load_dwordx2 s[6:7], s[0:1], 0x20
	s_load_dwordx4 s[8:11], s[0:1], 0x40
	s_waitcnt lgkmcnt(0)
	s_bitcmp1_b32 s13, 0
	s_cselect_b64 s[14:15], -1, 0
	s_xor_b64 s[4:5], s[14:15], -1
	s_and_b64 vcc, exec, s[14:15]
	v_mov_b32_e32 v10, s6
	s_cbranch_vccnz .LBB13_2
; %bb.1:
	v_mov_b32_e32 v1, 0
	global_load_ushort v10, v1, s[6:7]
.LBB13_2:
	s_andn2_b64 vcc, exec, s[4:5]
	v_mov_b32_e32 v11, s10
	s_cbranch_vccnz .LBB13_4
; %bb.3:
	v_mov_b32_e32 v1, 0
	global_load_ushort v11, v1, s[10:11]
.LBB13_4:
	s_waitcnt vmcnt(0)
	v_cmp_eq_f16_e32 vcc, 0, v10
	v_cmp_eq_f16_e64 s[4:5], 1.0, v11
	s_and_b64 s[4:5], vcc, s[4:5]
	s_and_b64 vcc, exec, s[4:5]
	s_cbranch_vccnz .LBB13_32
; %bb.5:
	s_load_dword s3, s[0:1], 0x10
	v_lshrrev_b32_e32 v1, 1, v0
	v_lshl_or_b32 v4, s2, 8, v1
	s_waitcnt lgkmcnt(0)
	v_cmp_gt_i32_e32 vcc, s3, v4
	s_and_saveexec_b64 s[2:3], vcc
	s_cbranch_execz .LBB13_32
; %bb.6:
	s_load_dwordx4 s[4:7], s[0:1], 0x0
	s_load_dwordx2 s[10:11], s[0:1], 0x58
	s_load_dwordx2 s[2:3], s[0:1], 0x30
	v_ashrrev_i32_e32 v5, 31, v4
	s_waitcnt lgkmcnt(0)
	s_cmp_eq_u32 s6, 1
	s_cselect_b64 s[14:15], -1, 0
	s_cmpk_eq_i32 s4, 0x6f
	s_cselect_b64 s[16:17], -1, 0
	s_cmpk_lg_i32 s4, 0x6f
	s_cselect_b64 s[18:19], -1, 0
	s_cmp_lg_u32 s6, 1
	s_cbranch_scc0 .LBB13_10
; %bb.7:
	s_andn2_b64 vcc, exec, s[16:17]
	v_mov_b64_e32 v[2:3], v[4:5]
	s_cbranch_vccnz .LBB13_9
; %bb.8:
	v_mul_lo_u32 v6, s3, v4
	v_mul_lo_u32 v7, s2, v5
	v_mad_u64_u32 v[2:3], s[20:21], s2, v4, 0
	v_add3_u32 v3, v3, v7, v6
.LBB13_9:
	s_cbranch_execz .LBB13_11
	s_branch .LBB13_13
.LBB13_10:
                                        ; implicit-def: $vgpr2_vgpr3
.LBB13_11:
	s_andn2_b64 vcc, exec, s[18:19]
	v_mov_b64_e32 v[2:3], v[4:5]
	s_cbranch_vccnz .LBB13_13
; %bb.12:
	v_mul_lo_u32 v6, s3, v4
	v_mul_lo_u32 v7, s2, v5
	v_mad_u64_u32 v[2:3], s[18:19], s2, v4, 0
	v_add3_u32 v3, v3, v7, v6
.LBB13_13:
	v_lshl_add_u64 v[4:5], v[4:5], 2, s[10:11]
	global_load_dwordx2 v[4:5], v[4:5], off
	s_waitcnt vmcnt(0)
	v_cmp_lt_i32_e32 vcc, v4, v5
	s_and_b64 exec, exec, vcc
	s_cbranch_execz .LBB13_32
; %bb.14:
	s_xor_b64 s[14:15], s[16:17], s[14:15]
	s_and_b64 s[14:15], s[14:15], exec
	s_cselect_b32 s19, 0, s3
	s_cselect_b32 s18, 1, s2
	s_cmp_lg_u32 s7, 1
	s_cselect_b64 s[14:15], -1, 0
	s_cmp_eq_u32 s7, 1
	s_cselect_b64 s[2:3], -1, 0
	s_cmpk_eq_i32 s5, 0x6f
	s_cselect_b64 s[6:7], -1, 0
	s_cmpk_lg_i32 s5, 0x6f
	s_cselect_b64 s[4:5], -1, 0
	v_cndmask_b32_e64 v6, 0, 1, s[6:7]
	s_xor_b64 s[2:3], s[6:7], s[2:3]
	s_load_dwordx2 s[6:7], s[0:1], 0x38
	s_load_dwordx2 s[16:17], s[0:1], 0x50
	;; [unrolled: 1-line block ×3, first 2 shown]
	s_load_dword s13, s[0:1], 0x18
	s_load_dwordx2 s[10:11], s[0:1], 0x60
	s_and_b64 s[2:3], s[2:3], exec
	v_and_b32_e32 v12, 1, v0
	s_cselect_b32 s23, s9, 0
	s_cselect_b32 s22, s8, 1
	v_subrev_u32_e32 v0, s12, v4
	v_subrev_u32_e32 v15, s12, v5
	v_mul_lo_u32 v5, s19, v12
	v_mul_lo_u32 v4, s18, v12
	v_lshlrev_b64 v[2:3], 1, v[2:3]
	v_lshlrev_b32_e32 v13, 2, v1
	v_lshl_add_u64 v[2:3], v[4:5], 1, v[2:3]
	v_mul_lo_u32 v5, s23, v12
	v_mul_lo_u32 v4, s22, v12
	v_cndmask_b32_e64 v1, 0, 1, s[4:5]
	s_waitcnt lgkmcnt(0)
	v_cmp_gt_i32_e64 s[0:1], s13, v12
	v_lshl_or_b32 v14, v12, 1, v13
	v_cmp_eq_u32_e64 s[2:3], 0, v12
	v_lshl_add_u64 v[2:3], s[20:21], 0, v[2:3]
	s_lshl_b64 s[18:19], s[18:19], 2
	v_lshl_add_u64 v[4:5], v[4:5], 1, s[6:7]
	s_lshl_b64 s[20:21], s[22:23], 2
	s_mov_b64 s[22:23], 0
	v_cmp_ne_u32_e64 s[4:5], 1, v1
	v_cmp_ne_u32_e64 s[6:7], 1, v6
	s_branch .LBB13_16
.LBB13_15:                              ;   in Loop: Header=BB13_16 Depth=1
	s_or_b64 exec, exec, s[24:25]
	v_add_u32_e32 v0, 1, v0
	v_cmp_ge_i32_e32 vcc, v0, v15
	s_or_b64 s[22:23], vcc, s[22:23]
	s_andn2_b64 exec, exec, s[22:23]
	s_cbranch_execz .LBB13_32
.LBB13_16:                              ; =>This Loop Header: Depth=1
                                        ;     Child Loop BB13_26 Depth 2
	v_ashrrev_i32_e32 v1, 31, v0
	v_lshl_add_u64 v[6:7], v[0:1], 2, s[10:11]
	global_load_dword v6, v[6:7], off
	s_mov_b64 s[24:25], -1
	s_and_b64 vcc, exec, s[14:15]
                                        ; implicit-def: $vgpr8_vgpr9
	s_waitcnt vmcnt(0)
	v_subrev_u32_e32 v6, s12, v6
	v_ashrrev_i32_e32 v7, 31, v6
	s_cbranch_vccnz .LBB13_19
; %bb.17:                               ;   in Loop: Header=BB13_16 Depth=1
	s_andn2_b64 vcc, exec, s[24:25]
	s_cbranch_vccz .LBB13_22
.LBB13_18:                              ;   in Loop: Header=BB13_16 Depth=1
	v_mov_b32_e32 v16, 0
	s_and_saveexec_b64 s[24:25], s[0:1]
	s_cbranch_execnz .LBB13_25
	s_branch .LBB13_28
.LBB13_19:                              ;   in Loop: Header=BB13_16 Depth=1
	s_and_b64 vcc, exec, s[4:5]
	v_mov_b64_e32 v[8:9], v[6:7]
	s_cbranch_vccnz .LBB13_21
; %bb.20:                               ;   in Loop: Header=BB13_16 Depth=1
	v_mul_lo_u32 v16, s9, v6
	v_mul_lo_u32 v17, s8, v7
	v_mad_u64_u32 v[8:9], s[24:25], s8, v6, 0
	v_add3_u32 v9, v9, v17, v16
.LBB13_21:                              ;   in Loop: Header=BB13_16 Depth=1
	s_cbranch_execnz .LBB13_18
.LBB13_22:                              ;   in Loop: Header=BB13_16 Depth=1
	s_and_b64 vcc, exec, s[6:7]
	s_cbranch_vccnz .LBB13_24
; %bb.23:                               ;   in Loop: Header=BB13_16 Depth=1
	v_mul_lo_u32 v8, s9, v6
	v_mul_lo_u32 v9, s8, v7
	v_mad_u64_u32 v[6:7], s[24:25], s8, v6, 0
	v_add3_u32 v7, v7, v9, v8
.LBB13_24:                              ;   in Loop: Header=BB13_16 Depth=1
	v_mov_b64_e32 v[8:9], v[6:7]
	v_mov_b32_e32 v16, 0
	s_and_saveexec_b64 s[24:25], s[0:1]
	s_cbranch_execz .LBB13_28
.LBB13_25:                              ;   in Loop: Header=BB13_16 Depth=1
	v_lshl_add_u64 v[6:7], v[8:9], 1, v[4:5]
	v_mov_b32_e32 v16, 0
	s_mov_b64 s[26:27], 0
	v_mov_b64_e32 v[8:9], v[2:3]
	v_mov_b32_e32 v17, v12
.LBB13_26:                              ;   Parent Loop BB13_16 Depth=1
                                        ; =>  This Inner Loop Header: Depth=2
	global_load_ushort v18, v[8:9], off
	global_load_ushort v19, v[6:7], off
	v_add_u32_e32 v17, 2, v17
	v_cmp_le_i32_e32 vcc, s13, v17
	v_lshl_add_u64 v[8:9], v[8:9], 0, s[18:19]
	v_lshl_add_u64 v[6:7], v[6:7], 0, s[20:21]
	s_or_b64 s[26:27], vcc, s[26:27]
	s_waitcnt vmcnt(0)
	v_fma_f16 v16, v18, v19, v16
	s_andn2_b64 exec, exec, s[26:27]
	s_cbranch_execnz .LBB13_26
; %bb.27:                               ;   in Loop: Header=BB13_16 Depth=1
	s_or_b64 exec, exec, s[26:27]
.LBB13_28:                              ;   in Loop: Header=BB13_16 Depth=1
	s_or_b64 exec, exec, s[24:25]
	ds_write_b16 v14, v16
	s_waitcnt lgkmcnt(0)
	s_barrier
	s_and_saveexec_b64 s[24:25], s[2:3]
	s_cbranch_execz .LBB13_30
; %bb.29:                               ;   in Loop: Header=BB13_16 Depth=1
	ds_read_u16 v6, v13 offset:2
	ds_read_u16 v7, v14
	s_waitcnt lgkmcnt(0)
	v_add_f16_e32 v6, v6, v7
	ds_write_b16 v14, v6
.LBB13_30:                              ;   in Loop: Header=BB13_16 Depth=1
	s_or_b64 exec, exec, s[24:25]
	s_waitcnt lgkmcnt(0)
	s_barrier
	s_and_saveexec_b64 s[24:25], s[2:3]
	s_cbranch_execz .LBB13_15
; %bb.31:                               ;   in Loop: Header=BB13_16 Depth=1
	v_lshl_add_u64 v[6:7], v[0:1], 1, s[16:17]
	global_load_ushort v1, v[6:7], off
	ds_read_u16 v8, v13
	s_waitcnt lgkmcnt(0)
	v_mul_f16_e32 v8, v10, v8
	s_waitcnt vmcnt(0)
	v_fma_f16 v1, v11, v1, v8
	global_store_short v[6:7], v1, off
	s_branch .LBB13_15
.LBB13_32:
	s_endpgm
	.section	.rodata,"a",@progbits
	.p2align	6, 0x0
	.amdhsa_kernel _ZN9rocsparseL16sddmm_csx_kernelILi512ELi2EL20rocsparse_direction_0EDF16_iiDF16_DF16_DF16_EEv20rocsparse_operation_S2_16rocsparse_order_S3_T4_S4_S4_T3_NS_24const_host_device_scalarIT2_EEPKT5_lPKT6_lS8_PT7_PKS5_PKS4_21rocsparse_index_base_b
		.amdhsa_group_segment_fixed_size 1024
		.amdhsa_private_segment_fixed_size 0
		.amdhsa_kernarg_size 112
		.amdhsa_user_sgpr_count 2
		.amdhsa_user_sgpr_dispatch_ptr 0
		.amdhsa_user_sgpr_queue_ptr 0
		.amdhsa_user_sgpr_kernarg_segment_ptr 1
		.amdhsa_user_sgpr_dispatch_id 0
		.amdhsa_user_sgpr_kernarg_preload_length 0
		.amdhsa_user_sgpr_kernarg_preload_offset 0
		.amdhsa_user_sgpr_private_segment_size 0
		.amdhsa_uses_dynamic_stack 0
		.amdhsa_enable_private_segment 0
		.amdhsa_system_sgpr_workgroup_id_x 1
		.amdhsa_system_sgpr_workgroup_id_y 0
		.amdhsa_system_sgpr_workgroup_id_z 0
		.amdhsa_system_sgpr_workgroup_info 0
		.amdhsa_system_vgpr_workitem_id 0
		.amdhsa_next_free_vgpr 20
		.amdhsa_next_free_sgpr 28
		.amdhsa_accum_offset 20
		.amdhsa_reserve_vcc 1
		.amdhsa_float_round_mode_32 0
		.amdhsa_float_round_mode_16_64 0
		.amdhsa_float_denorm_mode_32 3
		.amdhsa_float_denorm_mode_16_64 3
		.amdhsa_dx10_clamp 1
		.amdhsa_ieee_mode 1
		.amdhsa_fp16_overflow 0
		.amdhsa_tg_split 0
		.amdhsa_exception_fp_ieee_invalid_op 0
		.amdhsa_exception_fp_denorm_src 0
		.amdhsa_exception_fp_ieee_div_zero 0
		.amdhsa_exception_fp_ieee_overflow 0
		.amdhsa_exception_fp_ieee_underflow 0
		.amdhsa_exception_fp_ieee_inexact 0
		.amdhsa_exception_int_div_zero 0
	.end_amdhsa_kernel
	.section	.text._ZN9rocsparseL16sddmm_csx_kernelILi512ELi2EL20rocsparse_direction_0EDF16_iiDF16_DF16_DF16_EEv20rocsparse_operation_S2_16rocsparse_order_S3_T4_S4_S4_T3_NS_24const_host_device_scalarIT2_EEPKT5_lPKT6_lS8_PT7_PKS5_PKS4_21rocsparse_index_base_b,"axG",@progbits,_ZN9rocsparseL16sddmm_csx_kernelILi512ELi2EL20rocsparse_direction_0EDF16_iiDF16_DF16_DF16_EEv20rocsparse_operation_S2_16rocsparse_order_S3_T4_S4_S4_T3_NS_24const_host_device_scalarIT2_EEPKT5_lPKT6_lS8_PT7_PKS5_PKS4_21rocsparse_index_base_b,comdat
.Lfunc_end13:
	.size	_ZN9rocsparseL16sddmm_csx_kernelILi512ELi2EL20rocsparse_direction_0EDF16_iiDF16_DF16_DF16_EEv20rocsparse_operation_S2_16rocsparse_order_S3_T4_S4_S4_T3_NS_24const_host_device_scalarIT2_EEPKT5_lPKT6_lS8_PT7_PKS5_PKS4_21rocsparse_index_base_b, .Lfunc_end13-_ZN9rocsparseL16sddmm_csx_kernelILi512ELi2EL20rocsparse_direction_0EDF16_iiDF16_DF16_DF16_EEv20rocsparse_operation_S2_16rocsparse_order_S3_T4_S4_S4_T3_NS_24const_host_device_scalarIT2_EEPKT5_lPKT6_lS8_PT7_PKS5_PKS4_21rocsparse_index_base_b
                                        ; -- End function
	.set _ZN9rocsparseL16sddmm_csx_kernelILi512ELi2EL20rocsparse_direction_0EDF16_iiDF16_DF16_DF16_EEv20rocsparse_operation_S2_16rocsparse_order_S3_T4_S4_S4_T3_NS_24const_host_device_scalarIT2_EEPKT5_lPKT6_lS8_PT7_PKS5_PKS4_21rocsparse_index_base_b.num_vgpr, 20
	.set _ZN9rocsparseL16sddmm_csx_kernelILi512ELi2EL20rocsparse_direction_0EDF16_iiDF16_DF16_DF16_EEv20rocsparse_operation_S2_16rocsparse_order_S3_T4_S4_S4_T3_NS_24const_host_device_scalarIT2_EEPKT5_lPKT6_lS8_PT7_PKS5_PKS4_21rocsparse_index_base_b.num_agpr, 0
	.set _ZN9rocsparseL16sddmm_csx_kernelILi512ELi2EL20rocsparse_direction_0EDF16_iiDF16_DF16_DF16_EEv20rocsparse_operation_S2_16rocsparse_order_S3_T4_S4_S4_T3_NS_24const_host_device_scalarIT2_EEPKT5_lPKT6_lS8_PT7_PKS5_PKS4_21rocsparse_index_base_b.numbered_sgpr, 28
	.set _ZN9rocsparseL16sddmm_csx_kernelILi512ELi2EL20rocsparse_direction_0EDF16_iiDF16_DF16_DF16_EEv20rocsparse_operation_S2_16rocsparse_order_S3_T4_S4_S4_T3_NS_24const_host_device_scalarIT2_EEPKT5_lPKT6_lS8_PT7_PKS5_PKS4_21rocsparse_index_base_b.num_named_barrier, 0
	.set _ZN9rocsparseL16sddmm_csx_kernelILi512ELi2EL20rocsparse_direction_0EDF16_iiDF16_DF16_DF16_EEv20rocsparse_operation_S2_16rocsparse_order_S3_T4_S4_S4_T3_NS_24const_host_device_scalarIT2_EEPKT5_lPKT6_lS8_PT7_PKS5_PKS4_21rocsparse_index_base_b.private_seg_size, 0
	.set _ZN9rocsparseL16sddmm_csx_kernelILi512ELi2EL20rocsparse_direction_0EDF16_iiDF16_DF16_DF16_EEv20rocsparse_operation_S2_16rocsparse_order_S3_T4_S4_S4_T3_NS_24const_host_device_scalarIT2_EEPKT5_lPKT6_lS8_PT7_PKS5_PKS4_21rocsparse_index_base_b.uses_vcc, 1
	.set _ZN9rocsparseL16sddmm_csx_kernelILi512ELi2EL20rocsparse_direction_0EDF16_iiDF16_DF16_DF16_EEv20rocsparse_operation_S2_16rocsparse_order_S3_T4_S4_S4_T3_NS_24const_host_device_scalarIT2_EEPKT5_lPKT6_lS8_PT7_PKS5_PKS4_21rocsparse_index_base_b.uses_flat_scratch, 0
	.set _ZN9rocsparseL16sddmm_csx_kernelILi512ELi2EL20rocsparse_direction_0EDF16_iiDF16_DF16_DF16_EEv20rocsparse_operation_S2_16rocsparse_order_S3_T4_S4_S4_T3_NS_24const_host_device_scalarIT2_EEPKT5_lPKT6_lS8_PT7_PKS5_PKS4_21rocsparse_index_base_b.has_dyn_sized_stack, 0
	.set _ZN9rocsparseL16sddmm_csx_kernelILi512ELi2EL20rocsparse_direction_0EDF16_iiDF16_DF16_DF16_EEv20rocsparse_operation_S2_16rocsparse_order_S3_T4_S4_S4_T3_NS_24const_host_device_scalarIT2_EEPKT5_lPKT6_lS8_PT7_PKS5_PKS4_21rocsparse_index_base_b.has_recursion, 0
	.set _ZN9rocsparseL16sddmm_csx_kernelILi512ELi2EL20rocsparse_direction_0EDF16_iiDF16_DF16_DF16_EEv20rocsparse_operation_S2_16rocsparse_order_S3_T4_S4_S4_T3_NS_24const_host_device_scalarIT2_EEPKT5_lPKT6_lS8_PT7_PKS5_PKS4_21rocsparse_index_base_b.has_indirect_call, 0
	.section	.AMDGPU.csdata,"",@progbits
; Kernel info:
; codeLenInByte = 1032
; TotalNumSgprs: 34
; NumVgprs: 20
; NumAgprs: 0
; TotalNumVgprs: 20
; ScratchSize: 0
; MemoryBound: 0
; FloatMode: 240
; IeeeMode: 1
; LDSByteSize: 1024 bytes/workgroup (compile time only)
; SGPRBlocks: 4
; VGPRBlocks: 2
; NumSGPRsForWavesPerEU: 34
; NumVGPRsForWavesPerEU: 20
; AccumOffset: 20
; Occupancy: 8
; WaveLimiterHint : 0
; COMPUTE_PGM_RSRC2:SCRATCH_EN: 0
; COMPUTE_PGM_RSRC2:USER_SGPR: 2
; COMPUTE_PGM_RSRC2:TRAP_HANDLER: 0
; COMPUTE_PGM_RSRC2:TGID_X_EN: 1
; COMPUTE_PGM_RSRC2:TGID_Y_EN: 0
; COMPUTE_PGM_RSRC2:TGID_Z_EN: 0
; COMPUTE_PGM_RSRC2:TIDIG_COMP_CNT: 0
; COMPUTE_PGM_RSRC3_GFX90A:ACCUM_OFFSET: 4
; COMPUTE_PGM_RSRC3_GFX90A:TG_SPLIT: 0
	.section	.text._ZN9rocsparseL16sddmm_csx_kernelILi512ELi1EL20rocsparse_direction_0EDF16_iiDF16_DF16_DF16_EEv20rocsparse_operation_S2_16rocsparse_order_S3_T4_S4_S4_T3_NS_24const_host_device_scalarIT2_EEPKT5_lPKT6_lS8_PT7_PKS5_PKS4_21rocsparse_index_base_b,"axG",@progbits,_ZN9rocsparseL16sddmm_csx_kernelILi512ELi1EL20rocsparse_direction_0EDF16_iiDF16_DF16_DF16_EEv20rocsparse_operation_S2_16rocsparse_order_S3_T4_S4_S4_T3_NS_24const_host_device_scalarIT2_EEPKT5_lPKT6_lS8_PT7_PKS5_PKS4_21rocsparse_index_base_b,comdat
	.globl	_ZN9rocsparseL16sddmm_csx_kernelILi512ELi1EL20rocsparse_direction_0EDF16_iiDF16_DF16_DF16_EEv20rocsparse_operation_S2_16rocsparse_order_S3_T4_S4_S4_T3_NS_24const_host_device_scalarIT2_EEPKT5_lPKT6_lS8_PT7_PKS5_PKS4_21rocsparse_index_base_b ; -- Begin function _ZN9rocsparseL16sddmm_csx_kernelILi512ELi1EL20rocsparse_direction_0EDF16_iiDF16_DF16_DF16_EEv20rocsparse_operation_S2_16rocsparse_order_S3_T4_S4_S4_T3_NS_24const_host_device_scalarIT2_EEPKT5_lPKT6_lS8_PT7_PKS5_PKS4_21rocsparse_index_base_b
	.p2align	8
	.type	_ZN9rocsparseL16sddmm_csx_kernelILi512ELi1EL20rocsparse_direction_0EDF16_iiDF16_DF16_DF16_EEv20rocsparse_operation_S2_16rocsparse_order_S3_T4_S4_S4_T3_NS_24const_host_device_scalarIT2_EEPKT5_lPKT6_lS8_PT7_PKS5_PKS4_21rocsparse_index_base_b,@function
_ZN9rocsparseL16sddmm_csx_kernelILi512ELi1EL20rocsparse_direction_0EDF16_iiDF16_DF16_DF16_EEv20rocsparse_operation_S2_16rocsparse_order_S3_T4_S4_S4_T3_NS_24const_host_device_scalarIT2_EEPKT5_lPKT6_lS8_PT7_PKS5_PKS4_21rocsparse_index_base_b: ; @_ZN9rocsparseL16sddmm_csx_kernelILi512ELi1EL20rocsparse_direction_0EDF16_iiDF16_DF16_DF16_EEv20rocsparse_operation_S2_16rocsparse_order_S3_T4_S4_S4_T3_NS_24const_host_device_scalarIT2_EEPKT5_lPKT6_lS8_PT7_PKS5_PKS4_21rocsparse_index_base_b
; %bb.0:
	s_load_dwordx2 s[12:13], s[0:1], 0x68
	s_load_dwordx2 s[6:7], s[0:1], 0x20
	s_load_dwordx4 s[8:11], s[0:1], 0x40
	s_waitcnt lgkmcnt(0)
	s_bitcmp1_b32 s13, 0
	s_cselect_b64 s[14:15], -1, 0
	s_xor_b64 s[4:5], s[14:15], -1
	s_and_b64 vcc, exec, s[14:15]
	v_mov_b32_e32 v8, s6
	s_cbranch_vccnz .LBB14_2
; %bb.1:
	v_mov_b32_e32 v1, 0
	global_load_ushort v8, v1, s[6:7]
.LBB14_2:
	s_andn2_b64 vcc, exec, s[4:5]
	v_mov_b32_e32 v9, s10
	s_cbranch_vccnz .LBB14_4
; %bb.3:
	v_mov_b32_e32 v1, 0
	global_load_ushort v9, v1, s[10:11]
.LBB14_4:
	s_waitcnt vmcnt(0)
	v_cmp_eq_f16_e32 vcc, 0, v8
	v_cmp_eq_f16_e64 s[4:5], 1.0, v9
	s_and_b64 s[4:5], vcc, s[4:5]
	s_and_b64 vcc, exec, s[4:5]
	s_cbranch_vccnz .LBB14_28
; %bb.5:
	s_load_dword s3, s[0:1], 0x10
	v_lshl_or_b32 v2, s2, 9, v0
	s_waitcnt lgkmcnt(0)
	v_cmp_gt_i32_e32 vcc, s3, v2
	s_and_saveexec_b64 s[2:3], vcc
	s_cbranch_execz .LBB14_28
; %bb.6:
	s_load_dwordx4 s[4:7], s[0:1], 0x0
	s_load_dwordx2 s[10:11], s[0:1], 0x58
	s_load_dwordx2 s[2:3], s[0:1], 0x30
	v_ashrrev_i32_e32 v3, 31, v2
	s_waitcnt lgkmcnt(0)
	s_cmp_eq_u32 s6, 1
	s_cselect_b64 s[18:19], -1, 0
	s_cmpk_eq_i32 s4, 0x6f
	s_cselect_b64 s[20:21], -1, 0
	s_cmpk_lg_i32 s4, 0x6f
	s_cselect_b64 s[14:15], -1, 0
	s_cmp_lg_u32 s6, 1
	s_cbranch_scc0 .LBB14_10
; %bb.7:
	s_andn2_b64 vcc, exec, s[20:21]
	v_mov_b64_e32 v[4:5], v[2:3]
	s_cbranch_vccnz .LBB14_9
; %bb.8:
	v_mul_lo_u32 v1, s3, v2
	v_mul_lo_u32 v6, s2, v3
	v_mad_u64_u32 v[4:5], s[16:17], s2, v2, 0
	v_add3_u32 v5, v5, v6, v1
.LBB14_9:
	s_cbranch_execz .LBB14_11
	s_branch .LBB14_13
.LBB14_10:
                                        ; implicit-def: $vgpr4_vgpr5
.LBB14_11:
	s_andn2_b64 vcc, exec, s[14:15]
	v_mov_b64_e32 v[4:5], v[2:3]
	s_cbranch_vccnz .LBB14_13
; %bb.12:
	v_mul_lo_u32 v1, s3, v2
	v_mul_lo_u32 v6, s2, v3
	v_mad_u64_u32 v[4:5], s[14:15], s2, v2, 0
	v_add3_u32 v5, v5, v6, v1
.LBB14_13:
	v_lshl_add_u64 v[2:3], v[2:3], 2, s[10:11]
	global_load_dwordx2 v[6:7], v[2:3], off
	s_waitcnt vmcnt(0)
	v_cmp_lt_i32_e32 vcc, v6, v7
	s_and_b64 exec, exec, vcc
	s_cbranch_execz .LBB14_28
; %bb.14:
	s_load_dwordx2 s[22:23], s[0:1], 0x28
	s_load_dwordx2 s[10:11], s[0:1], 0x60
	;; [unrolled: 1-line block ×4, first 2 shown]
	s_load_dword s13, s[0:1], 0x18
	s_xor_b64 s[0:1], s[20:21], s[18:19]
	s_and_b64 s[0:1], s[0:1], exec
	s_cselect_b32 s1, 0, s3
	s_cselect_b32 s0, 1, s2
	s_cmp_lg_u32 s7, 1
	s_cselect_b64 s[18:19], -1, 0
	s_cmp_eq_u32 s7, 1
	s_cselect_b64 s[2:3], -1, 0
	s_cmpk_eq_i32 s5, 0x6f
	s_cselect_b64 s[6:7], -1, 0
	s_cmpk_lg_i32 s5, 0x6f
	s_cselect_b64 s[4:5], -1, 0
	s_xor_b64 s[2:3], s[6:7], s[2:3]
	s_and_b64 s[2:3], s[2:3], exec
	s_cselect_b32 s3, s9, 0
	s_cselect_b32 s2, s8, 1
	s_waitcnt lgkmcnt(0)
	s_cmp_gt_i32 s13, 0
	s_cselect_b64 s[24:25], -1, 0
	v_lshlrev_b32_e32 v10, 1, v0
	v_cndmask_b32_e64 v0, 0, 1, s[4:5]
	v_cndmask_b32_e64 v1, 0, 1, s[6:7]
	s_lshl_b64 s[6:7], s[0:1], 1
	v_cmp_ne_u32_e64 s[0:1], 1, v0
	v_cndmask_b32_e64 v0, 0, 1, s[24:25]
	v_lshl_add_u64 v[2:3], v[4:5], 1, s[22:23]
	v_subrev_u32_e32 v4, s12, v6
	v_subrev_u32_e32 v11, s12, v7
	s_lshl_b64 s[20:21], s[2:3], 1
	s_mov_b64 s[22:23], 0
	v_cmp_ne_u32_e64 s[2:3], 1, v1
	v_cmp_ne_u32_e64 s[4:5], 1, v0
	s_branch .LBB14_17
.LBB14_15:                              ;   in Loop: Header=BB14_17 Depth=1
	v_mov_b32_e32 v12, 0
.LBB14_16:                              ;   in Loop: Header=BB14_17 Depth=1
	v_lshl_add_u64 v[0:1], v[4:5], 1, s[16:17]
	ds_write_b16 v10, v12
	s_waitcnt lgkmcnt(0)
	s_barrier
	global_load_ushort v5, v[0:1], off
	ds_read_u16 v6, v10
	v_add_u32_e32 v4, 1, v4
	v_cmp_ge_i32_e32 vcc, v4, v11
	s_or_b64 s[22:23], vcc, s[22:23]
	s_waitcnt lgkmcnt(0)
	v_mul_f16_e32 v6, v8, v6
	s_waitcnt vmcnt(0)
	v_fma_f16 v5, v9, v5, v6
	global_store_short v[0:1], v5, off
	s_andn2_b64 exec, exec, s[22:23]
	s_cbranch_execz .LBB14_28
.LBB14_17:                              ; =>This Loop Header: Depth=1
                                        ;     Child Loop BB14_27 Depth 2
	v_ashrrev_i32_e32 v5, 31, v4
	v_lshl_add_u64 v[0:1], v[4:5], 2, s[10:11]
	global_load_dword v0, v[0:1], off
	s_mov_b64 s[24:25], -1
	s_and_b64 vcc, exec, s[18:19]
                                        ; implicit-def: $vgpr6_vgpr7
	s_waitcnt vmcnt(0)
	v_subrev_u32_e32 v0, s12, v0
	v_ashrrev_i32_e32 v1, 31, v0
	s_cbranch_vccnz .LBB14_20
; %bb.18:                               ;   in Loop: Header=BB14_17 Depth=1
	s_andn2_b64 vcc, exec, s[24:25]
	s_cbranch_vccz .LBB14_23
.LBB14_19:                              ;   in Loop: Header=BB14_17 Depth=1
	s_and_b64 vcc, exec, s[4:5]
	s_cbranch_vccz .LBB14_26
	s_branch .LBB14_15
.LBB14_20:                              ;   in Loop: Header=BB14_17 Depth=1
	s_and_b64 vcc, exec, s[0:1]
	v_mov_b64_e32 v[6:7], v[0:1]
	s_cbranch_vccnz .LBB14_22
; %bb.21:                               ;   in Loop: Header=BB14_17 Depth=1
	v_mul_lo_u32 v12, s9, v0
	v_mul_lo_u32 v13, s8, v1
	v_mad_u64_u32 v[6:7], s[24:25], s8, v0, 0
	v_add3_u32 v7, v7, v13, v12
.LBB14_22:                              ;   in Loop: Header=BB14_17 Depth=1
	s_cbranch_execnz .LBB14_19
.LBB14_23:                              ;   in Loop: Header=BB14_17 Depth=1
	s_and_b64 vcc, exec, s[2:3]
	s_cbranch_vccnz .LBB14_25
; %bb.24:                               ;   in Loop: Header=BB14_17 Depth=1
	v_mul_lo_u32 v6, s9, v0
	v_mul_lo_u32 v7, s8, v1
	v_mad_u64_u32 v[0:1], s[24:25], s8, v0, 0
	v_add3_u32 v1, v1, v7, v6
.LBB14_25:                              ;   in Loop: Header=BB14_17 Depth=1
	v_mov_b64_e32 v[6:7], v[0:1]
	s_and_b64 vcc, exec, s[4:5]
	s_cbranch_vccnz .LBB14_15
.LBB14_26:                              ;   in Loop: Header=BB14_17 Depth=1
	v_lshl_add_u64 v[0:1], v[6:7], 1, s[14:15]
	v_mov_b32_e32 v12, 0
	v_mov_b64_e32 v[6:7], v[2:3]
	s_mov_b32 s24, s13
.LBB14_27:                              ;   Parent Loop BB14_17 Depth=1
                                        ; =>  This Inner Loop Header: Depth=2
	global_load_ushort v13, v[6:7], off
	global_load_ushort v14, v[0:1], off
	s_add_i32 s24, s24, -1
	v_lshl_add_u64 v[6:7], v[6:7], 0, s[6:7]
	v_lshl_add_u64 v[0:1], v[0:1], 0, s[20:21]
	s_cmp_eq_u32 s24, 0
	s_waitcnt vmcnt(0)
	v_fma_f16 v12, v13, v14, v12
	s_cbranch_scc0 .LBB14_27
	s_branch .LBB14_16
.LBB14_28:
	s_endpgm
	.section	.rodata,"a",@progbits
	.p2align	6, 0x0
	.amdhsa_kernel _ZN9rocsparseL16sddmm_csx_kernelILi512ELi1EL20rocsparse_direction_0EDF16_iiDF16_DF16_DF16_EEv20rocsparse_operation_S2_16rocsparse_order_S3_T4_S4_S4_T3_NS_24const_host_device_scalarIT2_EEPKT5_lPKT6_lS8_PT7_PKS5_PKS4_21rocsparse_index_base_b
		.amdhsa_group_segment_fixed_size 1024
		.amdhsa_private_segment_fixed_size 0
		.amdhsa_kernarg_size 112
		.amdhsa_user_sgpr_count 2
		.amdhsa_user_sgpr_dispatch_ptr 0
		.amdhsa_user_sgpr_queue_ptr 0
		.amdhsa_user_sgpr_kernarg_segment_ptr 1
		.amdhsa_user_sgpr_dispatch_id 0
		.amdhsa_user_sgpr_kernarg_preload_length 0
		.amdhsa_user_sgpr_kernarg_preload_offset 0
		.amdhsa_user_sgpr_private_segment_size 0
		.amdhsa_uses_dynamic_stack 0
		.amdhsa_enable_private_segment 0
		.amdhsa_system_sgpr_workgroup_id_x 1
		.amdhsa_system_sgpr_workgroup_id_y 0
		.amdhsa_system_sgpr_workgroup_id_z 0
		.amdhsa_system_sgpr_workgroup_info 0
		.amdhsa_system_vgpr_workitem_id 0
		.amdhsa_next_free_vgpr 15
		.amdhsa_next_free_sgpr 26
		.amdhsa_accum_offset 16
		.amdhsa_reserve_vcc 1
		.amdhsa_float_round_mode_32 0
		.amdhsa_float_round_mode_16_64 0
		.amdhsa_float_denorm_mode_32 3
		.amdhsa_float_denorm_mode_16_64 3
		.amdhsa_dx10_clamp 1
		.amdhsa_ieee_mode 1
		.amdhsa_fp16_overflow 0
		.amdhsa_tg_split 0
		.amdhsa_exception_fp_ieee_invalid_op 0
		.amdhsa_exception_fp_denorm_src 0
		.amdhsa_exception_fp_ieee_div_zero 0
		.amdhsa_exception_fp_ieee_overflow 0
		.amdhsa_exception_fp_ieee_underflow 0
		.amdhsa_exception_fp_ieee_inexact 0
		.amdhsa_exception_int_div_zero 0
	.end_amdhsa_kernel
	.section	.text._ZN9rocsparseL16sddmm_csx_kernelILi512ELi1EL20rocsparse_direction_0EDF16_iiDF16_DF16_DF16_EEv20rocsparse_operation_S2_16rocsparse_order_S3_T4_S4_S4_T3_NS_24const_host_device_scalarIT2_EEPKT5_lPKT6_lS8_PT7_PKS5_PKS4_21rocsparse_index_base_b,"axG",@progbits,_ZN9rocsparseL16sddmm_csx_kernelILi512ELi1EL20rocsparse_direction_0EDF16_iiDF16_DF16_DF16_EEv20rocsparse_operation_S2_16rocsparse_order_S3_T4_S4_S4_T3_NS_24const_host_device_scalarIT2_EEPKT5_lPKT6_lS8_PT7_PKS5_PKS4_21rocsparse_index_base_b,comdat
.Lfunc_end14:
	.size	_ZN9rocsparseL16sddmm_csx_kernelILi512ELi1EL20rocsparse_direction_0EDF16_iiDF16_DF16_DF16_EEv20rocsparse_operation_S2_16rocsparse_order_S3_T4_S4_S4_T3_NS_24const_host_device_scalarIT2_EEPKT5_lPKT6_lS8_PT7_PKS5_PKS4_21rocsparse_index_base_b, .Lfunc_end14-_ZN9rocsparseL16sddmm_csx_kernelILi512ELi1EL20rocsparse_direction_0EDF16_iiDF16_DF16_DF16_EEv20rocsparse_operation_S2_16rocsparse_order_S3_T4_S4_S4_T3_NS_24const_host_device_scalarIT2_EEPKT5_lPKT6_lS8_PT7_PKS5_PKS4_21rocsparse_index_base_b
                                        ; -- End function
	.set _ZN9rocsparseL16sddmm_csx_kernelILi512ELi1EL20rocsparse_direction_0EDF16_iiDF16_DF16_DF16_EEv20rocsparse_operation_S2_16rocsparse_order_S3_T4_S4_S4_T3_NS_24const_host_device_scalarIT2_EEPKT5_lPKT6_lS8_PT7_PKS5_PKS4_21rocsparse_index_base_b.num_vgpr, 15
	.set _ZN9rocsparseL16sddmm_csx_kernelILi512ELi1EL20rocsparse_direction_0EDF16_iiDF16_DF16_DF16_EEv20rocsparse_operation_S2_16rocsparse_order_S3_T4_S4_S4_T3_NS_24const_host_device_scalarIT2_EEPKT5_lPKT6_lS8_PT7_PKS5_PKS4_21rocsparse_index_base_b.num_agpr, 0
	.set _ZN9rocsparseL16sddmm_csx_kernelILi512ELi1EL20rocsparse_direction_0EDF16_iiDF16_DF16_DF16_EEv20rocsparse_operation_S2_16rocsparse_order_S3_T4_S4_S4_T3_NS_24const_host_device_scalarIT2_EEPKT5_lPKT6_lS8_PT7_PKS5_PKS4_21rocsparse_index_base_b.numbered_sgpr, 26
	.set _ZN9rocsparseL16sddmm_csx_kernelILi512ELi1EL20rocsparse_direction_0EDF16_iiDF16_DF16_DF16_EEv20rocsparse_operation_S2_16rocsparse_order_S3_T4_S4_S4_T3_NS_24const_host_device_scalarIT2_EEPKT5_lPKT6_lS8_PT7_PKS5_PKS4_21rocsparse_index_base_b.num_named_barrier, 0
	.set _ZN9rocsparseL16sddmm_csx_kernelILi512ELi1EL20rocsparse_direction_0EDF16_iiDF16_DF16_DF16_EEv20rocsparse_operation_S2_16rocsparse_order_S3_T4_S4_S4_T3_NS_24const_host_device_scalarIT2_EEPKT5_lPKT6_lS8_PT7_PKS5_PKS4_21rocsparse_index_base_b.private_seg_size, 0
	.set _ZN9rocsparseL16sddmm_csx_kernelILi512ELi1EL20rocsparse_direction_0EDF16_iiDF16_DF16_DF16_EEv20rocsparse_operation_S2_16rocsparse_order_S3_T4_S4_S4_T3_NS_24const_host_device_scalarIT2_EEPKT5_lPKT6_lS8_PT7_PKS5_PKS4_21rocsparse_index_base_b.uses_vcc, 1
	.set _ZN9rocsparseL16sddmm_csx_kernelILi512ELi1EL20rocsparse_direction_0EDF16_iiDF16_DF16_DF16_EEv20rocsparse_operation_S2_16rocsparse_order_S3_T4_S4_S4_T3_NS_24const_host_device_scalarIT2_EEPKT5_lPKT6_lS8_PT7_PKS5_PKS4_21rocsparse_index_base_b.uses_flat_scratch, 0
	.set _ZN9rocsparseL16sddmm_csx_kernelILi512ELi1EL20rocsparse_direction_0EDF16_iiDF16_DF16_DF16_EEv20rocsparse_operation_S2_16rocsparse_order_S3_T4_S4_S4_T3_NS_24const_host_device_scalarIT2_EEPKT5_lPKT6_lS8_PT7_PKS5_PKS4_21rocsparse_index_base_b.has_dyn_sized_stack, 0
	.set _ZN9rocsparseL16sddmm_csx_kernelILi512ELi1EL20rocsparse_direction_0EDF16_iiDF16_DF16_DF16_EEv20rocsparse_operation_S2_16rocsparse_order_S3_T4_S4_S4_T3_NS_24const_host_device_scalarIT2_EEPKT5_lPKT6_lS8_PT7_PKS5_PKS4_21rocsparse_index_base_b.has_recursion, 0
	.set _ZN9rocsparseL16sddmm_csx_kernelILi512ELi1EL20rocsparse_direction_0EDF16_iiDF16_DF16_DF16_EEv20rocsparse_operation_S2_16rocsparse_order_S3_T4_S4_S4_T3_NS_24const_host_device_scalarIT2_EEPKT5_lPKT6_lS8_PT7_PKS5_PKS4_21rocsparse_index_base_b.has_indirect_call, 0
	.section	.AMDGPU.csdata,"",@progbits
; Kernel info:
; codeLenInByte = 880
; TotalNumSgprs: 32
; NumVgprs: 15
; NumAgprs: 0
; TotalNumVgprs: 15
; ScratchSize: 0
; MemoryBound: 0
; FloatMode: 240
; IeeeMode: 1
; LDSByteSize: 1024 bytes/workgroup (compile time only)
; SGPRBlocks: 3
; VGPRBlocks: 1
; NumSGPRsForWavesPerEU: 32
; NumVGPRsForWavesPerEU: 15
; AccumOffset: 16
; Occupancy: 8
; WaveLimiterHint : 0
; COMPUTE_PGM_RSRC2:SCRATCH_EN: 0
; COMPUTE_PGM_RSRC2:USER_SGPR: 2
; COMPUTE_PGM_RSRC2:TRAP_HANDLER: 0
; COMPUTE_PGM_RSRC2:TGID_X_EN: 1
; COMPUTE_PGM_RSRC2:TGID_Y_EN: 0
; COMPUTE_PGM_RSRC2:TGID_Z_EN: 0
; COMPUTE_PGM_RSRC2:TIDIG_COMP_CNT: 0
; COMPUTE_PGM_RSRC3_GFX90A:ACCUM_OFFSET: 3
; COMPUTE_PGM_RSRC3_GFX90A:TG_SPLIT: 0
	.section	.text._ZN9rocsparseL16csr2dense_kernelILi16ELi32EiifEEviT2_S1_PKT3_PKT1_PKS1_PS2_l16rocsparse_order_,"axG",@progbits,_ZN9rocsparseL16csr2dense_kernelILi16ELi32EiifEEviT2_S1_PKT3_PKT1_PKS1_PS2_l16rocsparse_order_,comdat
	.globl	_ZN9rocsparseL16csr2dense_kernelILi16ELi32EiifEEviT2_S1_PKT3_PKT1_PKS1_PS2_l16rocsparse_order_ ; -- Begin function _ZN9rocsparseL16csr2dense_kernelILi16ELi32EiifEEviT2_S1_PKT3_PKT1_PKS1_PS2_l16rocsparse_order_
	.p2align	8
	.type	_ZN9rocsparseL16csr2dense_kernelILi16ELi32EiifEEviT2_S1_PKT3_PKT1_PKS1_PS2_l16rocsparse_order_,@function
_ZN9rocsparseL16csr2dense_kernelILi16ELi32EiifEEviT2_S1_PKT3_PKT1_PKS1_PS2_l16rocsparse_order_: ; @_ZN9rocsparseL16csr2dense_kernelILi16ELi32EiifEEviT2_S1_PKT3_PKT1_PKS1_PS2_l16rocsparse_order_
; %bb.0:
	s_load_dwordx2 s[8:9], s[0:1], 0x0
	v_lshrrev_b32_e32 v1, 5, v0
	v_lshl_or_b32 v2, s2, 4, v1
	s_waitcnt lgkmcnt(0)
	v_cmp_gt_i32_e32 vcc, s9, v2
	s_and_saveexec_b64 s[2:3], vcc
	s_cbranch_execz .LBB15_8
; %bb.1:
	s_load_dwordx2 s[2:3], s[0:1], 0x18
	v_ashrrev_i32_e32 v3, 31, v2
	v_and_b32_e32 v6, 31, v0
	s_waitcnt lgkmcnt(0)
	v_lshl_add_u64 v[4:5], v[2:3], 2, s[2:3]
	global_load_dwordx2 v[4:5], v[4:5], off
	s_waitcnt vmcnt(0)
	v_sub_u32_e32 v7, v5, v4
	v_cmp_lt_i32_e32 vcc, v6, v7
	s_and_b64 exec, exec, vcc
	s_cbranch_execz .LBB15_8
; %bb.2:
	s_load_dwordx4 s[4:7], s[0:1], 0x20
	s_load_dword s9, s[0:1], 0x38
	s_load_dwordx2 s[2:3], s[0:1], 0x10
	s_load_dwordx2 s[10:11], s[0:1], 0x30
	v_subrev_u32_e32 v8, s8, v4
	s_waitcnt lgkmcnt(0)
	v_lshl_add_u64 v[0:1], v[2:3], 2, s[6:7]
	s_cmp_lg_u32 s9, 1
	s_cselect_b64 s[0:1], -1, 0
	v_mul_lo_u32 v4, s11, v2
	v_mul_lo_u32 v5, s10, v3
	v_mad_u64_u32 v[2:3], s[12:13], s10, v2, 0
	v_add3_u32 v3, v3, v5, v4
	v_lshl_add_u64 v[2:3], v[2:3], 2, s[6:7]
	s_mov_b64 s[6:7], 0
	s_branch .LBB15_4
.LBB15_3:                               ;   in Loop: Header=BB15_4 Depth=1
	v_add_u32_e32 v6, 32, v6
	v_cmp_ge_i32_e32 vcc, v6, v7
	s_or_b64 s[6:7], vcc, s[6:7]
	s_andn2_b64 exec, exec, s[6:7]
	s_cbranch_execz .LBB15_8
.LBB15_4:                               ; =>This Inner Loop Header: Depth=1
	v_add_u32_e32 v4, v8, v6
	v_ashrrev_i32_e32 v5, 31, v4
	v_lshlrev_b64 v[4:5], 2, v[4:5]
	v_lshl_add_u64 v[10:11], s[4:5], 0, v[4:5]
	s_barrier
	global_load_dword v10, v[10:11], off
	v_lshl_add_u64 v[4:5], s[2:3], 0, v[4:5]
	global_load_dword v9, v[4:5], off
	s_mov_b64 s[12:13], -1
	s_and_b64 vcc, exec, s[0:1]
	s_waitcnt vmcnt(1)
	v_subrev_u32_e32 v4, s8, v10
	v_ashrrev_i32_e32 v5, 31, v4
	s_cbranch_vccz .LBB15_6
; %bb.5:                                ;   in Loop: Header=BB15_4 Depth=1
	v_lshl_add_u64 v[10:11], v[4:5], 2, v[2:3]
	s_waitcnt vmcnt(0)
	global_store_dword v[10:11], v9, off
	s_mov_b64 s[12:13], 0
.LBB15_6:                               ;   in Loop: Header=BB15_4 Depth=1
	s_andn2_b64 vcc, exec, s[12:13]
	s_cbranch_vccnz .LBB15_3
; %bb.7:                                ;   in Loop: Header=BB15_4 Depth=1
	v_mul_lo_u32 v10, s11, v4
	v_mul_lo_u32 v11, s10, v5
	v_mad_u64_u32 v[4:5], s[12:13], s10, v4, 0
	v_add3_u32 v5, v5, v11, v10
	v_lshl_add_u64 v[4:5], v[4:5], 2, v[0:1]
	s_waitcnt vmcnt(0)
	global_store_dword v[4:5], v9, off
	s_branch .LBB15_3
.LBB15_8:
	s_endpgm
	.section	.rodata,"a",@progbits
	.p2align	6, 0x0
	.amdhsa_kernel _ZN9rocsparseL16csr2dense_kernelILi16ELi32EiifEEviT2_S1_PKT3_PKT1_PKS1_PS2_l16rocsparse_order_
		.amdhsa_group_segment_fixed_size 0
		.amdhsa_private_segment_fixed_size 0
		.amdhsa_kernarg_size 60
		.amdhsa_user_sgpr_count 2
		.amdhsa_user_sgpr_dispatch_ptr 0
		.amdhsa_user_sgpr_queue_ptr 0
		.amdhsa_user_sgpr_kernarg_segment_ptr 1
		.amdhsa_user_sgpr_dispatch_id 0
		.amdhsa_user_sgpr_kernarg_preload_length 0
		.amdhsa_user_sgpr_kernarg_preload_offset 0
		.amdhsa_user_sgpr_private_segment_size 0
		.amdhsa_uses_dynamic_stack 0
		.amdhsa_enable_private_segment 0
		.amdhsa_system_sgpr_workgroup_id_x 1
		.amdhsa_system_sgpr_workgroup_id_y 0
		.amdhsa_system_sgpr_workgroup_id_z 0
		.amdhsa_system_sgpr_workgroup_info 0
		.amdhsa_system_vgpr_workitem_id 0
		.amdhsa_next_free_vgpr 12
		.amdhsa_next_free_sgpr 14
		.amdhsa_accum_offset 12
		.amdhsa_reserve_vcc 1
		.amdhsa_float_round_mode_32 0
		.amdhsa_float_round_mode_16_64 0
		.amdhsa_float_denorm_mode_32 3
		.amdhsa_float_denorm_mode_16_64 3
		.amdhsa_dx10_clamp 1
		.amdhsa_ieee_mode 1
		.amdhsa_fp16_overflow 0
		.amdhsa_tg_split 0
		.amdhsa_exception_fp_ieee_invalid_op 0
		.amdhsa_exception_fp_denorm_src 0
		.amdhsa_exception_fp_ieee_div_zero 0
		.amdhsa_exception_fp_ieee_overflow 0
		.amdhsa_exception_fp_ieee_underflow 0
		.amdhsa_exception_fp_ieee_inexact 0
		.amdhsa_exception_int_div_zero 0
	.end_amdhsa_kernel
	.section	.text._ZN9rocsparseL16csr2dense_kernelILi16ELi32EiifEEviT2_S1_PKT3_PKT1_PKS1_PS2_l16rocsparse_order_,"axG",@progbits,_ZN9rocsparseL16csr2dense_kernelILi16ELi32EiifEEviT2_S1_PKT3_PKT1_PKS1_PS2_l16rocsparse_order_,comdat
.Lfunc_end15:
	.size	_ZN9rocsparseL16csr2dense_kernelILi16ELi32EiifEEviT2_S1_PKT3_PKT1_PKS1_PS2_l16rocsparse_order_, .Lfunc_end15-_ZN9rocsparseL16csr2dense_kernelILi16ELi32EiifEEviT2_S1_PKT3_PKT1_PKS1_PS2_l16rocsparse_order_
                                        ; -- End function
	.set _ZN9rocsparseL16csr2dense_kernelILi16ELi32EiifEEviT2_S1_PKT3_PKT1_PKS1_PS2_l16rocsparse_order_.num_vgpr, 12
	.set _ZN9rocsparseL16csr2dense_kernelILi16ELi32EiifEEviT2_S1_PKT3_PKT1_PKS1_PS2_l16rocsparse_order_.num_agpr, 0
	.set _ZN9rocsparseL16csr2dense_kernelILi16ELi32EiifEEviT2_S1_PKT3_PKT1_PKS1_PS2_l16rocsparse_order_.numbered_sgpr, 14
	.set _ZN9rocsparseL16csr2dense_kernelILi16ELi32EiifEEviT2_S1_PKT3_PKT1_PKS1_PS2_l16rocsparse_order_.num_named_barrier, 0
	.set _ZN9rocsparseL16csr2dense_kernelILi16ELi32EiifEEviT2_S1_PKT3_PKT1_PKS1_PS2_l16rocsparse_order_.private_seg_size, 0
	.set _ZN9rocsparseL16csr2dense_kernelILi16ELi32EiifEEviT2_S1_PKT3_PKT1_PKS1_PS2_l16rocsparse_order_.uses_vcc, 1
	.set _ZN9rocsparseL16csr2dense_kernelILi16ELi32EiifEEviT2_S1_PKT3_PKT1_PKS1_PS2_l16rocsparse_order_.uses_flat_scratch, 0
	.set _ZN9rocsparseL16csr2dense_kernelILi16ELi32EiifEEviT2_S1_PKT3_PKT1_PKS1_PS2_l16rocsparse_order_.has_dyn_sized_stack, 0
	.set _ZN9rocsparseL16csr2dense_kernelILi16ELi32EiifEEviT2_S1_PKT3_PKT1_PKS1_PS2_l16rocsparse_order_.has_recursion, 0
	.set _ZN9rocsparseL16csr2dense_kernelILi16ELi32EiifEEviT2_S1_PKT3_PKT1_PKS1_PS2_l16rocsparse_order_.has_indirect_call, 0
	.section	.AMDGPU.csdata,"",@progbits
; Kernel info:
; codeLenInByte = 384
; TotalNumSgprs: 20
; NumVgprs: 12
; NumAgprs: 0
; TotalNumVgprs: 12
; ScratchSize: 0
; MemoryBound: 0
; FloatMode: 240
; IeeeMode: 1
; LDSByteSize: 0 bytes/workgroup (compile time only)
; SGPRBlocks: 2
; VGPRBlocks: 1
; NumSGPRsForWavesPerEU: 20
; NumVGPRsForWavesPerEU: 12
; AccumOffset: 12
; Occupancy: 8
; WaveLimiterHint : 1
; COMPUTE_PGM_RSRC2:SCRATCH_EN: 0
; COMPUTE_PGM_RSRC2:USER_SGPR: 2
; COMPUTE_PGM_RSRC2:TRAP_HANDLER: 0
; COMPUTE_PGM_RSRC2:TGID_X_EN: 1
; COMPUTE_PGM_RSRC2:TGID_Y_EN: 0
; COMPUTE_PGM_RSRC2:TGID_Z_EN: 0
; COMPUTE_PGM_RSRC2:TIDIG_COMP_CNT: 0
; COMPUTE_PGM_RSRC3_GFX90A:ACCUM_OFFSET: 2
; COMPUTE_PGM_RSRC3_GFX90A:TG_SPLIT: 0
	.section	.text._ZN9rocsparseL16csr2dense_kernelILi16ELi64EiifEEviT2_S1_PKT3_PKT1_PKS1_PS2_l16rocsparse_order_,"axG",@progbits,_ZN9rocsparseL16csr2dense_kernelILi16ELi64EiifEEviT2_S1_PKT3_PKT1_PKS1_PS2_l16rocsparse_order_,comdat
	.globl	_ZN9rocsparseL16csr2dense_kernelILi16ELi64EiifEEviT2_S1_PKT3_PKT1_PKS1_PS2_l16rocsparse_order_ ; -- Begin function _ZN9rocsparseL16csr2dense_kernelILi16ELi64EiifEEviT2_S1_PKT3_PKT1_PKS1_PS2_l16rocsparse_order_
	.p2align	8
	.type	_ZN9rocsparseL16csr2dense_kernelILi16ELi64EiifEEviT2_S1_PKT3_PKT1_PKS1_PS2_l16rocsparse_order_,@function
_ZN9rocsparseL16csr2dense_kernelILi16ELi64EiifEEviT2_S1_PKT3_PKT1_PKS1_PS2_l16rocsparse_order_: ; @_ZN9rocsparseL16csr2dense_kernelILi16ELi64EiifEEviT2_S1_PKT3_PKT1_PKS1_PS2_l16rocsparse_order_
; %bb.0:
	s_load_dwordx2 s[8:9], s[0:1], 0x0
	v_lshrrev_b32_e32 v1, 6, v0
	v_lshl_or_b32 v2, s2, 4, v1
	s_waitcnt lgkmcnt(0)
	v_cmp_gt_i32_e32 vcc, s9, v2
	s_and_saveexec_b64 s[2:3], vcc
	s_cbranch_execz .LBB16_8
; %bb.1:
	s_load_dwordx2 s[2:3], s[0:1], 0x18
	v_ashrrev_i32_e32 v3, 31, v2
	v_and_b32_e32 v6, 63, v0
	s_waitcnt lgkmcnt(0)
	v_lshl_add_u64 v[4:5], v[2:3], 2, s[2:3]
	global_load_dwordx2 v[4:5], v[4:5], off
	s_waitcnt vmcnt(0)
	v_sub_u32_e32 v7, v5, v4
	v_cmp_lt_i32_e32 vcc, v6, v7
	s_and_b64 exec, exec, vcc
	s_cbranch_execz .LBB16_8
; %bb.2:
	s_load_dwordx4 s[4:7], s[0:1], 0x20
	s_load_dword s9, s[0:1], 0x38
	s_load_dwordx2 s[2:3], s[0:1], 0x10
	s_load_dwordx2 s[10:11], s[0:1], 0x30
	v_subrev_u32_e32 v8, s8, v4
	s_waitcnt lgkmcnt(0)
	v_lshl_add_u64 v[0:1], v[2:3], 2, s[6:7]
	s_cmp_lg_u32 s9, 1
	s_cselect_b64 s[0:1], -1, 0
	v_mul_lo_u32 v4, s11, v2
	v_mul_lo_u32 v5, s10, v3
	v_mad_u64_u32 v[2:3], s[12:13], s10, v2, 0
	v_add3_u32 v3, v3, v5, v4
	v_lshl_add_u64 v[2:3], v[2:3], 2, s[6:7]
	s_mov_b64 s[6:7], 0
	s_branch .LBB16_4
.LBB16_3:                               ;   in Loop: Header=BB16_4 Depth=1
	v_add_u32_e32 v6, 64, v6
	v_cmp_ge_i32_e32 vcc, v6, v7
	s_or_b64 s[6:7], vcc, s[6:7]
	s_andn2_b64 exec, exec, s[6:7]
	s_cbranch_execz .LBB16_8
.LBB16_4:                               ; =>This Inner Loop Header: Depth=1
	v_add_u32_e32 v4, v8, v6
	v_ashrrev_i32_e32 v5, 31, v4
	v_lshlrev_b64 v[4:5], 2, v[4:5]
	v_lshl_add_u64 v[10:11], s[4:5], 0, v[4:5]
	s_barrier
	global_load_dword v10, v[10:11], off
	v_lshl_add_u64 v[4:5], s[2:3], 0, v[4:5]
	global_load_dword v9, v[4:5], off
	s_mov_b64 s[12:13], -1
	s_and_b64 vcc, exec, s[0:1]
	s_waitcnt vmcnt(1)
	v_subrev_u32_e32 v4, s8, v10
	v_ashrrev_i32_e32 v5, 31, v4
	s_cbranch_vccz .LBB16_6
; %bb.5:                                ;   in Loop: Header=BB16_4 Depth=1
	v_lshl_add_u64 v[10:11], v[4:5], 2, v[2:3]
	s_waitcnt vmcnt(0)
	global_store_dword v[10:11], v9, off
	s_mov_b64 s[12:13], 0
.LBB16_6:                               ;   in Loop: Header=BB16_4 Depth=1
	s_andn2_b64 vcc, exec, s[12:13]
	s_cbranch_vccnz .LBB16_3
; %bb.7:                                ;   in Loop: Header=BB16_4 Depth=1
	v_mul_lo_u32 v10, s11, v4
	v_mul_lo_u32 v11, s10, v5
	v_mad_u64_u32 v[4:5], s[12:13], s10, v4, 0
	v_add3_u32 v5, v5, v11, v10
	v_lshl_add_u64 v[4:5], v[4:5], 2, v[0:1]
	s_waitcnt vmcnt(0)
	global_store_dword v[4:5], v9, off
	s_branch .LBB16_3
.LBB16_8:
	s_endpgm
	.section	.rodata,"a",@progbits
	.p2align	6, 0x0
	.amdhsa_kernel _ZN9rocsparseL16csr2dense_kernelILi16ELi64EiifEEviT2_S1_PKT3_PKT1_PKS1_PS2_l16rocsparse_order_
		.amdhsa_group_segment_fixed_size 0
		.amdhsa_private_segment_fixed_size 0
		.amdhsa_kernarg_size 60
		.amdhsa_user_sgpr_count 2
		.amdhsa_user_sgpr_dispatch_ptr 0
		.amdhsa_user_sgpr_queue_ptr 0
		.amdhsa_user_sgpr_kernarg_segment_ptr 1
		.amdhsa_user_sgpr_dispatch_id 0
		.amdhsa_user_sgpr_kernarg_preload_length 0
		.amdhsa_user_sgpr_kernarg_preload_offset 0
		.amdhsa_user_sgpr_private_segment_size 0
		.amdhsa_uses_dynamic_stack 0
		.amdhsa_enable_private_segment 0
		.amdhsa_system_sgpr_workgroup_id_x 1
		.amdhsa_system_sgpr_workgroup_id_y 0
		.amdhsa_system_sgpr_workgroup_id_z 0
		.amdhsa_system_sgpr_workgroup_info 0
		.amdhsa_system_vgpr_workitem_id 0
		.amdhsa_next_free_vgpr 12
		.amdhsa_next_free_sgpr 14
		.amdhsa_accum_offset 12
		.amdhsa_reserve_vcc 1
		.amdhsa_float_round_mode_32 0
		.amdhsa_float_round_mode_16_64 0
		.amdhsa_float_denorm_mode_32 3
		.amdhsa_float_denorm_mode_16_64 3
		.amdhsa_dx10_clamp 1
		.amdhsa_ieee_mode 1
		.amdhsa_fp16_overflow 0
		.amdhsa_tg_split 0
		.amdhsa_exception_fp_ieee_invalid_op 0
		.amdhsa_exception_fp_denorm_src 0
		.amdhsa_exception_fp_ieee_div_zero 0
		.amdhsa_exception_fp_ieee_overflow 0
		.amdhsa_exception_fp_ieee_underflow 0
		.amdhsa_exception_fp_ieee_inexact 0
		.amdhsa_exception_int_div_zero 0
	.end_amdhsa_kernel
	.section	.text._ZN9rocsparseL16csr2dense_kernelILi16ELi64EiifEEviT2_S1_PKT3_PKT1_PKS1_PS2_l16rocsparse_order_,"axG",@progbits,_ZN9rocsparseL16csr2dense_kernelILi16ELi64EiifEEviT2_S1_PKT3_PKT1_PKS1_PS2_l16rocsparse_order_,comdat
.Lfunc_end16:
	.size	_ZN9rocsparseL16csr2dense_kernelILi16ELi64EiifEEviT2_S1_PKT3_PKT1_PKS1_PS2_l16rocsparse_order_, .Lfunc_end16-_ZN9rocsparseL16csr2dense_kernelILi16ELi64EiifEEviT2_S1_PKT3_PKT1_PKS1_PS2_l16rocsparse_order_
                                        ; -- End function
	.set _ZN9rocsparseL16csr2dense_kernelILi16ELi64EiifEEviT2_S1_PKT3_PKT1_PKS1_PS2_l16rocsparse_order_.num_vgpr, 12
	.set _ZN9rocsparseL16csr2dense_kernelILi16ELi64EiifEEviT2_S1_PKT3_PKT1_PKS1_PS2_l16rocsparse_order_.num_agpr, 0
	.set _ZN9rocsparseL16csr2dense_kernelILi16ELi64EiifEEviT2_S1_PKT3_PKT1_PKS1_PS2_l16rocsparse_order_.numbered_sgpr, 14
	.set _ZN9rocsparseL16csr2dense_kernelILi16ELi64EiifEEviT2_S1_PKT3_PKT1_PKS1_PS2_l16rocsparse_order_.num_named_barrier, 0
	.set _ZN9rocsparseL16csr2dense_kernelILi16ELi64EiifEEviT2_S1_PKT3_PKT1_PKS1_PS2_l16rocsparse_order_.private_seg_size, 0
	.set _ZN9rocsparseL16csr2dense_kernelILi16ELi64EiifEEviT2_S1_PKT3_PKT1_PKS1_PS2_l16rocsparse_order_.uses_vcc, 1
	.set _ZN9rocsparseL16csr2dense_kernelILi16ELi64EiifEEviT2_S1_PKT3_PKT1_PKS1_PS2_l16rocsparse_order_.uses_flat_scratch, 0
	.set _ZN9rocsparseL16csr2dense_kernelILi16ELi64EiifEEviT2_S1_PKT3_PKT1_PKS1_PS2_l16rocsparse_order_.has_dyn_sized_stack, 0
	.set _ZN9rocsparseL16csr2dense_kernelILi16ELi64EiifEEviT2_S1_PKT3_PKT1_PKS1_PS2_l16rocsparse_order_.has_recursion, 0
	.set _ZN9rocsparseL16csr2dense_kernelILi16ELi64EiifEEviT2_S1_PKT3_PKT1_PKS1_PS2_l16rocsparse_order_.has_indirect_call, 0
	.section	.AMDGPU.csdata,"",@progbits
; Kernel info:
; codeLenInByte = 384
; TotalNumSgprs: 20
; NumVgprs: 12
; NumAgprs: 0
; TotalNumVgprs: 12
; ScratchSize: 0
; MemoryBound: 0
; FloatMode: 240
; IeeeMode: 1
; LDSByteSize: 0 bytes/workgroup (compile time only)
; SGPRBlocks: 2
; VGPRBlocks: 1
; NumSGPRsForWavesPerEU: 20
; NumVGPRsForWavesPerEU: 12
; AccumOffset: 12
; Occupancy: 8
; WaveLimiterHint : 1
; COMPUTE_PGM_RSRC2:SCRATCH_EN: 0
; COMPUTE_PGM_RSRC2:USER_SGPR: 2
; COMPUTE_PGM_RSRC2:TRAP_HANDLER: 0
; COMPUTE_PGM_RSRC2:TGID_X_EN: 1
; COMPUTE_PGM_RSRC2:TGID_Y_EN: 0
; COMPUTE_PGM_RSRC2:TGID_Z_EN: 0
; COMPUTE_PGM_RSRC2:TIDIG_COMP_CNT: 0
; COMPUTE_PGM_RSRC3_GFX90A:ACCUM_OFFSET: 2
; COMPUTE_PGM_RSRC3_GFX90A:TG_SPLIT: 0
	.section	.text._ZN9rocsparseL16csc2dense_kernelILi16ELi32EiifEEviT2_S1_PKT3_PKT1_PKS1_PS2_l16rocsparse_order_,"axG",@progbits,_ZN9rocsparseL16csc2dense_kernelILi16ELi32EiifEEviT2_S1_PKT3_PKT1_PKS1_PS2_l16rocsparse_order_,comdat
	.globl	_ZN9rocsparseL16csc2dense_kernelILi16ELi32EiifEEviT2_S1_PKT3_PKT1_PKS1_PS2_l16rocsparse_order_ ; -- Begin function _ZN9rocsparseL16csc2dense_kernelILi16ELi32EiifEEviT2_S1_PKT3_PKT1_PKS1_PS2_l16rocsparse_order_
	.p2align	8
	.type	_ZN9rocsparseL16csc2dense_kernelILi16ELi32EiifEEviT2_S1_PKT3_PKT1_PKS1_PS2_l16rocsparse_order_,@function
_ZN9rocsparseL16csc2dense_kernelILi16ELi32EiifEEviT2_S1_PKT3_PKT1_PKS1_PS2_l16rocsparse_order_: ; @_ZN9rocsparseL16csc2dense_kernelILi16ELi32EiifEEviT2_S1_PKT3_PKT1_PKS1_PS2_l16rocsparse_order_
; %bb.0:
	s_load_dword s3, s[0:1], 0x8
	v_lshrrev_b32_e32 v1, 5, v0
	v_lshl_or_b32 v2, s2, 4, v1
	s_waitcnt lgkmcnt(0)
	v_cmp_gt_i32_e32 vcc, s3, v2
	s_and_saveexec_b64 s[2:3], vcc
	s_cbranch_execz .LBB17_8
; %bb.1:
	s_load_dwordx2 s[2:3], s[0:1], 0x18
	v_ashrrev_i32_e32 v3, 31, v2
	v_and_b32_e32 v6, 31, v0
	s_waitcnt lgkmcnt(0)
	v_lshl_add_u64 v[4:5], v[2:3], 2, s[2:3]
	global_load_dwordx2 v[4:5], v[4:5], off
	s_waitcnt vmcnt(0)
	v_sub_u32_e32 v7, v5, v4
	v_cmp_lt_i32_e32 vcc, v6, v7
	s_and_b64 exec, exec, vcc
	s_cbranch_execz .LBB17_8
; %bb.2:
	s_load_dword s12, s[0:1], 0x0
	s_load_dwordx4 s[4:7], s[0:1], 0x20
	s_load_dword s10, s[0:1], 0x38
	s_load_dwordx2 s[2:3], s[0:1], 0x10
	s_load_dwordx2 s[8:9], s[0:1], 0x30
	s_waitcnt lgkmcnt(0)
	v_subrev_u32_e32 v8, s12, v4
	v_lshl_add_u64 v[0:1], v[2:3], 2, s[6:7]
	s_cmp_lg_u32 s10, 1
	s_cselect_b64 s[0:1], -1, 0
	v_mul_lo_u32 v4, s9, v2
	v_mul_lo_u32 v5, s8, v3
	v_mad_u64_u32 v[2:3], s[10:11], s8, v2, 0
	v_add3_u32 v3, v3, v5, v4
	v_lshl_add_u64 v[2:3], v[2:3], 2, s[6:7]
	s_mov_b64 s[6:7], 0
	s_branch .LBB17_4
.LBB17_3:                               ;   in Loop: Header=BB17_4 Depth=1
	v_add_u32_e32 v6, 32, v6
	v_cmp_ge_i32_e32 vcc, v6, v7
	s_or_b64 s[6:7], vcc, s[6:7]
	s_andn2_b64 exec, exec, s[6:7]
	s_cbranch_execz .LBB17_8
.LBB17_4:                               ; =>This Inner Loop Header: Depth=1
	v_add_u32_e32 v4, v8, v6
	v_ashrrev_i32_e32 v5, 31, v4
	v_lshlrev_b64 v[4:5], 2, v[4:5]
	v_lshl_add_u64 v[10:11], s[4:5], 0, v[4:5]
	global_load_dword v10, v[10:11], off
	v_lshl_add_u64 v[4:5], s[2:3], 0, v[4:5]
	global_load_dword v9, v[4:5], off
	s_mov_b64 s[10:11], -1
	s_and_b64 vcc, exec, s[0:1]
	s_waitcnt vmcnt(1)
	v_subrev_u32_e32 v4, s12, v10
	v_ashrrev_i32_e32 v5, 31, v4
	s_cbranch_vccz .LBB17_6
; %bb.5:                                ;   in Loop: Header=BB17_4 Depth=1
	v_mul_lo_u32 v12, s9, v4
	v_mul_lo_u32 v13, s8, v5
	v_mad_u64_u32 v[10:11], s[10:11], s8, v4, 0
	v_add3_u32 v11, v11, v13, v12
	v_lshl_add_u64 v[10:11], v[10:11], 2, v[0:1]
	s_waitcnt vmcnt(0)
	global_store_dword v[10:11], v9, off
	s_mov_b64 s[10:11], 0
.LBB17_6:                               ;   in Loop: Header=BB17_4 Depth=1
	s_andn2_b64 vcc, exec, s[10:11]
	s_cbranch_vccnz .LBB17_3
; %bb.7:                                ;   in Loop: Header=BB17_4 Depth=1
	v_lshl_add_u64 v[4:5], v[4:5], 2, v[2:3]
	s_waitcnt vmcnt(0)
	global_store_dword v[4:5], v9, off
	s_branch .LBB17_3
.LBB17_8:
	s_endpgm
	.section	.rodata,"a",@progbits
	.p2align	6, 0x0
	.amdhsa_kernel _ZN9rocsparseL16csc2dense_kernelILi16ELi32EiifEEviT2_S1_PKT3_PKT1_PKS1_PS2_l16rocsparse_order_
		.amdhsa_group_segment_fixed_size 0
		.amdhsa_private_segment_fixed_size 0
		.amdhsa_kernarg_size 60
		.amdhsa_user_sgpr_count 2
		.amdhsa_user_sgpr_dispatch_ptr 0
		.amdhsa_user_sgpr_queue_ptr 0
		.amdhsa_user_sgpr_kernarg_segment_ptr 1
		.amdhsa_user_sgpr_dispatch_id 0
		.amdhsa_user_sgpr_kernarg_preload_length 0
		.amdhsa_user_sgpr_kernarg_preload_offset 0
		.amdhsa_user_sgpr_private_segment_size 0
		.amdhsa_uses_dynamic_stack 0
		.amdhsa_enable_private_segment 0
		.amdhsa_system_sgpr_workgroup_id_x 1
		.amdhsa_system_sgpr_workgroup_id_y 0
		.amdhsa_system_sgpr_workgroup_id_z 0
		.amdhsa_system_sgpr_workgroup_info 0
		.amdhsa_system_vgpr_workitem_id 0
		.amdhsa_next_free_vgpr 14
		.amdhsa_next_free_sgpr 13
		.amdhsa_accum_offset 16
		.amdhsa_reserve_vcc 1
		.amdhsa_float_round_mode_32 0
		.amdhsa_float_round_mode_16_64 0
		.amdhsa_float_denorm_mode_32 3
		.amdhsa_float_denorm_mode_16_64 3
		.amdhsa_dx10_clamp 1
		.amdhsa_ieee_mode 1
		.amdhsa_fp16_overflow 0
		.amdhsa_tg_split 0
		.amdhsa_exception_fp_ieee_invalid_op 0
		.amdhsa_exception_fp_denorm_src 0
		.amdhsa_exception_fp_ieee_div_zero 0
		.amdhsa_exception_fp_ieee_overflow 0
		.amdhsa_exception_fp_ieee_underflow 0
		.amdhsa_exception_fp_ieee_inexact 0
		.amdhsa_exception_int_div_zero 0
	.end_amdhsa_kernel
	.section	.text._ZN9rocsparseL16csc2dense_kernelILi16ELi32EiifEEviT2_S1_PKT3_PKT1_PKS1_PS2_l16rocsparse_order_,"axG",@progbits,_ZN9rocsparseL16csc2dense_kernelILi16ELi32EiifEEviT2_S1_PKT3_PKT1_PKS1_PS2_l16rocsparse_order_,comdat
.Lfunc_end17:
	.size	_ZN9rocsparseL16csc2dense_kernelILi16ELi32EiifEEviT2_S1_PKT3_PKT1_PKS1_PS2_l16rocsparse_order_, .Lfunc_end17-_ZN9rocsparseL16csc2dense_kernelILi16ELi32EiifEEviT2_S1_PKT3_PKT1_PKS1_PS2_l16rocsparse_order_
                                        ; -- End function
	.set _ZN9rocsparseL16csc2dense_kernelILi16ELi32EiifEEviT2_S1_PKT3_PKT1_PKS1_PS2_l16rocsparse_order_.num_vgpr, 14
	.set _ZN9rocsparseL16csc2dense_kernelILi16ELi32EiifEEviT2_S1_PKT3_PKT1_PKS1_PS2_l16rocsparse_order_.num_agpr, 0
	.set _ZN9rocsparseL16csc2dense_kernelILi16ELi32EiifEEviT2_S1_PKT3_PKT1_PKS1_PS2_l16rocsparse_order_.numbered_sgpr, 13
	.set _ZN9rocsparseL16csc2dense_kernelILi16ELi32EiifEEviT2_S1_PKT3_PKT1_PKS1_PS2_l16rocsparse_order_.num_named_barrier, 0
	.set _ZN9rocsparseL16csc2dense_kernelILi16ELi32EiifEEviT2_S1_PKT3_PKT1_PKS1_PS2_l16rocsparse_order_.private_seg_size, 0
	.set _ZN9rocsparseL16csc2dense_kernelILi16ELi32EiifEEviT2_S1_PKT3_PKT1_PKS1_PS2_l16rocsparse_order_.uses_vcc, 1
	.set _ZN9rocsparseL16csc2dense_kernelILi16ELi32EiifEEviT2_S1_PKT3_PKT1_PKS1_PS2_l16rocsparse_order_.uses_flat_scratch, 0
	.set _ZN9rocsparseL16csc2dense_kernelILi16ELi32EiifEEviT2_S1_PKT3_PKT1_PKS1_PS2_l16rocsparse_order_.has_dyn_sized_stack, 0
	.set _ZN9rocsparseL16csc2dense_kernelILi16ELi32EiifEEviT2_S1_PKT3_PKT1_PKS1_PS2_l16rocsparse_order_.has_recursion, 0
	.set _ZN9rocsparseL16csc2dense_kernelILi16ELi32EiifEEviT2_S1_PKT3_PKT1_PKS1_PS2_l16rocsparse_order_.has_indirect_call, 0
	.section	.AMDGPU.csdata,"",@progbits
; Kernel info:
; codeLenInByte = 388
; TotalNumSgprs: 19
; NumVgprs: 14
; NumAgprs: 0
; TotalNumVgprs: 14
; ScratchSize: 0
; MemoryBound: 0
; FloatMode: 240
; IeeeMode: 1
; LDSByteSize: 0 bytes/workgroup (compile time only)
; SGPRBlocks: 2
; VGPRBlocks: 1
; NumSGPRsForWavesPerEU: 19
; NumVGPRsForWavesPerEU: 14
; AccumOffset: 16
; Occupancy: 8
; WaveLimiterHint : 1
; COMPUTE_PGM_RSRC2:SCRATCH_EN: 0
; COMPUTE_PGM_RSRC2:USER_SGPR: 2
; COMPUTE_PGM_RSRC2:TRAP_HANDLER: 0
; COMPUTE_PGM_RSRC2:TGID_X_EN: 1
; COMPUTE_PGM_RSRC2:TGID_Y_EN: 0
; COMPUTE_PGM_RSRC2:TGID_Z_EN: 0
; COMPUTE_PGM_RSRC2:TIDIG_COMP_CNT: 0
; COMPUTE_PGM_RSRC3_GFX90A:ACCUM_OFFSET: 3
; COMPUTE_PGM_RSRC3_GFX90A:TG_SPLIT: 0
	.section	.text._ZN9rocsparseL16csc2dense_kernelILi16ELi64EiifEEviT2_S1_PKT3_PKT1_PKS1_PS2_l16rocsparse_order_,"axG",@progbits,_ZN9rocsparseL16csc2dense_kernelILi16ELi64EiifEEviT2_S1_PKT3_PKT1_PKS1_PS2_l16rocsparse_order_,comdat
	.globl	_ZN9rocsparseL16csc2dense_kernelILi16ELi64EiifEEviT2_S1_PKT3_PKT1_PKS1_PS2_l16rocsparse_order_ ; -- Begin function _ZN9rocsparseL16csc2dense_kernelILi16ELi64EiifEEviT2_S1_PKT3_PKT1_PKS1_PS2_l16rocsparse_order_
	.p2align	8
	.type	_ZN9rocsparseL16csc2dense_kernelILi16ELi64EiifEEviT2_S1_PKT3_PKT1_PKS1_PS2_l16rocsparse_order_,@function
_ZN9rocsparseL16csc2dense_kernelILi16ELi64EiifEEviT2_S1_PKT3_PKT1_PKS1_PS2_l16rocsparse_order_: ; @_ZN9rocsparseL16csc2dense_kernelILi16ELi64EiifEEviT2_S1_PKT3_PKT1_PKS1_PS2_l16rocsparse_order_
; %bb.0:
	s_load_dword s3, s[0:1], 0x8
	v_lshrrev_b32_e32 v1, 6, v0
	v_lshl_or_b32 v2, s2, 4, v1
	s_waitcnt lgkmcnt(0)
	v_cmp_gt_i32_e32 vcc, s3, v2
	s_and_saveexec_b64 s[2:3], vcc
	s_cbranch_execz .LBB18_8
; %bb.1:
	s_load_dwordx2 s[2:3], s[0:1], 0x18
	v_ashrrev_i32_e32 v3, 31, v2
	v_and_b32_e32 v6, 63, v0
	s_waitcnt lgkmcnt(0)
	v_lshl_add_u64 v[4:5], v[2:3], 2, s[2:3]
	global_load_dwordx2 v[4:5], v[4:5], off
	s_waitcnt vmcnt(0)
	v_sub_u32_e32 v7, v5, v4
	v_cmp_lt_i32_e32 vcc, v6, v7
	s_and_b64 exec, exec, vcc
	s_cbranch_execz .LBB18_8
; %bb.2:
	s_load_dword s12, s[0:1], 0x0
	s_load_dwordx4 s[4:7], s[0:1], 0x20
	s_load_dword s10, s[0:1], 0x38
	s_load_dwordx2 s[2:3], s[0:1], 0x10
	s_load_dwordx2 s[8:9], s[0:1], 0x30
	s_waitcnt lgkmcnt(0)
	v_subrev_u32_e32 v8, s12, v4
	v_lshl_add_u64 v[0:1], v[2:3], 2, s[6:7]
	s_cmp_lg_u32 s10, 1
	s_cselect_b64 s[0:1], -1, 0
	v_mul_lo_u32 v4, s9, v2
	v_mul_lo_u32 v5, s8, v3
	v_mad_u64_u32 v[2:3], s[10:11], s8, v2, 0
	v_add3_u32 v3, v3, v5, v4
	v_lshl_add_u64 v[2:3], v[2:3], 2, s[6:7]
	s_mov_b64 s[6:7], 0
	s_branch .LBB18_4
.LBB18_3:                               ;   in Loop: Header=BB18_4 Depth=1
	v_add_u32_e32 v6, 64, v6
	v_cmp_ge_i32_e32 vcc, v6, v7
	s_or_b64 s[6:7], vcc, s[6:7]
	s_andn2_b64 exec, exec, s[6:7]
	s_cbranch_execz .LBB18_8
.LBB18_4:                               ; =>This Inner Loop Header: Depth=1
	v_add_u32_e32 v4, v8, v6
	v_ashrrev_i32_e32 v5, 31, v4
	v_lshlrev_b64 v[4:5], 2, v[4:5]
	v_lshl_add_u64 v[10:11], s[4:5], 0, v[4:5]
	global_load_dword v10, v[10:11], off
	v_lshl_add_u64 v[4:5], s[2:3], 0, v[4:5]
	global_load_dword v9, v[4:5], off
	s_mov_b64 s[10:11], -1
	s_and_b64 vcc, exec, s[0:1]
	s_waitcnt vmcnt(1)
	v_subrev_u32_e32 v4, s12, v10
	v_ashrrev_i32_e32 v5, 31, v4
	s_cbranch_vccz .LBB18_6
; %bb.5:                                ;   in Loop: Header=BB18_4 Depth=1
	v_mul_lo_u32 v12, s9, v4
	v_mul_lo_u32 v13, s8, v5
	v_mad_u64_u32 v[10:11], s[10:11], s8, v4, 0
	v_add3_u32 v11, v11, v13, v12
	v_lshl_add_u64 v[10:11], v[10:11], 2, v[0:1]
	s_waitcnt vmcnt(0)
	global_store_dword v[10:11], v9, off
	s_mov_b64 s[10:11], 0
.LBB18_6:                               ;   in Loop: Header=BB18_4 Depth=1
	s_andn2_b64 vcc, exec, s[10:11]
	s_cbranch_vccnz .LBB18_3
; %bb.7:                                ;   in Loop: Header=BB18_4 Depth=1
	v_lshl_add_u64 v[4:5], v[4:5], 2, v[2:3]
	s_waitcnt vmcnt(0)
	global_store_dword v[4:5], v9, off
	s_branch .LBB18_3
.LBB18_8:
	s_endpgm
	.section	.rodata,"a",@progbits
	.p2align	6, 0x0
	.amdhsa_kernel _ZN9rocsparseL16csc2dense_kernelILi16ELi64EiifEEviT2_S1_PKT3_PKT1_PKS1_PS2_l16rocsparse_order_
		.amdhsa_group_segment_fixed_size 0
		.amdhsa_private_segment_fixed_size 0
		.amdhsa_kernarg_size 60
		.amdhsa_user_sgpr_count 2
		.amdhsa_user_sgpr_dispatch_ptr 0
		.amdhsa_user_sgpr_queue_ptr 0
		.amdhsa_user_sgpr_kernarg_segment_ptr 1
		.amdhsa_user_sgpr_dispatch_id 0
		.amdhsa_user_sgpr_kernarg_preload_length 0
		.amdhsa_user_sgpr_kernarg_preload_offset 0
		.amdhsa_user_sgpr_private_segment_size 0
		.amdhsa_uses_dynamic_stack 0
		.amdhsa_enable_private_segment 0
		.amdhsa_system_sgpr_workgroup_id_x 1
		.amdhsa_system_sgpr_workgroup_id_y 0
		.amdhsa_system_sgpr_workgroup_id_z 0
		.amdhsa_system_sgpr_workgroup_info 0
		.amdhsa_system_vgpr_workitem_id 0
		.amdhsa_next_free_vgpr 14
		.amdhsa_next_free_sgpr 13
		.amdhsa_accum_offset 16
		.amdhsa_reserve_vcc 1
		.amdhsa_float_round_mode_32 0
		.amdhsa_float_round_mode_16_64 0
		.amdhsa_float_denorm_mode_32 3
		.amdhsa_float_denorm_mode_16_64 3
		.amdhsa_dx10_clamp 1
		.amdhsa_ieee_mode 1
		.amdhsa_fp16_overflow 0
		.amdhsa_tg_split 0
		.amdhsa_exception_fp_ieee_invalid_op 0
		.amdhsa_exception_fp_denorm_src 0
		.amdhsa_exception_fp_ieee_div_zero 0
		.amdhsa_exception_fp_ieee_overflow 0
		.amdhsa_exception_fp_ieee_underflow 0
		.amdhsa_exception_fp_ieee_inexact 0
		.amdhsa_exception_int_div_zero 0
	.end_amdhsa_kernel
	.section	.text._ZN9rocsparseL16csc2dense_kernelILi16ELi64EiifEEviT2_S1_PKT3_PKT1_PKS1_PS2_l16rocsparse_order_,"axG",@progbits,_ZN9rocsparseL16csc2dense_kernelILi16ELi64EiifEEviT2_S1_PKT3_PKT1_PKS1_PS2_l16rocsparse_order_,comdat
.Lfunc_end18:
	.size	_ZN9rocsparseL16csc2dense_kernelILi16ELi64EiifEEviT2_S1_PKT3_PKT1_PKS1_PS2_l16rocsparse_order_, .Lfunc_end18-_ZN9rocsparseL16csc2dense_kernelILi16ELi64EiifEEviT2_S1_PKT3_PKT1_PKS1_PS2_l16rocsparse_order_
                                        ; -- End function
	.set _ZN9rocsparseL16csc2dense_kernelILi16ELi64EiifEEviT2_S1_PKT3_PKT1_PKS1_PS2_l16rocsparse_order_.num_vgpr, 14
	.set _ZN9rocsparseL16csc2dense_kernelILi16ELi64EiifEEviT2_S1_PKT3_PKT1_PKS1_PS2_l16rocsparse_order_.num_agpr, 0
	.set _ZN9rocsparseL16csc2dense_kernelILi16ELi64EiifEEviT2_S1_PKT3_PKT1_PKS1_PS2_l16rocsparse_order_.numbered_sgpr, 13
	.set _ZN9rocsparseL16csc2dense_kernelILi16ELi64EiifEEviT2_S1_PKT3_PKT1_PKS1_PS2_l16rocsparse_order_.num_named_barrier, 0
	.set _ZN9rocsparseL16csc2dense_kernelILi16ELi64EiifEEviT2_S1_PKT3_PKT1_PKS1_PS2_l16rocsparse_order_.private_seg_size, 0
	.set _ZN9rocsparseL16csc2dense_kernelILi16ELi64EiifEEviT2_S1_PKT3_PKT1_PKS1_PS2_l16rocsparse_order_.uses_vcc, 1
	.set _ZN9rocsparseL16csc2dense_kernelILi16ELi64EiifEEviT2_S1_PKT3_PKT1_PKS1_PS2_l16rocsparse_order_.uses_flat_scratch, 0
	.set _ZN9rocsparseL16csc2dense_kernelILi16ELi64EiifEEviT2_S1_PKT3_PKT1_PKS1_PS2_l16rocsparse_order_.has_dyn_sized_stack, 0
	.set _ZN9rocsparseL16csc2dense_kernelILi16ELi64EiifEEviT2_S1_PKT3_PKT1_PKS1_PS2_l16rocsparse_order_.has_recursion, 0
	.set _ZN9rocsparseL16csc2dense_kernelILi16ELi64EiifEEviT2_S1_PKT3_PKT1_PKS1_PS2_l16rocsparse_order_.has_indirect_call, 0
	.section	.AMDGPU.csdata,"",@progbits
; Kernel info:
; codeLenInByte = 388
; TotalNumSgprs: 19
; NumVgprs: 14
; NumAgprs: 0
; TotalNumVgprs: 14
; ScratchSize: 0
; MemoryBound: 0
; FloatMode: 240
; IeeeMode: 1
; LDSByteSize: 0 bytes/workgroup (compile time only)
; SGPRBlocks: 2
; VGPRBlocks: 1
; NumSGPRsForWavesPerEU: 19
; NumVGPRsForWavesPerEU: 14
; AccumOffset: 16
; Occupancy: 8
; WaveLimiterHint : 1
; COMPUTE_PGM_RSRC2:SCRATCH_EN: 0
; COMPUTE_PGM_RSRC2:USER_SGPR: 2
; COMPUTE_PGM_RSRC2:TRAP_HANDLER: 0
; COMPUTE_PGM_RSRC2:TGID_X_EN: 1
; COMPUTE_PGM_RSRC2:TGID_Y_EN: 0
; COMPUTE_PGM_RSRC2:TGID_Z_EN: 0
; COMPUTE_PGM_RSRC2:TIDIG_COMP_CNT: 0
; COMPUTE_PGM_RSRC3_GFX90A:ACCUM_OFFSET: 3
; COMPUTE_PGM_RSRC3_GFX90A:TG_SPLIT: 0
	.section	.text._ZN9rocsparseL23sddmm_csx_sample_kernelILi512ELi64EL20rocsparse_direction_1EfiifEEvT4_S2_T3_PKT5_S2_PS4_PKS3_PKS2_21rocsparse_index_base_,"axG",@progbits,_ZN9rocsparseL23sddmm_csx_sample_kernelILi512ELi64EL20rocsparse_direction_1EfiifEEvT4_S2_T3_PKT5_S2_PS4_PKS3_PKS2_21rocsparse_index_base_,comdat
	.globl	_ZN9rocsparseL23sddmm_csx_sample_kernelILi512ELi64EL20rocsparse_direction_1EfiifEEvT4_S2_T3_PKT5_S2_PS4_PKS3_PKS2_21rocsparse_index_base_ ; -- Begin function _ZN9rocsparseL23sddmm_csx_sample_kernelILi512ELi64EL20rocsparse_direction_1EfiifEEvT4_S2_T3_PKT5_S2_PS4_PKS3_PKS2_21rocsparse_index_base_
	.p2align	8
	.type	_ZN9rocsparseL23sddmm_csx_sample_kernelILi512ELi64EL20rocsparse_direction_1EfiifEEvT4_S2_T3_PKT5_S2_PS4_PKS3_PKS2_21rocsparse_index_base_,@function
_ZN9rocsparseL23sddmm_csx_sample_kernelILi512ELi64EL20rocsparse_direction_1EfiifEEvT4_S2_T3_PKT5_S2_PS4_PKS3_PKS2_21rocsparse_index_base_: ; @_ZN9rocsparseL23sddmm_csx_sample_kernelILi512ELi64EL20rocsparse_direction_1EfiifEEvT4_S2_T3_PKT5_S2_PS4_PKS3_PKS2_21rocsparse_index_base_
; %bb.0:
	s_load_dword s3, s[0:1], 0x4
	v_lshrrev_b32_e32 v1, 6, v0
	v_lshl_or_b32 v2, s2, 3, v1
	s_waitcnt lgkmcnt(0)
	v_cmp_gt_u32_e32 vcc, s3, v2
	s_and_saveexec_b64 s[2:3], vcc
	s_cbranch_execz .LBB19_9
; %bb.1:
	s_load_dwordx2 s[2:3], s[0:1], 0x28
	s_load_dword s8, s[0:1], 0x38
	v_mov_b32_e32 v3, 0
	v_and_b32_e32 v1, 63, v0
	s_waitcnt lgkmcnt(0)
	v_lshl_add_u64 v[4:5], v[2:3], 2, s[2:3]
	global_load_dwordx2 v[4:5], v[4:5], off
	v_subrev_u32_e32 v0, s8, v1
	s_waitcnt vmcnt(0)
	v_add_u32_e32 v0, v0, v4
	v_subrev_u32_e32 v8, s8, v5
	v_cmp_lt_i32_e32 vcc, v0, v8
	s_and_b64 exec, exec, vcc
	s_cbranch_execz .LBB19_9
; %bb.2:
	v_add_u32_e32 v3, v4, v1
	v_subrev_u32_e32 v3, s8, v3
	s_load_dwordx2 s[4:5], s[0:1], 0x30
	s_load_dword s9, s[0:1], 0x18
	s_load_dwordx2 s[6:7], s[0:1], 0x20
	s_load_dwordx2 s[2:3], s[0:1], 0x10
	v_add_u32_e32 v3, 64, v3
	v_max_i32_e32 v3, v3, v8
	v_not_b32_e32 v4, v4
	v_add3_u32 v3, s8, v3, v4
	s_waitcnt lgkmcnt(0)
	v_mul_lo_u32 v2, s9, v2
	v_sub_u32_e32 v1, v3, v1
	v_subrev_u32_e32 v2, s8, v2
	v_cmp_lt_u32_e32 vcc, 63, v1
	s_mov_b64 s[8:9], -1
	s_and_saveexec_b64 s[0:1], vcc
	s_cbranch_execz .LBB19_6
; %bb.3:
	v_lshrrev_b32_e32 v1, 6, v1
	v_add_u32_e32 v6, 1, v1
	v_and_b32_e32 v7, 0x7fffffe, v6
	v_add_u32_e32 v1, 64, v0
	v_mov_b32_e32 v3, v2
	s_mov_b64 s[8:9], 0
	v_mov_b32_e32 v9, v7
	v_mov_b64_e32 v[4:5], v[0:1]
.LBB19_4:                               ; =>This Inner Loop Header: Depth=1
	v_ashrrev_i32_e32 v13, 31, v4
	v_mov_b32_e32 v12, v4
	v_ashrrev_i32_e32 v11, 31, v5
	v_mov_b32_e32 v10, v5
	v_lshlrev_b64 v[12:13], 2, v[12:13]
	v_lshlrev_b64 v[10:11], 2, v[10:11]
	v_lshl_add_u64 v[14:15], s[4:5], 0, v[12:13]
	v_lshl_add_u64 v[16:17], s[4:5], 0, v[10:11]
	global_load_dword v1, v[14:15], off
	global_load_dword v18, v[16:17], off
	v_add_u32_e32 v9, -2, v9
	v_cmp_eq_u32_e32 vcc, 0, v9
	v_add_u32_e32 v5, 0x80, v5
	v_add_u32_e32 v4, 0x80, v4
	v_lshl_add_u64 v[12:13], s[6:7], 0, v[12:13]
	s_or_b64 s[8:9], vcc, s[8:9]
	v_lshl_add_u64 v[10:11], s[6:7], 0, v[10:11]
	s_waitcnt vmcnt(1)
	v_add_u32_e32 v14, v2, v1
	s_waitcnt vmcnt(0)
	v_add_u32_e32 v16, v3, v18
	v_ashrrev_i32_e32 v15, 31, v14
	v_ashrrev_i32_e32 v17, 31, v16
	v_lshl_add_u64 v[14:15], v[14:15], 2, s[2:3]
	v_lshl_add_u64 v[16:17], v[16:17], 2, s[2:3]
	global_load_dword v1, v[14:15], off
	global_load_dword v18, v[16:17], off
	s_waitcnt vmcnt(1)
	global_store_dword v[12:13], v1, off
	s_waitcnt vmcnt(1)
	global_store_dword v[10:11], v18, off
	s_andn2_b64 exec, exec, s[8:9]
	s_cbranch_execnz .LBB19_4
; %bb.5:
	s_or_b64 exec, exec, s[8:9]
	v_cmp_ne_u32_e32 vcc, v6, v7
	v_lshl_add_u32 v0, v7, 6, v0
	s_orn2_b64 s[8:9], vcc, exec
.LBB19_6:
	s_or_b64 exec, exec, s[0:1]
	s_and_b64 exec, exec, s[8:9]
	s_cbranch_execz .LBB19_9
; %bb.7:
	v_ashrrev_i32_e32 v1, 31, v0
	v_lshlrev_b64 v[6:7], 2, v[0:1]
	v_lshl_add_u64 v[4:5], s[4:5], 0, v[6:7]
	v_lshl_add_u64 v[6:7], s[6:7], 0, v[6:7]
	s_mov_b64 s[0:1], 0
	s_mov_b64 s[4:5], 0x100
.LBB19_8:                               ; =>This Inner Loop Header: Depth=1
	global_load_dword v1, v[4:5], off
	v_add_u32_e32 v0, 64, v0
	v_cmp_ge_i32_e32 vcc, v0, v8
	v_lshl_add_u64 v[4:5], v[4:5], 0, s[4:5]
	s_or_b64 s[0:1], vcc, s[0:1]
	s_waitcnt vmcnt(0)
	v_add_u32_e32 v10, v2, v1
	v_ashrrev_i32_e32 v11, 31, v10
	v_lshl_add_u64 v[10:11], v[10:11], 2, s[2:3]
	global_load_dword v1, v[10:11], off
	s_waitcnt vmcnt(0)
	global_store_dword v[6:7], v1, off
	v_lshl_add_u64 v[6:7], v[6:7], 0, s[4:5]
	s_andn2_b64 exec, exec, s[0:1]
	s_cbranch_execnz .LBB19_8
.LBB19_9:
	s_endpgm
	.section	.rodata,"a",@progbits
	.p2align	6, 0x0
	.amdhsa_kernel _ZN9rocsparseL23sddmm_csx_sample_kernelILi512ELi64EL20rocsparse_direction_1EfiifEEvT4_S2_T3_PKT5_S2_PS4_PKS3_PKS2_21rocsparse_index_base_
		.amdhsa_group_segment_fixed_size 0
		.amdhsa_private_segment_fixed_size 0
		.amdhsa_kernarg_size 60
		.amdhsa_user_sgpr_count 2
		.amdhsa_user_sgpr_dispatch_ptr 0
		.amdhsa_user_sgpr_queue_ptr 0
		.amdhsa_user_sgpr_kernarg_segment_ptr 1
		.amdhsa_user_sgpr_dispatch_id 0
		.amdhsa_user_sgpr_kernarg_preload_length 0
		.amdhsa_user_sgpr_kernarg_preload_offset 0
		.amdhsa_user_sgpr_private_segment_size 0
		.amdhsa_uses_dynamic_stack 0
		.amdhsa_enable_private_segment 0
		.amdhsa_system_sgpr_workgroup_id_x 1
		.amdhsa_system_sgpr_workgroup_id_y 0
		.amdhsa_system_sgpr_workgroup_id_z 0
		.amdhsa_system_sgpr_workgroup_info 0
		.amdhsa_system_vgpr_workitem_id 0
		.amdhsa_next_free_vgpr 19
		.amdhsa_next_free_sgpr 10
		.amdhsa_accum_offset 20
		.amdhsa_reserve_vcc 1
		.amdhsa_float_round_mode_32 0
		.amdhsa_float_round_mode_16_64 0
		.amdhsa_float_denorm_mode_32 3
		.amdhsa_float_denorm_mode_16_64 3
		.amdhsa_dx10_clamp 1
		.amdhsa_ieee_mode 1
		.amdhsa_fp16_overflow 0
		.amdhsa_tg_split 0
		.amdhsa_exception_fp_ieee_invalid_op 0
		.amdhsa_exception_fp_denorm_src 0
		.amdhsa_exception_fp_ieee_div_zero 0
		.amdhsa_exception_fp_ieee_overflow 0
		.amdhsa_exception_fp_ieee_underflow 0
		.amdhsa_exception_fp_ieee_inexact 0
		.amdhsa_exception_int_div_zero 0
	.end_amdhsa_kernel
	.section	.text._ZN9rocsparseL23sddmm_csx_sample_kernelILi512ELi64EL20rocsparse_direction_1EfiifEEvT4_S2_T3_PKT5_S2_PS4_PKS3_PKS2_21rocsparse_index_base_,"axG",@progbits,_ZN9rocsparseL23sddmm_csx_sample_kernelILi512ELi64EL20rocsparse_direction_1EfiifEEvT4_S2_T3_PKT5_S2_PS4_PKS3_PKS2_21rocsparse_index_base_,comdat
.Lfunc_end19:
	.size	_ZN9rocsparseL23sddmm_csx_sample_kernelILi512ELi64EL20rocsparse_direction_1EfiifEEvT4_S2_T3_PKT5_S2_PS4_PKS3_PKS2_21rocsparse_index_base_, .Lfunc_end19-_ZN9rocsparseL23sddmm_csx_sample_kernelILi512ELi64EL20rocsparse_direction_1EfiifEEvT4_S2_T3_PKT5_S2_PS4_PKS3_PKS2_21rocsparse_index_base_
                                        ; -- End function
	.set _ZN9rocsparseL23sddmm_csx_sample_kernelILi512ELi64EL20rocsparse_direction_1EfiifEEvT4_S2_T3_PKT5_S2_PS4_PKS3_PKS2_21rocsparse_index_base_.num_vgpr, 19
	.set _ZN9rocsparseL23sddmm_csx_sample_kernelILi512ELi64EL20rocsparse_direction_1EfiifEEvT4_S2_T3_PKT5_S2_PS4_PKS3_PKS2_21rocsparse_index_base_.num_agpr, 0
	.set _ZN9rocsparseL23sddmm_csx_sample_kernelILi512ELi64EL20rocsparse_direction_1EfiifEEvT4_S2_T3_PKT5_S2_PS4_PKS3_PKS2_21rocsparse_index_base_.numbered_sgpr, 10
	.set _ZN9rocsparseL23sddmm_csx_sample_kernelILi512ELi64EL20rocsparse_direction_1EfiifEEvT4_S2_T3_PKT5_S2_PS4_PKS3_PKS2_21rocsparse_index_base_.num_named_barrier, 0
	.set _ZN9rocsparseL23sddmm_csx_sample_kernelILi512ELi64EL20rocsparse_direction_1EfiifEEvT4_S2_T3_PKT5_S2_PS4_PKS3_PKS2_21rocsparse_index_base_.private_seg_size, 0
	.set _ZN9rocsparseL23sddmm_csx_sample_kernelILi512ELi64EL20rocsparse_direction_1EfiifEEvT4_S2_T3_PKT5_S2_PS4_PKS3_PKS2_21rocsparse_index_base_.uses_vcc, 1
	.set _ZN9rocsparseL23sddmm_csx_sample_kernelILi512ELi64EL20rocsparse_direction_1EfiifEEvT4_S2_T3_PKT5_S2_PS4_PKS3_PKS2_21rocsparse_index_base_.uses_flat_scratch, 0
	.set _ZN9rocsparseL23sddmm_csx_sample_kernelILi512ELi64EL20rocsparse_direction_1EfiifEEvT4_S2_T3_PKT5_S2_PS4_PKS3_PKS2_21rocsparse_index_base_.has_dyn_sized_stack, 0
	.set _ZN9rocsparseL23sddmm_csx_sample_kernelILi512ELi64EL20rocsparse_direction_1EfiifEEvT4_S2_T3_PKT5_S2_PS4_PKS3_PKS2_21rocsparse_index_base_.has_recursion, 0
	.set _ZN9rocsparseL23sddmm_csx_sample_kernelILi512ELi64EL20rocsparse_direction_1EfiifEEvT4_S2_T3_PKT5_S2_PS4_PKS3_PKS2_21rocsparse_index_base_.has_indirect_call, 0
	.section	.AMDGPU.csdata,"",@progbits
; Kernel info:
; codeLenInByte = 596
; TotalNumSgprs: 16
; NumVgprs: 19
; NumAgprs: 0
; TotalNumVgprs: 19
; ScratchSize: 0
; MemoryBound: 0
; FloatMode: 240
; IeeeMode: 1
; LDSByteSize: 0 bytes/workgroup (compile time only)
; SGPRBlocks: 1
; VGPRBlocks: 2
; NumSGPRsForWavesPerEU: 16
; NumVGPRsForWavesPerEU: 19
; AccumOffset: 20
; Occupancy: 8
; WaveLimiterHint : 1
; COMPUTE_PGM_RSRC2:SCRATCH_EN: 0
; COMPUTE_PGM_RSRC2:USER_SGPR: 2
; COMPUTE_PGM_RSRC2:TRAP_HANDLER: 0
; COMPUTE_PGM_RSRC2:TGID_X_EN: 1
; COMPUTE_PGM_RSRC2:TGID_Y_EN: 0
; COMPUTE_PGM_RSRC2:TGID_Z_EN: 0
; COMPUTE_PGM_RSRC2:TIDIG_COMP_CNT: 0
; COMPUTE_PGM_RSRC3_GFX90A:ACCUM_OFFSET: 4
; COMPUTE_PGM_RSRC3_GFX90A:TG_SPLIT: 0
	.section	.text._ZN9rocsparseL23sddmm_csx_sample_kernelILi512ELi32EL20rocsparse_direction_1EfiifEEvT4_S2_T3_PKT5_S2_PS4_PKS3_PKS2_21rocsparse_index_base_,"axG",@progbits,_ZN9rocsparseL23sddmm_csx_sample_kernelILi512ELi32EL20rocsparse_direction_1EfiifEEvT4_S2_T3_PKT5_S2_PS4_PKS3_PKS2_21rocsparse_index_base_,comdat
	.globl	_ZN9rocsparseL23sddmm_csx_sample_kernelILi512ELi32EL20rocsparse_direction_1EfiifEEvT4_S2_T3_PKT5_S2_PS4_PKS3_PKS2_21rocsparse_index_base_ ; -- Begin function _ZN9rocsparseL23sddmm_csx_sample_kernelILi512ELi32EL20rocsparse_direction_1EfiifEEvT4_S2_T3_PKT5_S2_PS4_PKS3_PKS2_21rocsparse_index_base_
	.p2align	8
	.type	_ZN9rocsparseL23sddmm_csx_sample_kernelILi512ELi32EL20rocsparse_direction_1EfiifEEvT4_S2_T3_PKT5_S2_PS4_PKS3_PKS2_21rocsparse_index_base_,@function
_ZN9rocsparseL23sddmm_csx_sample_kernelILi512ELi32EL20rocsparse_direction_1EfiifEEvT4_S2_T3_PKT5_S2_PS4_PKS3_PKS2_21rocsparse_index_base_: ; @_ZN9rocsparseL23sddmm_csx_sample_kernelILi512ELi32EL20rocsparse_direction_1EfiifEEvT4_S2_T3_PKT5_S2_PS4_PKS3_PKS2_21rocsparse_index_base_
; %bb.0:
	s_load_dword s3, s[0:1], 0x4
	v_lshrrev_b32_e32 v1, 5, v0
	v_lshl_or_b32 v2, s2, 4, v1
	s_waitcnt lgkmcnt(0)
	v_cmp_gt_u32_e32 vcc, s3, v2
	s_and_saveexec_b64 s[2:3], vcc
	s_cbranch_execz .LBB20_9
; %bb.1:
	s_load_dwordx2 s[2:3], s[0:1], 0x28
	s_load_dword s8, s[0:1], 0x38
	v_mov_b32_e32 v3, 0
	v_and_b32_e32 v1, 31, v0
	s_waitcnt lgkmcnt(0)
	v_lshl_add_u64 v[4:5], v[2:3], 2, s[2:3]
	global_load_dwordx2 v[4:5], v[4:5], off
	v_subrev_u32_e32 v0, s8, v1
	s_waitcnt vmcnt(0)
	v_add_u32_e32 v0, v0, v4
	v_subrev_u32_e32 v8, s8, v5
	v_cmp_lt_i32_e32 vcc, v0, v8
	s_and_b64 exec, exec, vcc
	s_cbranch_execz .LBB20_9
; %bb.2:
	v_add_u32_e32 v3, v4, v1
	v_subrev_u32_e32 v3, s8, v3
	s_load_dwordx2 s[4:5], s[0:1], 0x30
	s_load_dword s9, s[0:1], 0x18
	s_load_dwordx2 s[6:7], s[0:1], 0x20
	s_load_dwordx2 s[2:3], s[0:1], 0x10
	v_add_u32_e32 v3, 32, v3
	v_max_i32_e32 v3, v3, v8
	v_not_b32_e32 v4, v4
	v_add3_u32 v3, s8, v3, v4
	s_waitcnt lgkmcnt(0)
	v_mul_lo_u32 v2, s9, v2
	v_sub_u32_e32 v1, v3, v1
	v_subrev_u32_e32 v2, s8, v2
	v_cmp_lt_u32_e32 vcc, 31, v1
	s_mov_b64 s[8:9], -1
	s_and_saveexec_b64 s[0:1], vcc
	s_cbranch_execz .LBB20_6
; %bb.3:
	v_lshrrev_b32_e32 v1, 5, v1
	v_add_u32_e32 v6, 1, v1
	v_and_b32_e32 v7, 0xffffffe, v6
	v_add_u32_e32 v1, 32, v0
	v_mov_b32_e32 v3, v2
	s_mov_b64 s[8:9], 0
	v_mov_b32_e32 v9, v7
	v_mov_b64_e32 v[4:5], v[0:1]
.LBB20_4:                               ; =>This Inner Loop Header: Depth=1
	v_ashrrev_i32_e32 v13, 31, v4
	v_mov_b32_e32 v12, v4
	v_ashrrev_i32_e32 v11, 31, v5
	v_mov_b32_e32 v10, v5
	v_lshlrev_b64 v[12:13], 2, v[12:13]
	v_lshlrev_b64 v[10:11], 2, v[10:11]
	v_lshl_add_u64 v[14:15], s[4:5], 0, v[12:13]
	v_lshl_add_u64 v[16:17], s[4:5], 0, v[10:11]
	global_load_dword v1, v[14:15], off
	global_load_dword v18, v[16:17], off
	v_add_u32_e32 v9, -2, v9
	v_cmp_eq_u32_e32 vcc, 0, v9
	v_add_u32_e32 v5, 64, v5
	v_add_u32_e32 v4, 64, v4
	v_lshl_add_u64 v[12:13], s[6:7], 0, v[12:13]
	s_or_b64 s[8:9], vcc, s[8:9]
	v_lshl_add_u64 v[10:11], s[6:7], 0, v[10:11]
	s_waitcnt vmcnt(1)
	v_add_u32_e32 v14, v2, v1
	s_waitcnt vmcnt(0)
	v_add_u32_e32 v16, v3, v18
	v_ashrrev_i32_e32 v15, 31, v14
	v_ashrrev_i32_e32 v17, 31, v16
	v_lshl_add_u64 v[14:15], v[14:15], 2, s[2:3]
	v_lshl_add_u64 v[16:17], v[16:17], 2, s[2:3]
	global_load_dword v1, v[14:15], off
	global_load_dword v18, v[16:17], off
	s_waitcnt vmcnt(1)
	global_store_dword v[12:13], v1, off
	s_waitcnt vmcnt(1)
	global_store_dword v[10:11], v18, off
	s_andn2_b64 exec, exec, s[8:9]
	s_cbranch_execnz .LBB20_4
; %bb.5:
	s_or_b64 exec, exec, s[8:9]
	v_cmp_ne_u32_e32 vcc, v6, v7
	v_lshl_add_u32 v0, v7, 5, v0
	s_orn2_b64 s[8:9], vcc, exec
.LBB20_6:
	s_or_b64 exec, exec, s[0:1]
	s_and_b64 exec, exec, s[8:9]
	s_cbranch_execz .LBB20_9
; %bb.7:
	v_ashrrev_i32_e32 v1, 31, v0
	v_lshlrev_b64 v[6:7], 2, v[0:1]
	v_lshl_add_u64 v[4:5], s[4:5], 0, v[6:7]
	v_lshl_add_u64 v[6:7], s[6:7], 0, v[6:7]
	s_mov_b64 s[0:1], 0
	s_mov_b64 s[4:5], 0x80
.LBB20_8:                               ; =>This Inner Loop Header: Depth=1
	global_load_dword v1, v[4:5], off
	v_add_u32_e32 v0, 32, v0
	v_cmp_ge_i32_e32 vcc, v0, v8
	v_lshl_add_u64 v[4:5], v[4:5], 0, s[4:5]
	s_or_b64 s[0:1], vcc, s[0:1]
	s_waitcnt vmcnt(0)
	v_add_u32_e32 v10, v2, v1
	v_ashrrev_i32_e32 v11, 31, v10
	v_lshl_add_u64 v[10:11], v[10:11], 2, s[2:3]
	global_load_dword v1, v[10:11], off
	s_waitcnt vmcnt(0)
	global_store_dword v[6:7], v1, off
	v_lshl_add_u64 v[6:7], v[6:7], 0, s[4:5]
	s_andn2_b64 exec, exec, s[0:1]
	s_cbranch_execnz .LBB20_8
.LBB20_9:
	s_endpgm
	.section	.rodata,"a",@progbits
	.p2align	6, 0x0
	.amdhsa_kernel _ZN9rocsparseL23sddmm_csx_sample_kernelILi512ELi32EL20rocsparse_direction_1EfiifEEvT4_S2_T3_PKT5_S2_PS4_PKS3_PKS2_21rocsparse_index_base_
		.amdhsa_group_segment_fixed_size 0
		.amdhsa_private_segment_fixed_size 0
		.amdhsa_kernarg_size 60
		.amdhsa_user_sgpr_count 2
		.amdhsa_user_sgpr_dispatch_ptr 0
		.amdhsa_user_sgpr_queue_ptr 0
		.amdhsa_user_sgpr_kernarg_segment_ptr 1
		.amdhsa_user_sgpr_dispatch_id 0
		.amdhsa_user_sgpr_kernarg_preload_length 0
		.amdhsa_user_sgpr_kernarg_preload_offset 0
		.amdhsa_user_sgpr_private_segment_size 0
		.amdhsa_uses_dynamic_stack 0
		.amdhsa_enable_private_segment 0
		.amdhsa_system_sgpr_workgroup_id_x 1
		.amdhsa_system_sgpr_workgroup_id_y 0
		.amdhsa_system_sgpr_workgroup_id_z 0
		.amdhsa_system_sgpr_workgroup_info 0
		.amdhsa_system_vgpr_workitem_id 0
		.amdhsa_next_free_vgpr 19
		.amdhsa_next_free_sgpr 10
		.amdhsa_accum_offset 20
		.amdhsa_reserve_vcc 1
		.amdhsa_float_round_mode_32 0
		.amdhsa_float_round_mode_16_64 0
		.amdhsa_float_denorm_mode_32 3
		.amdhsa_float_denorm_mode_16_64 3
		.amdhsa_dx10_clamp 1
		.amdhsa_ieee_mode 1
		.amdhsa_fp16_overflow 0
		.amdhsa_tg_split 0
		.amdhsa_exception_fp_ieee_invalid_op 0
		.amdhsa_exception_fp_denorm_src 0
		.amdhsa_exception_fp_ieee_div_zero 0
		.amdhsa_exception_fp_ieee_overflow 0
		.amdhsa_exception_fp_ieee_underflow 0
		.amdhsa_exception_fp_ieee_inexact 0
		.amdhsa_exception_int_div_zero 0
	.end_amdhsa_kernel
	.section	.text._ZN9rocsparseL23sddmm_csx_sample_kernelILi512ELi32EL20rocsparse_direction_1EfiifEEvT4_S2_T3_PKT5_S2_PS4_PKS3_PKS2_21rocsparse_index_base_,"axG",@progbits,_ZN9rocsparseL23sddmm_csx_sample_kernelILi512ELi32EL20rocsparse_direction_1EfiifEEvT4_S2_T3_PKT5_S2_PS4_PKS3_PKS2_21rocsparse_index_base_,comdat
.Lfunc_end20:
	.size	_ZN9rocsparseL23sddmm_csx_sample_kernelILi512ELi32EL20rocsparse_direction_1EfiifEEvT4_S2_T3_PKT5_S2_PS4_PKS3_PKS2_21rocsparse_index_base_, .Lfunc_end20-_ZN9rocsparseL23sddmm_csx_sample_kernelILi512ELi32EL20rocsparse_direction_1EfiifEEvT4_S2_T3_PKT5_S2_PS4_PKS3_PKS2_21rocsparse_index_base_
                                        ; -- End function
	.set _ZN9rocsparseL23sddmm_csx_sample_kernelILi512ELi32EL20rocsparse_direction_1EfiifEEvT4_S2_T3_PKT5_S2_PS4_PKS3_PKS2_21rocsparse_index_base_.num_vgpr, 19
	.set _ZN9rocsparseL23sddmm_csx_sample_kernelILi512ELi32EL20rocsparse_direction_1EfiifEEvT4_S2_T3_PKT5_S2_PS4_PKS3_PKS2_21rocsparse_index_base_.num_agpr, 0
	.set _ZN9rocsparseL23sddmm_csx_sample_kernelILi512ELi32EL20rocsparse_direction_1EfiifEEvT4_S2_T3_PKT5_S2_PS4_PKS3_PKS2_21rocsparse_index_base_.numbered_sgpr, 10
	.set _ZN9rocsparseL23sddmm_csx_sample_kernelILi512ELi32EL20rocsparse_direction_1EfiifEEvT4_S2_T3_PKT5_S2_PS4_PKS3_PKS2_21rocsparse_index_base_.num_named_barrier, 0
	.set _ZN9rocsparseL23sddmm_csx_sample_kernelILi512ELi32EL20rocsparse_direction_1EfiifEEvT4_S2_T3_PKT5_S2_PS4_PKS3_PKS2_21rocsparse_index_base_.private_seg_size, 0
	.set _ZN9rocsparseL23sddmm_csx_sample_kernelILi512ELi32EL20rocsparse_direction_1EfiifEEvT4_S2_T3_PKT5_S2_PS4_PKS3_PKS2_21rocsparse_index_base_.uses_vcc, 1
	.set _ZN9rocsparseL23sddmm_csx_sample_kernelILi512ELi32EL20rocsparse_direction_1EfiifEEvT4_S2_T3_PKT5_S2_PS4_PKS3_PKS2_21rocsparse_index_base_.uses_flat_scratch, 0
	.set _ZN9rocsparseL23sddmm_csx_sample_kernelILi512ELi32EL20rocsparse_direction_1EfiifEEvT4_S2_T3_PKT5_S2_PS4_PKS3_PKS2_21rocsparse_index_base_.has_dyn_sized_stack, 0
	.set _ZN9rocsparseL23sddmm_csx_sample_kernelILi512ELi32EL20rocsparse_direction_1EfiifEEvT4_S2_T3_PKT5_S2_PS4_PKS3_PKS2_21rocsparse_index_base_.has_recursion, 0
	.set _ZN9rocsparseL23sddmm_csx_sample_kernelILi512ELi32EL20rocsparse_direction_1EfiifEEvT4_S2_T3_PKT5_S2_PS4_PKS3_PKS2_21rocsparse_index_base_.has_indirect_call, 0
	.section	.AMDGPU.csdata,"",@progbits
; Kernel info:
; codeLenInByte = 588
; TotalNumSgprs: 16
; NumVgprs: 19
; NumAgprs: 0
; TotalNumVgprs: 19
; ScratchSize: 0
; MemoryBound: 0
; FloatMode: 240
; IeeeMode: 1
; LDSByteSize: 0 bytes/workgroup (compile time only)
; SGPRBlocks: 1
; VGPRBlocks: 2
; NumSGPRsForWavesPerEU: 16
; NumVGPRsForWavesPerEU: 19
; AccumOffset: 20
; Occupancy: 8
; WaveLimiterHint : 1
; COMPUTE_PGM_RSRC2:SCRATCH_EN: 0
; COMPUTE_PGM_RSRC2:USER_SGPR: 2
; COMPUTE_PGM_RSRC2:TRAP_HANDLER: 0
; COMPUTE_PGM_RSRC2:TGID_X_EN: 1
; COMPUTE_PGM_RSRC2:TGID_Y_EN: 0
; COMPUTE_PGM_RSRC2:TGID_Z_EN: 0
; COMPUTE_PGM_RSRC2:TIDIG_COMP_CNT: 0
; COMPUTE_PGM_RSRC3_GFX90A:ACCUM_OFFSET: 4
; COMPUTE_PGM_RSRC3_GFX90A:TG_SPLIT: 0
	.section	.text._ZN9rocsparseL23sddmm_csx_sample_kernelILi512ELi16EL20rocsparse_direction_1EfiifEEvT4_S2_T3_PKT5_S2_PS4_PKS3_PKS2_21rocsparse_index_base_,"axG",@progbits,_ZN9rocsparseL23sddmm_csx_sample_kernelILi512ELi16EL20rocsparse_direction_1EfiifEEvT4_S2_T3_PKT5_S2_PS4_PKS3_PKS2_21rocsparse_index_base_,comdat
	.globl	_ZN9rocsparseL23sddmm_csx_sample_kernelILi512ELi16EL20rocsparse_direction_1EfiifEEvT4_S2_T3_PKT5_S2_PS4_PKS3_PKS2_21rocsparse_index_base_ ; -- Begin function _ZN9rocsparseL23sddmm_csx_sample_kernelILi512ELi16EL20rocsparse_direction_1EfiifEEvT4_S2_T3_PKT5_S2_PS4_PKS3_PKS2_21rocsparse_index_base_
	.p2align	8
	.type	_ZN9rocsparseL23sddmm_csx_sample_kernelILi512ELi16EL20rocsparse_direction_1EfiifEEvT4_S2_T3_PKT5_S2_PS4_PKS3_PKS2_21rocsparse_index_base_,@function
_ZN9rocsparseL23sddmm_csx_sample_kernelILi512ELi16EL20rocsparse_direction_1EfiifEEvT4_S2_T3_PKT5_S2_PS4_PKS3_PKS2_21rocsparse_index_base_: ; @_ZN9rocsparseL23sddmm_csx_sample_kernelILi512ELi16EL20rocsparse_direction_1EfiifEEvT4_S2_T3_PKT5_S2_PS4_PKS3_PKS2_21rocsparse_index_base_
; %bb.0:
	s_load_dword s3, s[0:1], 0x4
	v_lshrrev_b32_e32 v1, 4, v0
	v_lshl_or_b32 v2, s2, 5, v1
	s_waitcnt lgkmcnt(0)
	v_cmp_gt_u32_e32 vcc, s3, v2
	s_and_saveexec_b64 s[2:3], vcc
	s_cbranch_execz .LBB21_9
; %bb.1:
	s_load_dwordx2 s[2:3], s[0:1], 0x28
	s_load_dword s8, s[0:1], 0x38
	v_mov_b32_e32 v3, 0
	v_and_b32_e32 v1, 15, v0
	s_waitcnt lgkmcnt(0)
	v_lshl_add_u64 v[4:5], v[2:3], 2, s[2:3]
	global_load_dwordx2 v[4:5], v[4:5], off
	v_subrev_u32_e32 v0, s8, v1
	s_waitcnt vmcnt(0)
	v_add_u32_e32 v0, v0, v4
	v_subrev_u32_e32 v8, s8, v5
	v_cmp_lt_i32_e32 vcc, v0, v8
	s_and_b64 exec, exec, vcc
	s_cbranch_execz .LBB21_9
; %bb.2:
	v_add_u32_e32 v3, v4, v1
	v_subrev_u32_e32 v3, s8, v3
	s_load_dwordx2 s[4:5], s[0:1], 0x30
	s_load_dword s9, s[0:1], 0x18
	s_load_dwordx2 s[6:7], s[0:1], 0x20
	s_load_dwordx2 s[2:3], s[0:1], 0x10
	v_add_u32_e32 v3, 16, v3
	v_max_i32_e32 v3, v3, v8
	v_not_b32_e32 v4, v4
	v_add3_u32 v3, s8, v3, v4
	s_waitcnt lgkmcnt(0)
	v_mul_lo_u32 v2, s9, v2
	v_sub_u32_e32 v1, v3, v1
	v_subrev_u32_e32 v2, s8, v2
	v_cmp_lt_u32_e32 vcc, 15, v1
	s_mov_b64 s[8:9], -1
	s_and_saveexec_b64 s[0:1], vcc
	s_cbranch_execz .LBB21_6
; %bb.3:
	v_lshrrev_b32_e32 v1, 4, v1
	v_add_u32_e32 v6, 1, v1
	v_and_b32_e32 v7, 0x1ffffffe, v6
	v_add_u32_e32 v1, 16, v0
	v_mov_b32_e32 v3, v2
	s_mov_b64 s[8:9], 0
	v_mov_b32_e32 v9, v7
	v_mov_b64_e32 v[4:5], v[0:1]
.LBB21_4:                               ; =>This Inner Loop Header: Depth=1
	v_ashrrev_i32_e32 v13, 31, v4
	v_mov_b32_e32 v12, v4
	v_ashrrev_i32_e32 v11, 31, v5
	v_mov_b32_e32 v10, v5
	v_lshlrev_b64 v[12:13], 2, v[12:13]
	v_lshlrev_b64 v[10:11], 2, v[10:11]
	v_lshl_add_u64 v[14:15], s[4:5], 0, v[12:13]
	v_lshl_add_u64 v[16:17], s[4:5], 0, v[10:11]
	global_load_dword v1, v[14:15], off
	global_load_dword v18, v[16:17], off
	v_add_u32_e32 v9, -2, v9
	v_cmp_eq_u32_e32 vcc, 0, v9
	v_add_u32_e32 v5, 32, v5
	v_add_u32_e32 v4, 32, v4
	v_lshl_add_u64 v[12:13], s[6:7], 0, v[12:13]
	s_or_b64 s[8:9], vcc, s[8:9]
	v_lshl_add_u64 v[10:11], s[6:7], 0, v[10:11]
	s_waitcnt vmcnt(1)
	v_add_u32_e32 v14, v2, v1
	s_waitcnt vmcnt(0)
	v_add_u32_e32 v16, v3, v18
	v_ashrrev_i32_e32 v15, 31, v14
	v_ashrrev_i32_e32 v17, 31, v16
	v_lshl_add_u64 v[14:15], v[14:15], 2, s[2:3]
	v_lshl_add_u64 v[16:17], v[16:17], 2, s[2:3]
	global_load_dword v1, v[14:15], off
	global_load_dword v18, v[16:17], off
	s_waitcnt vmcnt(1)
	global_store_dword v[12:13], v1, off
	s_waitcnt vmcnt(1)
	global_store_dword v[10:11], v18, off
	s_andn2_b64 exec, exec, s[8:9]
	s_cbranch_execnz .LBB21_4
; %bb.5:
	s_or_b64 exec, exec, s[8:9]
	v_cmp_ne_u32_e32 vcc, v6, v7
	v_lshl_add_u32 v0, v7, 4, v0
	s_orn2_b64 s[8:9], vcc, exec
.LBB21_6:
	s_or_b64 exec, exec, s[0:1]
	s_and_b64 exec, exec, s[8:9]
	s_cbranch_execz .LBB21_9
; %bb.7:
	v_ashrrev_i32_e32 v1, 31, v0
	v_lshlrev_b64 v[6:7], 2, v[0:1]
	v_lshl_add_u64 v[4:5], s[4:5], 0, v[6:7]
	v_lshl_add_u64 v[6:7], s[6:7], 0, v[6:7]
	s_mov_b64 s[0:1], 0
.LBB21_8:                               ; =>This Inner Loop Header: Depth=1
	global_load_dword v1, v[4:5], off
	v_add_u32_e32 v0, 16, v0
	v_cmp_ge_i32_e32 vcc, v0, v8
	v_lshl_add_u64 v[4:5], v[4:5], 0, 64
	s_or_b64 s[0:1], vcc, s[0:1]
	s_waitcnt vmcnt(0)
	v_add_u32_e32 v10, v2, v1
	v_ashrrev_i32_e32 v11, 31, v10
	v_lshl_add_u64 v[10:11], v[10:11], 2, s[2:3]
	global_load_dword v1, v[10:11], off
	s_waitcnt vmcnt(0)
	global_store_dword v[6:7], v1, off
	v_lshl_add_u64 v[6:7], v[6:7], 0, 64
	s_andn2_b64 exec, exec, s[0:1]
	s_cbranch_execnz .LBB21_8
.LBB21_9:
	s_endpgm
	.section	.rodata,"a",@progbits
	.p2align	6, 0x0
	.amdhsa_kernel _ZN9rocsparseL23sddmm_csx_sample_kernelILi512ELi16EL20rocsparse_direction_1EfiifEEvT4_S2_T3_PKT5_S2_PS4_PKS3_PKS2_21rocsparse_index_base_
		.amdhsa_group_segment_fixed_size 0
		.amdhsa_private_segment_fixed_size 0
		.amdhsa_kernarg_size 60
		.amdhsa_user_sgpr_count 2
		.amdhsa_user_sgpr_dispatch_ptr 0
		.amdhsa_user_sgpr_queue_ptr 0
		.amdhsa_user_sgpr_kernarg_segment_ptr 1
		.amdhsa_user_sgpr_dispatch_id 0
		.amdhsa_user_sgpr_kernarg_preload_length 0
		.amdhsa_user_sgpr_kernarg_preload_offset 0
		.amdhsa_user_sgpr_private_segment_size 0
		.amdhsa_uses_dynamic_stack 0
		.amdhsa_enable_private_segment 0
		.amdhsa_system_sgpr_workgroup_id_x 1
		.amdhsa_system_sgpr_workgroup_id_y 0
		.amdhsa_system_sgpr_workgroup_id_z 0
		.amdhsa_system_sgpr_workgroup_info 0
		.amdhsa_system_vgpr_workitem_id 0
		.amdhsa_next_free_vgpr 19
		.amdhsa_next_free_sgpr 10
		.amdhsa_accum_offset 20
		.amdhsa_reserve_vcc 1
		.amdhsa_float_round_mode_32 0
		.amdhsa_float_round_mode_16_64 0
		.amdhsa_float_denorm_mode_32 3
		.amdhsa_float_denorm_mode_16_64 3
		.amdhsa_dx10_clamp 1
		.amdhsa_ieee_mode 1
		.amdhsa_fp16_overflow 0
		.amdhsa_tg_split 0
		.amdhsa_exception_fp_ieee_invalid_op 0
		.amdhsa_exception_fp_denorm_src 0
		.amdhsa_exception_fp_ieee_div_zero 0
		.amdhsa_exception_fp_ieee_overflow 0
		.amdhsa_exception_fp_ieee_underflow 0
		.amdhsa_exception_fp_ieee_inexact 0
		.amdhsa_exception_int_div_zero 0
	.end_amdhsa_kernel
	.section	.text._ZN9rocsparseL23sddmm_csx_sample_kernelILi512ELi16EL20rocsparse_direction_1EfiifEEvT4_S2_T3_PKT5_S2_PS4_PKS3_PKS2_21rocsparse_index_base_,"axG",@progbits,_ZN9rocsparseL23sddmm_csx_sample_kernelILi512ELi16EL20rocsparse_direction_1EfiifEEvT4_S2_T3_PKT5_S2_PS4_PKS3_PKS2_21rocsparse_index_base_,comdat
.Lfunc_end21:
	.size	_ZN9rocsparseL23sddmm_csx_sample_kernelILi512ELi16EL20rocsparse_direction_1EfiifEEvT4_S2_T3_PKT5_S2_PS4_PKS3_PKS2_21rocsparse_index_base_, .Lfunc_end21-_ZN9rocsparseL23sddmm_csx_sample_kernelILi512ELi16EL20rocsparse_direction_1EfiifEEvT4_S2_T3_PKT5_S2_PS4_PKS3_PKS2_21rocsparse_index_base_
                                        ; -- End function
	.set _ZN9rocsparseL23sddmm_csx_sample_kernelILi512ELi16EL20rocsparse_direction_1EfiifEEvT4_S2_T3_PKT5_S2_PS4_PKS3_PKS2_21rocsparse_index_base_.num_vgpr, 19
	.set _ZN9rocsparseL23sddmm_csx_sample_kernelILi512ELi16EL20rocsparse_direction_1EfiifEEvT4_S2_T3_PKT5_S2_PS4_PKS3_PKS2_21rocsparse_index_base_.num_agpr, 0
	.set _ZN9rocsparseL23sddmm_csx_sample_kernelILi512ELi16EL20rocsparse_direction_1EfiifEEvT4_S2_T3_PKT5_S2_PS4_PKS3_PKS2_21rocsparse_index_base_.numbered_sgpr, 10
	.set _ZN9rocsparseL23sddmm_csx_sample_kernelILi512ELi16EL20rocsparse_direction_1EfiifEEvT4_S2_T3_PKT5_S2_PS4_PKS3_PKS2_21rocsparse_index_base_.num_named_barrier, 0
	.set _ZN9rocsparseL23sddmm_csx_sample_kernelILi512ELi16EL20rocsparse_direction_1EfiifEEvT4_S2_T3_PKT5_S2_PS4_PKS3_PKS2_21rocsparse_index_base_.private_seg_size, 0
	.set _ZN9rocsparseL23sddmm_csx_sample_kernelILi512ELi16EL20rocsparse_direction_1EfiifEEvT4_S2_T3_PKT5_S2_PS4_PKS3_PKS2_21rocsparse_index_base_.uses_vcc, 1
	.set _ZN9rocsparseL23sddmm_csx_sample_kernelILi512ELi16EL20rocsparse_direction_1EfiifEEvT4_S2_T3_PKT5_S2_PS4_PKS3_PKS2_21rocsparse_index_base_.uses_flat_scratch, 0
	.set _ZN9rocsparseL23sddmm_csx_sample_kernelILi512ELi16EL20rocsparse_direction_1EfiifEEvT4_S2_T3_PKT5_S2_PS4_PKS3_PKS2_21rocsparse_index_base_.has_dyn_sized_stack, 0
	.set _ZN9rocsparseL23sddmm_csx_sample_kernelILi512ELi16EL20rocsparse_direction_1EfiifEEvT4_S2_T3_PKT5_S2_PS4_PKS3_PKS2_21rocsparse_index_base_.has_recursion, 0
	.set _ZN9rocsparseL23sddmm_csx_sample_kernelILi512ELi16EL20rocsparse_direction_1EfiifEEvT4_S2_T3_PKT5_S2_PS4_PKS3_PKS2_21rocsparse_index_base_.has_indirect_call, 0
	.section	.AMDGPU.csdata,"",@progbits
; Kernel info:
; codeLenInByte = 580
; TotalNumSgprs: 16
; NumVgprs: 19
; NumAgprs: 0
; TotalNumVgprs: 19
; ScratchSize: 0
; MemoryBound: 0
; FloatMode: 240
; IeeeMode: 1
; LDSByteSize: 0 bytes/workgroup (compile time only)
; SGPRBlocks: 1
; VGPRBlocks: 2
; NumSGPRsForWavesPerEU: 16
; NumVGPRsForWavesPerEU: 19
; AccumOffset: 20
; Occupancy: 8
; WaveLimiterHint : 1
; COMPUTE_PGM_RSRC2:SCRATCH_EN: 0
; COMPUTE_PGM_RSRC2:USER_SGPR: 2
; COMPUTE_PGM_RSRC2:TRAP_HANDLER: 0
; COMPUTE_PGM_RSRC2:TGID_X_EN: 1
; COMPUTE_PGM_RSRC2:TGID_Y_EN: 0
; COMPUTE_PGM_RSRC2:TGID_Z_EN: 0
; COMPUTE_PGM_RSRC2:TIDIG_COMP_CNT: 0
; COMPUTE_PGM_RSRC3_GFX90A:ACCUM_OFFSET: 4
; COMPUTE_PGM_RSRC3_GFX90A:TG_SPLIT: 0
	.section	.text._ZN9rocsparseL23sddmm_csx_sample_kernelILi512ELi8EL20rocsparse_direction_1EfiifEEvT4_S2_T3_PKT5_S2_PS4_PKS3_PKS2_21rocsparse_index_base_,"axG",@progbits,_ZN9rocsparseL23sddmm_csx_sample_kernelILi512ELi8EL20rocsparse_direction_1EfiifEEvT4_S2_T3_PKT5_S2_PS4_PKS3_PKS2_21rocsparse_index_base_,comdat
	.globl	_ZN9rocsparseL23sddmm_csx_sample_kernelILi512ELi8EL20rocsparse_direction_1EfiifEEvT4_S2_T3_PKT5_S2_PS4_PKS3_PKS2_21rocsparse_index_base_ ; -- Begin function _ZN9rocsparseL23sddmm_csx_sample_kernelILi512ELi8EL20rocsparse_direction_1EfiifEEvT4_S2_T3_PKT5_S2_PS4_PKS3_PKS2_21rocsparse_index_base_
	.p2align	8
	.type	_ZN9rocsparseL23sddmm_csx_sample_kernelILi512ELi8EL20rocsparse_direction_1EfiifEEvT4_S2_T3_PKT5_S2_PS4_PKS3_PKS2_21rocsparse_index_base_,@function
_ZN9rocsparseL23sddmm_csx_sample_kernelILi512ELi8EL20rocsparse_direction_1EfiifEEvT4_S2_T3_PKT5_S2_PS4_PKS3_PKS2_21rocsparse_index_base_: ; @_ZN9rocsparseL23sddmm_csx_sample_kernelILi512ELi8EL20rocsparse_direction_1EfiifEEvT4_S2_T3_PKT5_S2_PS4_PKS3_PKS2_21rocsparse_index_base_
; %bb.0:
	s_load_dword s3, s[0:1], 0x4
	v_lshrrev_b32_e32 v1, 3, v0
	v_lshl_or_b32 v2, s2, 6, v1
	s_waitcnt lgkmcnt(0)
	v_cmp_gt_u32_e32 vcc, s3, v2
	s_and_saveexec_b64 s[2:3], vcc
	s_cbranch_execz .LBB22_9
; %bb.1:
	s_load_dwordx2 s[2:3], s[0:1], 0x28
	s_load_dword s8, s[0:1], 0x38
	v_mov_b32_e32 v3, 0
	v_and_b32_e32 v1, 7, v0
	s_waitcnt lgkmcnt(0)
	v_lshl_add_u64 v[4:5], v[2:3], 2, s[2:3]
	global_load_dwordx2 v[4:5], v[4:5], off
	v_subrev_u32_e32 v0, s8, v1
	s_waitcnt vmcnt(0)
	v_add_u32_e32 v0, v0, v4
	v_subrev_u32_e32 v8, s8, v5
	v_cmp_lt_i32_e32 vcc, v0, v8
	s_and_b64 exec, exec, vcc
	s_cbranch_execz .LBB22_9
; %bb.2:
	v_add_u32_e32 v3, v4, v1
	v_subrev_u32_e32 v3, s8, v3
	s_load_dwordx2 s[4:5], s[0:1], 0x30
	s_load_dword s9, s[0:1], 0x18
	s_load_dwordx2 s[6:7], s[0:1], 0x20
	s_load_dwordx2 s[2:3], s[0:1], 0x10
	v_add_u32_e32 v3, 8, v3
	v_max_i32_e32 v3, v3, v8
	v_not_b32_e32 v4, v4
	v_add3_u32 v3, s8, v3, v4
	s_waitcnt lgkmcnt(0)
	v_mul_lo_u32 v2, s9, v2
	v_sub_u32_e32 v1, v3, v1
	v_subrev_u32_e32 v2, s8, v2
	v_cmp_lt_u32_e32 vcc, 7, v1
	s_mov_b64 s[8:9], -1
	s_and_saveexec_b64 s[0:1], vcc
	s_cbranch_execz .LBB22_6
; %bb.3:
	v_lshrrev_b32_e32 v1, 3, v1
	v_add_u32_e32 v6, 1, v1
	v_and_b32_e32 v7, 0x3ffffffe, v6
	v_add_u32_e32 v1, 8, v0
	v_mov_b32_e32 v3, v2
	s_mov_b64 s[8:9], 0
	v_mov_b32_e32 v9, v7
	v_mov_b64_e32 v[4:5], v[0:1]
.LBB22_4:                               ; =>This Inner Loop Header: Depth=1
	v_ashrrev_i32_e32 v13, 31, v4
	v_mov_b32_e32 v12, v4
	v_ashrrev_i32_e32 v11, 31, v5
	v_mov_b32_e32 v10, v5
	v_lshlrev_b64 v[12:13], 2, v[12:13]
	v_lshlrev_b64 v[10:11], 2, v[10:11]
	v_lshl_add_u64 v[14:15], s[4:5], 0, v[12:13]
	v_lshl_add_u64 v[16:17], s[4:5], 0, v[10:11]
	global_load_dword v1, v[14:15], off
	global_load_dword v18, v[16:17], off
	v_add_u32_e32 v9, -2, v9
	v_cmp_eq_u32_e32 vcc, 0, v9
	v_add_u32_e32 v5, 16, v5
	v_add_u32_e32 v4, 16, v4
	v_lshl_add_u64 v[12:13], s[6:7], 0, v[12:13]
	s_or_b64 s[8:9], vcc, s[8:9]
	v_lshl_add_u64 v[10:11], s[6:7], 0, v[10:11]
	s_waitcnt vmcnt(1)
	v_add_u32_e32 v14, v2, v1
	s_waitcnt vmcnt(0)
	v_add_u32_e32 v16, v3, v18
	v_ashrrev_i32_e32 v15, 31, v14
	v_ashrrev_i32_e32 v17, 31, v16
	v_lshl_add_u64 v[14:15], v[14:15], 2, s[2:3]
	v_lshl_add_u64 v[16:17], v[16:17], 2, s[2:3]
	global_load_dword v1, v[14:15], off
	global_load_dword v18, v[16:17], off
	s_waitcnt vmcnt(1)
	global_store_dword v[12:13], v1, off
	s_waitcnt vmcnt(1)
	global_store_dword v[10:11], v18, off
	s_andn2_b64 exec, exec, s[8:9]
	s_cbranch_execnz .LBB22_4
; %bb.5:
	s_or_b64 exec, exec, s[8:9]
	v_cmp_ne_u32_e32 vcc, v6, v7
	v_lshl_add_u32 v0, v7, 3, v0
	s_orn2_b64 s[8:9], vcc, exec
.LBB22_6:
	s_or_b64 exec, exec, s[0:1]
	s_and_b64 exec, exec, s[8:9]
	s_cbranch_execz .LBB22_9
; %bb.7:
	v_ashrrev_i32_e32 v1, 31, v0
	v_lshlrev_b64 v[6:7], 2, v[0:1]
	v_lshl_add_u64 v[4:5], s[4:5], 0, v[6:7]
	v_lshl_add_u64 v[6:7], s[6:7], 0, v[6:7]
	s_mov_b64 s[0:1], 0
.LBB22_8:                               ; =>This Inner Loop Header: Depth=1
	global_load_dword v1, v[4:5], off
	v_add_u32_e32 v0, 8, v0
	v_cmp_ge_i32_e32 vcc, v0, v8
	v_lshl_add_u64 v[4:5], v[4:5], 0, 32
	s_or_b64 s[0:1], vcc, s[0:1]
	s_waitcnt vmcnt(0)
	v_add_u32_e32 v10, v2, v1
	v_ashrrev_i32_e32 v11, 31, v10
	v_lshl_add_u64 v[10:11], v[10:11], 2, s[2:3]
	global_load_dword v1, v[10:11], off
	s_waitcnt vmcnt(0)
	global_store_dword v[6:7], v1, off
	v_lshl_add_u64 v[6:7], v[6:7], 0, 32
	s_andn2_b64 exec, exec, s[0:1]
	s_cbranch_execnz .LBB22_8
.LBB22_9:
	s_endpgm
	.section	.rodata,"a",@progbits
	.p2align	6, 0x0
	.amdhsa_kernel _ZN9rocsparseL23sddmm_csx_sample_kernelILi512ELi8EL20rocsparse_direction_1EfiifEEvT4_S2_T3_PKT5_S2_PS4_PKS3_PKS2_21rocsparse_index_base_
		.amdhsa_group_segment_fixed_size 0
		.amdhsa_private_segment_fixed_size 0
		.amdhsa_kernarg_size 60
		.amdhsa_user_sgpr_count 2
		.amdhsa_user_sgpr_dispatch_ptr 0
		.amdhsa_user_sgpr_queue_ptr 0
		.amdhsa_user_sgpr_kernarg_segment_ptr 1
		.amdhsa_user_sgpr_dispatch_id 0
		.amdhsa_user_sgpr_kernarg_preload_length 0
		.amdhsa_user_sgpr_kernarg_preload_offset 0
		.amdhsa_user_sgpr_private_segment_size 0
		.amdhsa_uses_dynamic_stack 0
		.amdhsa_enable_private_segment 0
		.amdhsa_system_sgpr_workgroup_id_x 1
		.amdhsa_system_sgpr_workgroup_id_y 0
		.amdhsa_system_sgpr_workgroup_id_z 0
		.amdhsa_system_sgpr_workgroup_info 0
		.amdhsa_system_vgpr_workitem_id 0
		.amdhsa_next_free_vgpr 19
		.amdhsa_next_free_sgpr 10
		.amdhsa_accum_offset 20
		.amdhsa_reserve_vcc 1
		.amdhsa_float_round_mode_32 0
		.amdhsa_float_round_mode_16_64 0
		.amdhsa_float_denorm_mode_32 3
		.amdhsa_float_denorm_mode_16_64 3
		.amdhsa_dx10_clamp 1
		.amdhsa_ieee_mode 1
		.amdhsa_fp16_overflow 0
		.amdhsa_tg_split 0
		.amdhsa_exception_fp_ieee_invalid_op 0
		.amdhsa_exception_fp_denorm_src 0
		.amdhsa_exception_fp_ieee_div_zero 0
		.amdhsa_exception_fp_ieee_overflow 0
		.amdhsa_exception_fp_ieee_underflow 0
		.amdhsa_exception_fp_ieee_inexact 0
		.amdhsa_exception_int_div_zero 0
	.end_amdhsa_kernel
	.section	.text._ZN9rocsparseL23sddmm_csx_sample_kernelILi512ELi8EL20rocsparse_direction_1EfiifEEvT4_S2_T3_PKT5_S2_PS4_PKS3_PKS2_21rocsparse_index_base_,"axG",@progbits,_ZN9rocsparseL23sddmm_csx_sample_kernelILi512ELi8EL20rocsparse_direction_1EfiifEEvT4_S2_T3_PKT5_S2_PS4_PKS3_PKS2_21rocsparse_index_base_,comdat
.Lfunc_end22:
	.size	_ZN9rocsparseL23sddmm_csx_sample_kernelILi512ELi8EL20rocsparse_direction_1EfiifEEvT4_S2_T3_PKT5_S2_PS4_PKS3_PKS2_21rocsparse_index_base_, .Lfunc_end22-_ZN9rocsparseL23sddmm_csx_sample_kernelILi512ELi8EL20rocsparse_direction_1EfiifEEvT4_S2_T3_PKT5_S2_PS4_PKS3_PKS2_21rocsparse_index_base_
                                        ; -- End function
	.set _ZN9rocsparseL23sddmm_csx_sample_kernelILi512ELi8EL20rocsparse_direction_1EfiifEEvT4_S2_T3_PKT5_S2_PS4_PKS3_PKS2_21rocsparse_index_base_.num_vgpr, 19
	.set _ZN9rocsparseL23sddmm_csx_sample_kernelILi512ELi8EL20rocsparse_direction_1EfiifEEvT4_S2_T3_PKT5_S2_PS4_PKS3_PKS2_21rocsparse_index_base_.num_agpr, 0
	.set _ZN9rocsparseL23sddmm_csx_sample_kernelILi512ELi8EL20rocsparse_direction_1EfiifEEvT4_S2_T3_PKT5_S2_PS4_PKS3_PKS2_21rocsparse_index_base_.numbered_sgpr, 10
	.set _ZN9rocsparseL23sddmm_csx_sample_kernelILi512ELi8EL20rocsparse_direction_1EfiifEEvT4_S2_T3_PKT5_S2_PS4_PKS3_PKS2_21rocsparse_index_base_.num_named_barrier, 0
	.set _ZN9rocsparseL23sddmm_csx_sample_kernelILi512ELi8EL20rocsparse_direction_1EfiifEEvT4_S2_T3_PKT5_S2_PS4_PKS3_PKS2_21rocsparse_index_base_.private_seg_size, 0
	.set _ZN9rocsparseL23sddmm_csx_sample_kernelILi512ELi8EL20rocsparse_direction_1EfiifEEvT4_S2_T3_PKT5_S2_PS4_PKS3_PKS2_21rocsparse_index_base_.uses_vcc, 1
	.set _ZN9rocsparseL23sddmm_csx_sample_kernelILi512ELi8EL20rocsparse_direction_1EfiifEEvT4_S2_T3_PKT5_S2_PS4_PKS3_PKS2_21rocsparse_index_base_.uses_flat_scratch, 0
	.set _ZN9rocsparseL23sddmm_csx_sample_kernelILi512ELi8EL20rocsparse_direction_1EfiifEEvT4_S2_T3_PKT5_S2_PS4_PKS3_PKS2_21rocsparse_index_base_.has_dyn_sized_stack, 0
	.set _ZN9rocsparseL23sddmm_csx_sample_kernelILi512ELi8EL20rocsparse_direction_1EfiifEEvT4_S2_T3_PKT5_S2_PS4_PKS3_PKS2_21rocsparse_index_base_.has_recursion, 0
	.set _ZN9rocsparseL23sddmm_csx_sample_kernelILi512ELi8EL20rocsparse_direction_1EfiifEEvT4_S2_T3_PKT5_S2_PS4_PKS3_PKS2_21rocsparse_index_base_.has_indirect_call, 0
	.section	.AMDGPU.csdata,"",@progbits
; Kernel info:
; codeLenInByte = 580
; TotalNumSgprs: 16
; NumVgprs: 19
; NumAgprs: 0
; TotalNumVgprs: 19
; ScratchSize: 0
; MemoryBound: 0
; FloatMode: 240
; IeeeMode: 1
; LDSByteSize: 0 bytes/workgroup (compile time only)
; SGPRBlocks: 1
; VGPRBlocks: 2
; NumSGPRsForWavesPerEU: 16
; NumVGPRsForWavesPerEU: 19
; AccumOffset: 20
; Occupancy: 8
; WaveLimiterHint : 1
; COMPUTE_PGM_RSRC2:SCRATCH_EN: 0
; COMPUTE_PGM_RSRC2:USER_SGPR: 2
; COMPUTE_PGM_RSRC2:TRAP_HANDLER: 0
; COMPUTE_PGM_RSRC2:TGID_X_EN: 1
; COMPUTE_PGM_RSRC2:TGID_Y_EN: 0
; COMPUTE_PGM_RSRC2:TGID_Z_EN: 0
; COMPUTE_PGM_RSRC2:TIDIG_COMP_CNT: 0
; COMPUTE_PGM_RSRC3_GFX90A:ACCUM_OFFSET: 4
; COMPUTE_PGM_RSRC3_GFX90A:TG_SPLIT: 0
	.section	.text._ZN9rocsparseL23sddmm_csx_sample_kernelILi512ELi4EL20rocsparse_direction_1EfiifEEvT4_S2_T3_PKT5_S2_PS4_PKS3_PKS2_21rocsparse_index_base_,"axG",@progbits,_ZN9rocsparseL23sddmm_csx_sample_kernelILi512ELi4EL20rocsparse_direction_1EfiifEEvT4_S2_T3_PKT5_S2_PS4_PKS3_PKS2_21rocsparse_index_base_,comdat
	.globl	_ZN9rocsparseL23sddmm_csx_sample_kernelILi512ELi4EL20rocsparse_direction_1EfiifEEvT4_S2_T3_PKT5_S2_PS4_PKS3_PKS2_21rocsparse_index_base_ ; -- Begin function _ZN9rocsparseL23sddmm_csx_sample_kernelILi512ELi4EL20rocsparse_direction_1EfiifEEvT4_S2_T3_PKT5_S2_PS4_PKS3_PKS2_21rocsparse_index_base_
	.p2align	8
	.type	_ZN9rocsparseL23sddmm_csx_sample_kernelILi512ELi4EL20rocsparse_direction_1EfiifEEvT4_S2_T3_PKT5_S2_PS4_PKS3_PKS2_21rocsparse_index_base_,@function
_ZN9rocsparseL23sddmm_csx_sample_kernelILi512ELi4EL20rocsparse_direction_1EfiifEEvT4_S2_T3_PKT5_S2_PS4_PKS3_PKS2_21rocsparse_index_base_: ; @_ZN9rocsparseL23sddmm_csx_sample_kernelILi512ELi4EL20rocsparse_direction_1EfiifEEvT4_S2_T3_PKT5_S2_PS4_PKS3_PKS2_21rocsparse_index_base_
; %bb.0:
	s_load_dword s3, s[0:1], 0x4
	v_lshrrev_b32_e32 v1, 2, v0
	v_lshl_or_b32 v2, s2, 7, v1
	s_waitcnt lgkmcnt(0)
	v_cmp_gt_u32_e32 vcc, s3, v2
	s_and_saveexec_b64 s[2:3], vcc
	s_cbranch_execz .LBB23_9
; %bb.1:
	s_load_dwordx2 s[2:3], s[0:1], 0x28
	s_load_dword s8, s[0:1], 0x38
	v_mov_b32_e32 v3, 0
	v_and_b32_e32 v1, 3, v0
	s_waitcnt lgkmcnt(0)
	v_lshl_add_u64 v[4:5], v[2:3], 2, s[2:3]
	global_load_dwordx2 v[4:5], v[4:5], off
	v_subrev_u32_e32 v0, s8, v1
	s_waitcnt vmcnt(0)
	v_add_u32_e32 v0, v0, v4
	v_subrev_u32_e32 v8, s8, v5
	v_cmp_lt_i32_e32 vcc, v0, v8
	s_and_b64 exec, exec, vcc
	s_cbranch_execz .LBB23_9
; %bb.2:
	v_add_u32_e32 v3, v4, v1
	v_subrev_u32_e32 v3, s8, v3
	s_load_dwordx2 s[4:5], s[0:1], 0x30
	s_load_dword s9, s[0:1], 0x18
	s_load_dwordx2 s[6:7], s[0:1], 0x20
	s_load_dwordx2 s[2:3], s[0:1], 0x10
	v_add_u32_e32 v3, 4, v3
	v_max_i32_e32 v3, v3, v8
	v_not_b32_e32 v4, v4
	v_add3_u32 v3, s8, v3, v4
	s_waitcnt lgkmcnt(0)
	v_mul_lo_u32 v2, s9, v2
	v_sub_u32_e32 v1, v3, v1
	v_subrev_u32_e32 v2, s8, v2
	v_cmp_lt_u32_e32 vcc, 3, v1
	s_mov_b64 s[8:9], -1
	s_and_saveexec_b64 s[0:1], vcc
	s_cbranch_execz .LBB23_6
; %bb.3:
	v_lshrrev_b32_e32 v1, 2, v1
	v_add_u32_e32 v6, 1, v1
	v_and_b32_e32 v7, 0x7ffffffe, v6
	v_add_u32_e32 v1, 4, v0
	v_mov_b32_e32 v3, v2
	s_mov_b64 s[8:9], 0
	v_mov_b32_e32 v9, v7
	v_mov_b64_e32 v[4:5], v[0:1]
.LBB23_4:                               ; =>This Inner Loop Header: Depth=1
	v_ashrrev_i32_e32 v13, 31, v4
	v_mov_b32_e32 v12, v4
	v_ashrrev_i32_e32 v11, 31, v5
	v_mov_b32_e32 v10, v5
	v_lshlrev_b64 v[12:13], 2, v[12:13]
	v_lshlrev_b64 v[10:11], 2, v[10:11]
	v_lshl_add_u64 v[14:15], s[4:5], 0, v[12:13]
	v_lshl_add_u64 v[16:17], s[4:5], 0, v[10:11]
	global_load_dword v1, v[14:15], off
	global_load_dword v18, v[16:17], off
	v_add_u32_e32 v9, -2, v9
	v_cmp_eq_u32_e32 vcc, 0, v9
	v_add_u32_e32 v5, 8, v5
	v_add_u32_e32 v4, 8, v4
	v_lshl_add_u64 v[12:13], s[6:7], 0, v[12:13]
	s_or_b64 s[8:9], vcc, s[8:9]
	v_lshl_add_u64 v[10:11], s[6:7], 0, v[10:11]
	s_waitcnt vmcnt(1)
	v_add_u32_e32 v14, v2, v1
	s_waitcnt vmcnt(0)
	v_add_u32_e32 v16, v3, v18
	v_ashrrev_i32_e32 v15, 31, v14
	v_ashrrev_i32_e32 v17, 31, v16
	v_lshl_add_u64 v[14:15], v[14:15], 2, s[2:3]
	v_lshl_add_u64 v[16:17], v[16:17], 2, s[2:3]
	global_load_dword v1, v[14:15], off
	global_load_dword v18, v[16:17], off
	s_waitcnt vmcnt(1)
	global_store_dword v[12:13], v1, off
	s_waitcnt vmcnt(1)
	global_store_dword v[10:11], v18, off
	s_andn2_b64 exec, exec, s[8:9]
	s_cbranch_execnz .LBB23_4
; %bb.5:
	s_or_b64 exec, exec, s[8:9]
	v_cmp_ne_u32_e32 vcc, v6, v7
	v_lshl_add_u32 v0, v7, 2, v0
	s_orn2_b64 s[8:9], vcc, exec
.LBB23_6:
	s_or_b64 exec, exec, s[0:1]
	s_and_b64 exec, exec, s[8:9]
	s_cbranch_execz .LBB23_9
; %bb.7:
	v_ashrrev_i32_e32 v1, 31, v0
	v_lshlrev_b64 v[6:7], 2, v[0:1]
	v_lshl_add_u64 v[4:5], s[4:5], 0, v[6:7]
	v_lshl_add_u64 v[6:7], s[6:7], 0, v[6:7]
	s_mov_b64 s[0:1], 0
.LBB23_8:                               ; =>This Inner Loop Header: Depth=1
	global_load_dword v1, v[4:5], off
	v_add_u32_e32 v0, 4, v0
	v_cmp_ge_i32_e32 vcc, v0, v8
	v_lshl_add_u64 v[4:5], v[4:5], 0, 16
	s_or_b64 s[0:1], vcc, s[0:1]
	s_waitcnt vmcnt(0)
	v_add_u32_e32 v10, v2, v1
	v_ashrrev_i32_e32 v11, 31, v10
	v_lshl_add_u64 v[10:11], v[10:11], 2, s[2:3]
	global_load_dword v1, v[10:11], off
	s_waitcnt vmcnt(0)
	global_store_dword v[6:7], v1, off
	v_lshl_add_u64 v[6:7], v[6:7], 0, 16
	s_andn2_b64 exec, exec, s[0:1]
	s_cbranch_execnz .LBB23_8
.LBB23_9:
	s_endpgm
	.section	.rodata,"a",@progbits
	.p2align	6, 0x0
	.amdhsa_kernel _ZN9rocsparseL23sddmm_csx_sample_kernelILi512ELi4EL20rocsparse_direction_1EfiifEEvT4_S2_T3_PKT5_S2_PS4_PKS3_PKS2_21rocsparse_index_base_
		.amdhsa_group_segment_fixed_size 0
		.amdhsa_private_segment_fixed_size 0
		.amdhsa_kernarg_size 60
		.amdhsa_user_sgpr_count 2
		.amdhsa_user_sgpr_dispatch_ptr 0
		.amdhsa_user_sgpr_queue_ptr 0
		.amdhsa_user_sgpr_kernarg_segment_ptr 1
		.amdhsa_user_sgpr_dispatch_id 0
		.amdhsa_user_sgpr_kernarg_preload_length 0
		.amdhsa_user_sgpr_kernarg_preload_offset 0
		.amdhsa_user_sgpr_private_segment_size 0
		.amdhsa_uses_dynamic_stack 0
		.amdhsa_enable_private_segment 0
		.amdhsa_system_sgpr_workgroup_id_x 1
		.amdhsa_system_sgpr_workgroup_id_y 0
		.amdhsa_system_sgpr_workgroup_id_z 0
		.amdhsa_system_sgpr_workgroup_info 0
		.amdhsa_system_vgpr_workitem_id 0
		.amdhsa_next_free_vgpr 19
		.amdhsa_next_free_sgpr 10
		.amdhsa_accum_offset 20
		.amdhsa_reserve_vcc 1
		.amdhsa_float_round_mode_32 0
		.amdhsa_float_round_mode_16_64 0
		.amdhsa_float_denorm_mode_32 3
		.amdhsa_float_denorm_mode_16_64 3
		.amdhsa_dx10_clamp 1
		.amdhsa_ieee_mode 1
		.amdhsa_fp16_overflow 0
		.amdhsa_tg_split 0
		.amdhsa_exception_fp_ieee_invalid_op 0
		.amdhsa_exception_fp_denorm_src 0
		.amdhsa_exception_fp_ieee_div_zero 0
		.amdhsa_exception_fp_ieee_overflow 0
		.amdhsa_exception_fp_ieee_underflow 0
		.amdhsa_exception_fp_ieee_inexact 0
		.amdhsa_exception_int_div_zero 0
	.end_amdhsa_kernel
	.section	.text._ZN9rocsparseL23sddmm_csx_sample_kernelILi512ELi4EL20rocsparse_direction_1EfiifEEvT4_S2_T3_PKT5_S2_PS4_PKS3_PKS2_21rocsparse_index_base_,"axG",@progbits,_ZN9rocsparseL23sddmm_csx_sample_kernelILi512ELi4EL20rocsparse_direction_1EfiifEEvT4_S2_T3_PKT5_S2_PS4_PKS3_PKS2_21rocsparse_index_base_,comdat
.Lfunc_end23:
	.size	_ZN9rocsparseL23sddmm_csx_sample_kernelILi512ELi4EL20rocsparse_direction_1EfiifEEvT4_S2_T3_PKT5_S2_PS4_PKS3_PKS2_21rocsparse_index_base_, .Lfunc_end23-_ZN9rocsparseL23sddmm_csx_sample_kernelILi512ELi4EL20rocsparse_direction_1EfiifEEvT4_S2_T3_PKT5_S2_PS4_PKS3_PKS2_21rocsparse_index_base_
                                        ; -- End function
	.set _ZN9rocsparseL23sddmm_csx_sample_kernelILi512ELi4EL20rocsparse_direction_1EfiifEEvT4_S2_T3_PKT5_S2_PS4_PKS3_PKS2_21rocsparse_index_base_.num_vgpr, 19
	.set _ZN9rocsparseL23sddmm_csx_sample_kernelILi512ELi4EL20rocsparse_direction_1EfiifEEvT4_S2_T3_PKT5_S2_PS4_PKS3_PKS2_21rocsparse_index_base_.num_agpr, 0
	.set _ZN9rocsparseL23sddmm_csx_sample_kernelILi512ELi4EL20rocsparse_direction_1EfiifEEvT4_S2_T3_PKT5_S2_PS4_PKS3_PKS2_21rocsparse_index_base_.numbered_sgpr, 10
	.set _ZN9rocsparseL23sddmm_csx_sample_kernelILi512ELi4EL20rocsparse_direction_1EfiifEEvT4_S2_T3_PKT5_S2_PS4_PKS3_PKS2_21rocsparse_index_base_.num_named_barrier, 0
	.set _ZN9rocsparseL23sddmm_csx_sample_kernelILi512ELi4EL20rocsparse_direction_1EfiifEEvT4_S2_T3_PKT5_S2_PS4_PKS3_PKS2_21rocsparse_index_base_.private_seg_size, 0
	.set _ZN9rocsparseL23sddmm_csx_sample_kernelILi512ELi4EL20rocsparse_direction_1EfiifEEvT4_S2_T3_PKT5_S2_PS4_PKS3_PKS2_21rocsparse_index_base_.uses_vcc, 1
	.set _ZN9rocsparseL23sddmm_csx_sample_kernelILi512ELi4EL20rocsparse_direction_1EfiifEEvT4_S2_T3_PKT5_S2_PS4_PKS3_PKS2_21rocsparse_index_base_.uses_flat_scratch, 0
	.set _ZN9rocsparseL23sddmm_csx_sample_kernelILi512ELi4EL20rocsparse_direction_1EfiifEEvT4_S2_T3_PKT5_S2_PS4_PKS3_PKS2_21rocsparse_index_base_.has_dyn_sized_stack, 0
	.set _ZN9rocsparseL23sddmm_csx_sample_kernelILi512ELi4EL20rocsparse_direction_1EfiifEEvT4_S2_T3_PKT5_S2_PS4_PKS3_PKS2_21rocsparse_index_base_.has_recursion, 0
	.set _ZN9rocsparseL23sddmm_csx_sample_kernelILi512ELi4EL20rocsparse_direction_1EfiifEEvT4_S2_T3_PKT5_S2_PS4_PKS3_PKS2_21rocsparse_index_base_.has_indirect_call, 0
	.section	.AMDGPU.csdata,"",@progbits
; Kernel info:
; codeLenInByte = 580
; TotalNumSgprs: 16
; NumVgprs: 19
; NumAgprs: 0
; TotalNumVgprs: 19
; ScratchSize: 0
; MemoryBound: 0
; FloatMode: 240
; IeeeMode: 1
; LDSByteSize: 0 bytes/workgroup (compile time only)
; SGPRBlocks: 1
; VGPRBlocks: 2
; NumSGPRsForWavesPerEU: 16
; NumVGPRsForWavesPerEU: 19
; AccumOffset: 20
; Occupancy: 8
; WaveLimiterHint : 1
; COMPUTE_PGM_RSRC2:SCRATCH_EN: 0
; COMPUTE_PGM_RSRC2:USER_SGPR: 2
; COMPUTE_PGM_RSRC2:TRAP_HANDLER: 0
; COMPUTE_PGM_RSRC2:TGID_X_EN: 1
; COMPUTE_PGM_RSRC2:TGID_Y_EN: 0
; COMPUTE_PGM_RSRC2:TGID_Z_EN: 0
; COMPUTE_PGM_RSRC2:TIDIG_COMP_CNT: 0
; COMPUTE_PGM_RSRC3_GFX90A:ACCUM_OFFSET: 4
; COMPUTE_PGM_RSRC3_GFX90A:TG_SPLIT: 0
	.section	.text._ZN9rocsparseL23sddmm_csx_sample_kernelILi512ELi2EL20rocsparse_direction_1EfiifEEvT4_S2_T3_PKT5_S2_PS4_PKS3_PKS2_21rocsparse_index_base_,"axG",@progbits,_ZN9rocsparseL23sddmm_csx_sample_kernelILi512ELi2EL20rocsparse_direction_1EfiifEEvT4_S2_T3_PKT5_S2_PS4_PKS3_PKS2_21rocsparse_index_base_,comdat
	.globl	_ZN9rocsparseL23sddmm_csx_sample_kernelILi512ELi2EL20rocsparse_direction_1EfiifEEvT4_S2_T3_PKT5_S2_PS4_PKS3_PKS2_21rocsparse_index_base_ ; -- Begin function _ZN9rocsparseL23sddmm_csx_sample_kernelILi512ELi2EL20rocsparse_direction_1EfiifEEvT4_S2_T3_PKT5_S2_PS4_PKS3_PKS2_21rocsparse_index_base_
	.p2align	8
	.type	_ZN9rocsparseL23sddmm_csx_sample_kernelILi512ELi2EL20rocsparse_direction_1EfiifEEvT4_S2_T3_PKT5_S2_PS4_PKS3_PKS2_21rocsparse_index_base_,@function
_ZN9rocsparseL23sddmm_csx_sample_kernelILi512ELi2EL20rocsparse_direction_1EfiifEEvT4_S2_T3_PKT5_S2_PS4_PKS3_PKS2_21rocsparse_index_base_: ; @_ZN9rocsparseL23sddmm_csx_sample_kernelILi512ELi2EL20rocsparse_direction_1EfiifEEvT4_S2_T3_PKT5_S2_PS4_PKS3_PKS2_21rocsparse_index_base_
; %bb.0:
	s_load_dword s3, s[0:1], 0x4
	v_lshrrev_b32_e32 v1, 1, v0
	v_lshl_or_b32 v2, s2, 8, v1
	s_waitcnt lgkmcnt(0)
	v_cmp_gt_u32_e32 vcc, s3, v2
	s_and_saveexec_b64 s[2:3], vcc
	s_cbranch_execz .LBB24_9
; %bb.1:
	s_load_dwordx2 s[2:3], s[0:1], 0x28
	s_load_dword s8, s[0:1], 0x38
	v_mov_b32_e32 v3, 0
	v_and_b32_e32 v1, 1, v0
	s_waitcnt lgkmcnt(0)
	v_lshl_add_u64 v[4:5], v[2:3], 2, s[2:3]
	global_load_dwordx2 v[4:5], v[4:5], off
	v_subrev_u32_e32 v0, s8, v1
	s_waitcnt vmcnt(0)
	v_add_u32_e32 v0, v0, v4
	v_subrev_u32_e32 v8, s8, v5
	v_cmp_lt_i32_e32 vcc, v0, v8
	s_and_b64 exec, exec, vcc
	s_cbranch_execz .LBB24_9
; %bb.2:
	v_add_u32_e32 v3, v4, v1
	v_subrev_u32_e32 v3, s8, v3
	s_load_dwordx2 s[4:5], s[0:1], 0x30
	s_load_dword s9, s[0:1], 0x18
	s_load_dwordx2 s[6:7], s[0:1], 0x20
	s_load_dwordx2 s[2:3], s[0:1], 0x10
	v_add_u32_e32 v3, 2, v3
	v_max_i32_e32 v3, v3, v8
	v_not_b32_e32 v4, v4
	v_add3_u32 v3, s8, v3, v4
	s_waitcnt lgkmcnt(0)
	v_mul_lo_u32 v2, s9, v2
	v_sub_u32_e32 v1, v3, v1
	v_subrev_u32_e32 v2, s8, v2
	v_cmp_lt_u32_e32 vcc, 1, v1
	s_mov_b64 s[8:9], -1
	s_and_saveexec_b64 s[0:1], vcc
	s_cbranch_execz .LBB24_6
; %bb.3:
	v_lshrrev_b32_e32 v1, 1, v1
	v_add_u32_e32 v6, 1, v1
	v_and_b32_e32 v7, -2, v6
	v_add_u32_e32 v1, 2, v0
	v_mov_b32_e32 v3, v2
	s_mov_b64 s[8:9], 0
	v_mov_b32_e32 v9, v7
	v_mov_b64_e32 v[4:5], v[0:1]
.LBB24_4:                               ; =>This Inner Loop Header: Depth=1
	v_ashrrev_i32_e32 v13, 31, v4
	v_mov_b32_e32 v12, v4
	v_ashrrev_i32_e32 v11, 31, v5
	v_mov_b32_e32 v10, v5
	v_lshlrev_b64 v[12:13], 2, v[12:13]
	v_lshlrev_b64 v[10:11], 2, v[10:11]
	v_lshl_add_u64 v[14:15], s[4:5], 0, v[12:13]
	v_lshl_add_u64 v[16:17], s[4:5], 0, v[10:11]
	global_load_dword v1, v[14:15], off
	global_load_dword v18, v[16:17], off
	v_add_u32_e32 v9, -2, v9
	v_cmp_eq_u32_e32 vcc, 0, v9
	v_add_u32_e32 v5, 4, v5
	v_add_u32_e32 v4, 4, v4
	v_lshl_add_u64 v[12:13], s[6:7], 0, v[12:13]
	s_or_b64 s[8:9], vcc, s[8:9]
	v_lshl_add_u64 v[10:11], s[6:7], 0, v[10:11]
	s_waitcnt vmcnt(1)
	v_add_u32_e32 v14, v2, v1
	s_waitcnt vmcnt(0)
	v_add_u32_e32 v16, v3, v18
	v_ashrrev_i32_e32 v15, 31, v14
	v_ashrrev_i32_e32 v17, 31, v16
	v_lshl_add_u64 v[14:15], v[14:15], 2, s[2:3]
	v_lshl_add_u64 v[16:17], v[16:17], 2, s[2:3]
	global_load_dword v1, v[14:15], off
	global_load_dword v18, v[16:17], off
	s_waitcnt vmcnt(1)
	global_store_dword v[12:13], v1, off
	s_waitcnt vmcnt(1)
	global_store_dword v[10:11], v18, off
	s_andn2_b64 exec, exec, s[8:9]
	s_cbranch_execnz .LBB24_4
; %bb.5:
	s_or_b64 exec, exec, s[8:9]
	v_cmp_ne_u32_e32 vcc, v6, v7
	v_lshl_add_u32 v0, v7, 1, v0
	s_orn2_b64 s[8:9], vcc, exec
.LBB24_6:
	s_or_b64 exec, exec, s[0:1]
	s_and_b64 exec, exec, s[8:9]
	s_cbranch_execz .LBB24_9
; %bb.7:
	v_ashrrev_i32_e32 v1, 31, v0
	v_lshlrev_b64 v[6:7], 2, v[0:1]
	v_lshl_add_u64 v[4:5], s[4:5], 0, v[6:7]
	v_lshl_add_u64 v[6:7], s[6:7], 0, v[6:7]
	s_mov_b64 s[0:1], 0
.LBB24_8:                               ; =>This Inner Loop Header: Depth=1
	global_load_dword v1, v[4:5], off
	v_add_u32_e32 v0, 2, v0
	v_cmp_ge_i32_e32 vcc, v0, v8
	v_lshl_add_u64 v[4:5], v[4:5], 0, 8
	s_or_b64 s[0:1], vcc, s[0:1]
	s_waitcnt vmcnt(0)
	v_add_u32_e32 v10, v2, v1
	v_ashrrev_i32_e32 v11, 31, v10
	v_lshl_add_u64 v[10:11], v[10:11], 2, s[2:3]
	global_load_dword v1, v[10:11], off
	s_waitcnt vmcnt(0)
	global_store_dword v[6:7], v1, off
	v_lshl_add_u64 v[6:7], v[6:7], 0, 8
	s_andn2_b64 exec, exec, s[0:1]
	s_cbranch_execnz .LBB24_8
.LBB24_9:
	s_endpgm
	.section	.rodata,"a",@progbits
	.p2align	6, 0x0
	.amdhsa_kernel _ZN9rocsparseL23sddmm_csx_sample_kernelILi512ELi2EL20rocsparse_direction_1EfiifEEvT4_S2_T3_PKT5_S2_PS4_PKS3_PKS2_21rocsparse_index_base_
		.amdhsa_group_segment_fixed_size 0
		.amdhsa_private_segment_fixed_size 0
		.amdhsa_kernarg_size 60
		.amdhsa_user_sgpr_count 2
		.amdhsa_user_sgpr_dispatch_ptr 0
		.amdhsa_user_sgpr_queue_ptr 0
		.amdhsa_user_sgpr_kernarg_segment_ptr 1
		.amdhsa_user_sgpr_dispatch_id 0
		.amdhsa_user_sgpr_kernarg_preload_length 0
		.amdhsa_user_sgpr_kernarg_preload_offset 0
		.amdhsa_user_sgpr_private_segment_size 0
		.amdhsa_uses_dynamic_stack 0
		.amdhsa_enable_private_segment 0
		.amdhsa_system_sgpr_workgroup_id_x 1
		.amdhsa_system_sgpr_workgroup_id_y 0
		.amdhsa_system_sgpr_workgroup_id_z 0
		.amdhsa_system_sgpr_workgroup_info 0
		.amdhsa_system_vgpr_workitem_id 0
		.amdhsa_next_free_vgpr 19
		.amdhsa_next_free_sgpr 10
		.amdhsa_accum_offset 20
		.amdhsa_reserve_vcc 1
		.amdhsa_float_round_mode_32 0
		.amdhsa_float_round_mode_16_64 0
		.amdhsa_float_denorm_mode_32 3
		.amdhsa_float_denorm_mode_16_64 3
		.amdhsa_dx10_clamp 1
		.amdhsa_ieee_mode 1
		.amdhsa_fp16_overflow 0
		.amdhsa_tg_split 0
		.amdhsa_exception_fp_ieee_invalid_op 0
		.amdhsa_exception_fp_denorm_src 0
		.amdhsa_exception_fp_ieee_div_zero 0
		.amdhsa_exception_fp_ieee_overflow 0
		.amdhsa_exception_fp_ieee_underflow 0
		.amdhsa_exception_fp_ieee_inexact 0
		.amdhsa_exception_int_div_zero 0
	.end_amdhsa_kernel
	.section	.text._ZN9rocsparseL23sddmm_csx_sample_kernelILi512ELi2EL20rocsparse_direction_1EfiifEEvT4_S2_T3_PKT5_S2_PS4_PKS3_PKS2_21rocsparse_index_base_,"axG",@progbits,_ZN9rocsparseL23sddmm_csx_sample_kernelILi512ELi2EL20rocsparse_direction_1EfiifEEvT4_S2_T3_PKT5_S2_PS4_PKS3_PKS2_21rocsparse_index_base_,comdat
.Lfunc_end24:
	.size	_ZN9rocsparseL23sddmm_csx_sample_kernelILi512ELi2EL20rocsparse_direction_1EfiifEEvT4_S2_T3_PKT5_S2_PS4_PKS3_PKS2_21rocsparse_index_base_, .Lfunc_end24-_ZN9rocsparseL23sddmm_csx_sample_kernelILi512ELi2EL20rocsparse_direction_1EfiifEEvT4_S2_T3_PKT5_S2_PS4_PKS3_PKS2_21rocsparse_index_base_
                                        ; -- End function
	.set _ZN9rocsparseL23sddmm_csx_sample_kernelILi512ELi2EL20rocsparse_direction_1EfiifEEvT4_S2_T3_PKT5_S2_PS4_PKS3_PKS2_21rocsparse_index_base_.num_vgpr, 19
	.set _ZN9rocsparseL23sddmm_csx_sample_kernelILi512ELi2EL20rocsparse_direction_1EfiifEEvT4_S2_T3_PKT5_S2_PS4_PKS3_PKS2_21rocsparse_index_base_.num_agpr, 0
	.set _ZN9rocsparseL23sddmm_csx_sample_kernelILi512ELi2EL20rocsparse_direction_1EfiifEEvT4_S2_T3_PKT5_S2_PS4_PKS3_PKS2_21rocsparse_index_base_.numbered_sgpr, 10
	.set _ZN9rocsparseL23sddmm_csx_sample_kernelILi512ELi2EL20rocsparse_direction_1EfiifEEvT4_S2_T3_PKT5_S2_PS4_PKS3_PKS2_21rocsparse_index_base_.num_named_barrier, 0
	.set _ZN9rocsparseL23sddmm_csx_sample_kernelILi512ELi2EL20rocsparse_direction_1EfiifEEvT4_S2_T3_PKT5_S2_PS4_PKS3_PKS2_21rocsparse_index_base_.private_seg_size, 0
	.set _ZN9rocsparseL23sddmm_csx_sample_kernelILi512ELi2EL20rocsparse_direction_1EfiifEEvT4_S2_T3_PKT5_S2_PS4_PKS3_PKS2_21rocsparse_index_base_.uses_vcc, 1
	.set _ZN9rocsparseL23sddmm_csx_sample_kernelILi512ELi2EL20rocsparse_direction_1EfiifEEvT4_S2_T3_PKT5_S2_PS4_PKS3_PKS2_21rocsparse_index_base_.uses_flat_scratch, 0
	.set _ZN9rocsparseL23sddmm_csx_sample_kernelILi512ELi2EL20rocsparse_direction_1EfiifEEvT4_S2_T3_PKT5_S2_PS4_PKS3_PKS2_21rocsparse_index_base_.has_dyn_sized_stack, 0
	.set _ZN9rocsparseL23sddmm_csx_sample_kernelILi512ELi2EL20rocsparse_direction_1EfiifEEvT4_S2_T3_PKT5_S2_PS4_PKS3_PKS2_21rocsparse_index_base_.has_recursion, 0
	.set _ZN9rocsparseL23sddmm_csx_sample_kernelILi512ELi2EL20rocsparse_direction_1EfiifEEvT4_S2_T3_PKT5_S2_PS4_PKS3_PKS2_21rocsparse_index_base_.has_indirect_call, 0
	.section	.AMDGPU.csdata,"",@progbits
; Kernel info:
; codeLenInByte = 576
; TotalNumSgprs: 16
; NumVgprs: 19
; NumAgprs: 0
; TotalNumVgprs: 19
; ScratchSize: 0
; MemoryBound: 0
; FloatMode: 240
; IeeeMode: 1
; LDSByteSize: 0 bytes/workgroup (compile time only)
; SGPRBlocks: 1
; VGPRBlocks: 2
; NumSGPRsForWavesPerEU: 16
; NumVGPRsForWavesPerEU: 19
; AccumOffset: 20
; Occupancy: 8
; WaveLimiterHint : 1
; COMPUTE_PGM_RSRC2:SCRATCH_EN: 0
; COMPUTE_PGM_RSRC2:USER_SGPR: 2
; COMPUTE_PGM_RSRC2:TRAP_HANDLER: 0
; COMPUTE_PGM_RSRC2:TGID_X_EN: 1
; COMPUTE_PGM_RSRC2:TGID_Y_EN: 0
; COMPUTE_PGM_RSRC2:TGID_Z_EN: 0
; COMPUTE_PGM_RSRC2:TIDIG_COMP_CNT: 0
; COMPUTE_PGM_RSRC3_GFX90A:ACCUM_OFFSET: 4
; COMPUTE_PGM_RSRC3_GFX90A:TG_SPLIT: 0
	.section	.text._ZN9rocsparseL23sddmm_csx_sample_kernelILi512ELi1EL20rocsparse_direction_1EfiifEEvT4_S2_T3_PKT5_S2_PS4_PKS3_PKS2_21rocsparse_index_base_,"axG",@progbits,_ZN9rocsparseL23sddmm_csx_sample_kernelILi512ELi1EL20rocsparse_direction_1EfiifEEvT4_S2_T3_PKT5_S2_PS4_PKS3_PKS2_21rocsparse_index_base_,comdat
	.globl	_ZN9rocsparseL23sddmm_csx_sample_kernelILi512ELi1EL20rocsparse_direction_1EfiifEEvT4_S2_T3_PKT5_S2_PS4_PKS3_PKS2_21rocsparse_index_base_ ; -- Begin function _ZN9rocsparseL23sddmm_csx_sample_kernelILi512ELi1EL20rocsparse_direction_1EfiifEEvT4_S2_T3_PKT5_S2_PS4_PKS3_PKS2_21rocsparse_index_base_
	.p2align	8
	.type	_ZN9rocsparseL23sddmm_csx_sample_kernelILi512ELi1EL20rocsparse_direction_1EfiifEEvT4_S2_T3_PKT5_S2_PS4_PKS3_PKS2_21rocsparse_index_base_,@function
_ZN9rocsparseL23sddmm_csx_sample_kernelILi512ELi1EL20rocsparse_direction_1EfiifEEvT4_S2_T3_PKT5_S2_PS4_PKS3_PKS2_21rocsparse_index_base_: ; @_ZN9rocsparseL23sddmm_csx_sample_kernelILi512ELi1EL20rocsparse_direction_1EfiifEEvT4_S2_T3_PKT5_S2_PS4_PKS3_PKS2_21rocsparse_index_base_
; %bb.0:
	s_load_dword s3, s[0:1], 0x4
	v_lshl_or_b32 v2, s2, 9, v0
	s_waitcnt lgkmcnt(0)
	v_cmp_gt_u32_e32 vcc, s3, v2
	s_and_saveexec_b64 s[2:3], vcc
	s_cbranch_execz .LBB25_9
; %bb.1:
	s_load_dwordx2 s[2:3], s[0:1], 0x28
	v_mov_b32_e32 v3, 0
	s_waitcnt lgkmcnt(0)
	v_lshl_add_u64 v[0:1], v[2:3], 2, s[2:3]
	global_load_dwordx2 v[4:5], v[0:1], off
	s_waitcnt vmcnt(0)
	v_cmp_lt_i32_e32 vcc, v4, v5
	s_and_b64 exec, exec, vcc
	s_cbranch_execz .LBB25_9
; %bb.2:
	s_load_dword s8, s[0:1], 0x38
	s_load_dwordx2 s[4:5], s[0:1], 0x30
	s_load_dword s9, s[0:1], 0x18
	s_load_dwordx2 s[6:7], s[0:1], 0x20
	s_load_dwordx2 s[2:3], s[0:1], 0x10
	s_waitcnt lgkmcnt(0)
	v_subrev_u32_e32 v0, s8, v4
	v_subrev_u32_e32 v3, s8, v5
	v_mul_lo_u32 v1, s9, v2
	v_subrev_u32_e32 v2, s8, v1
	v_add_u32_e32 v1, 1, v0
	v_max_i32_e32 v1, v1, v3
	v_add_u32_e32 v1, s8, v1
	v_sub_u32_e32 v6, v1, v4
	v_cmp_lt_u32_e32 vcc, 1, v6
	s_mov_b64 s[8:9], -1
	s_and_saveexec_b64 s[0:1], vcc
	s_cbranch_execz .LBB25_6
; %bb.3:
	v_and_b32_e32 v7, -2, v6
	v_mov_b32_e32 v1, v2
	s_mov_b64 s[8:9], 0
	v_mov_b32_e32 v4, v0
	v_mov_b32_e32 v8, v7
.LBB25_4:                               ; =>This Inner Loop Header: Depth=1
	v_ashrrev_i32_e32 v5, 31, v4
	v_lshlrev_b64 v[10:11], 2, v[4:5]
	v_lshl_add_u64 v[12:13], s[4:5], 0, v[10:11]
	global_load_dwordx2 v[12:13], v[12:13], off
	v_add_u32_e32 v8, -2, v8
	v_cmp_eq_u32_e32 vcc, 0, v8
	v_lshl_add_u64 v[10:11], s[6:7], 0, v[10:11]
	s_or_b64 s[8:9], vcc, s[8:9]
	v_add_u32_e32 v4, 2, v4
	s_waitcnt vmcnt(0)
	v_add_u32_e32 v12, v2, v12
	v_add_u32_e32 v14, v1, v13
	v_ashrrev_i32_e32 v13, 31, v12
	v_ashrrev_i32_e32 v15, 31, v14
	v_lshl_add_u64 v[12:13], v[12:13], 2, s[2:3]
	v_lshl_add_u64 v[14:15], v[14:15], 2, s[2:3]
	global_load_dword v16, v[12:13], off
	global_load_dword v17, v[14:15], off
	s_waitcnt vmcnt(0)
	global_store_dwordx2 v[10:11], v[16:17], off
	s_andn2_b64 exec, exec, s[8:9]
	s_cbranch_execnz .LBB25_4
; %bb.5:
	s_or_b64 exec, exec, s[8:9]
	v_cmp_ne_u32_e32 vcc, v6, v7
	v_add_u32_e32 v0, v0, v7
	s_orn2_b64 s[8:9], vcc, exec
.LBB25_6:
	s_or_b64 exec, exec, s[0:1]
	s_and_b64 exec, exec, s[8:9]
	s_cbranch_execz .LBB25_9
; %bb.7:
	v_ashrrev_i32_e32 v1, 31, v0
	v_lshlrev_b64 v[6:7], 2, v[0:1]
	v_lshl_add_u64 v[4:5], s[4:5], 0, v[6:7]
	v_lshl_add_u64 v[6:7], s[6:7], 0, v[6:7]
	s_mov_b64 s[0:1], 0
.LBB25_8:                               ; =>This Inner Loop Header: Depth=1
	global_load_dword v1, v[4:5], off
	v_add_u32_e32 v0, 1, v0
	v_cmp_ge_i32_e32 vcc, v0, v3
	v_lshl_add_u64 v[4:5], v[4:5], 0, 4
	s_or_b64 s[0:1], vcc, s[0:1]
	s_waitcnt vmcnt(0)
	v_add_u32_e32 v8, v2, v1
	v_ashrrev_i32_e32 v9, 31, v8
	v_lshl_add_u64 v[8:9], v[8:9], 2, s[2:3]
	global_load_dword v1, v[8:9], off
	s_waitcnt vmcnt(0)
	global_store_dword v[6:7], v1, off
	v_lshl_add_u64 v[6:7], v[6:7], 0, 4
	s_andn2_b64 exec, exec, s[0:1]
	s_cbranch_execnz .LBB25_8
.LBB25_9:
	s_endpgm
	.section	.rodata,"a",@progbits
	.p2align	6, 0x0
	.amdhsa_kernel _ZN9rocsparseL23sddmm_csx_sample_kernelILi512ELi1EL20rocsparse_direction_1EfiifEEvT4_S2_T3_PKT5_S2_PS4_PKS3_PKS2_21rocsparse_index_base_
		.amdhsa_group_segment_fixed_size 0
		.amdhsa_private_segment_fixed_size 0
		.amdhsa_kernarg_size 60
		.amdhsa_user_sgpr_count 2
		.amdhsa_user_sgpr_dispatch_ptr 0
		.amdhsa_user_sgpr_queue_ptr 0
		.amdhsa_user_sgpr_kernarg_segment_ptr 1
		.amdhsa_user_sgpr_dispatch_id 0
		.amdhsa_user_sgpr_kernarg_preload_length 0
		.amdhsa_user_sgpr_kernarg_preload_offset 0
		.amdhsa_user_sgpr_private_segment_size 0
		.amdhsa_uses_dynamic_stack 0
		.amdhsa_enable_private_segment 0
		.amdhsa_system_sgpr_workgroup_id_x 1
		.amdhsa_system_sgpr_workgroup_id_y 0
		.amdhsa_system_sgpr_workgroup_id_z 0
		.amdhsa_system_sgpr_workgroup_info 0
		.amdhsa_system_vgpr_workitem_id 0
		.amdhsa_next_free_vgpr 18
		.amdhsa_next_free_sgpr 10
		.amdhsa_accum_offset 20
		.amdhsa_reserve_vcc 1
		.amdhsa_float_round_mode_32 0
		.amdhsa_float_round_mode_16_64 0
		.amdhsa_float_denorm_mode_32 3
		.amdhsa_float_denorm_mode_16_64 3
		.amdhsa_dx10_clamp 1
		.amdhsa_ieee_mode 1
		.amdhsa_fp16_overflow 0
		.amdhsa_tg_split 0
		.amdhsa_exception_fp_ieee_invalid_op 0
		.amdhsa_exception_fp_denorm_src 0
		.amdhsa_exception_fp_ieee_div_zero 0
		.amdhsa_exception_fp_ieee_overflow 0
		.amdhsa_exception_fp_ieee_underflow 0
		.amdhsa_exception_fp_ieee_inexact 0
		.amdhsa_exception_int_div_zero 0
	.end_amdhsa_kernel
	.section	.text._ZN9rocsparseL23sddmm_csx_sample_kernelILi512ELi1EL20rocsparse_direction_1EfiifEEvT4_S2_T3_PKT5_S2_PS4_PKS3_PKS2_21rocsparse_index_base_,"axG",@progbits,_ZN9rocsparseL23sddmm_csx_sample_kernelILi512ELi1EL20rocsparse_direction_1EfiifEEvT4_S2_T3_PKT5_S2_PS4_PKS3_PKS2_21rocsparse_index_base_,comdat
.Lfunc_end25:
	.size	_ZN9rocsparseL23sddmm_csx_sample_kernelILi512ELi1EL20rocsparse_direction_1EfiifEEvT4_S2_T3_PKT5_S2_PS4_PKS3_PKS2_21rocsparse_index_base_, .Lfunc_end25-_ZN9rocsparseL23sddmm_csx_sample_kernelILi512ELi1EL20rocsparse_direction_1EfiifEEvT4_S2_T3_PKT5_S2_PS4_PKS3_PKS2_21rocsparse_index_base_
                                        ; -- End function
	.set _ZN9rocsparseL23sddmm_csx_sample_kernelILi512ELi1EL20rocsparse_direction_1EfiifEEvT4_S2_T3_PKT5_S2_PS4_PKS3_PKS2_21rocsparse_index_base_.num_vgpr, 18
	.set _ZN9rocsparseL23sddmm_csx_sample_kernelILi512ELi1EL20rocsparse_direction_1EfiifEEvT4_S2_T3_PKT5_S2_PS4_PKS3_PKS2_21rocsparse_index_base_.num_agpr, 0
	.set _ZN9rocsparseL23sddmm_csx_sample_kernelILi512ELi1EL20rocsparse_direction_1EfiifEEvT4_S2_T3_PKT5_S2_PS4_PKS3_PKS2_21rocsparse_index_base_.numbered_sgpr, 10
	.set _ZN9rocsparseL23sddmm_csx_sample_kernelILi512ELi1EL20rocsparse_direction_1EfiifEEvT4_S2_T3_PKT5_S2_PS4_PKS3_PKS2_21rocsparse_index_base_.num_named_barrier, 0
	.set _ZN9rocsparseL23sddmm_csx_sample_kernelILi512ELi1EL20rocsparse_direction_1EfiifEEvT4_S2_T3_PKT5_S2_PS4_PKS3_PKS2_21rocsparse_index_base_.private_seg_size, 0
	.set _ZN9rocsparseL23sddmm_csx_sample_kernelILi512ELi1EL20rocsparse_direction_1EfiifEEvT4_S2_T3_PKT5_S2_PS4_PKS3_PKS2_21rocsparse_index_base_.uses_vcc, 1
	.set _ZN9rocsparseL23sddmm_csx_sample_kernelILi512ELi1EL20rocsparse_direction_1EfiifEEvT4_S2_T3_PKT5_S2_PS4_PKS3_PKS2_21rocsparse_index_base_.uses_flat_scratch, 0
	.set _ZN9rocsparseL23sddmm_csx_sample_kernelILi512ELi1EL20rocsparse_direction_1EfiifEEvT4_S2_T3_PKT5_S2_PS4_PKS3_PKS2_21rocsparse_index_base_.has_dyn_sized_stack, 0
	.set _ZN9rocsparseL23sddmm_csx_sample_kernelILi512ELi1EL20rocsparse_direction_1EfiifEEvT4_S2_T3_PKT5_S2_PS4_PKS3_PKS2_21rocsparse_index_base_.has_recursion, 0
	.set _ZN9rocsparseL23sddmm_csx_sample_kernelILi512ELi1EL20rocsparse_direction_1EfiifEEvT4_S2_T3_PKT5_S2_PS4_PKS3_PKS2_21rocsparse_index_base_.has_indirect_call, 0
	.section	.AMDGPU.csdata,"",@progbits
; Kernel info:
; codeLenInByte = 468
; TotalNumSgprs: 16
; NumVgprs: 18
; NumAgprs: 0
; TotalNumVgprs: 18
; ScratchSize: 0
; MemoryBound: 0
; FloatMode: 240
; IeeeMode: 1
; LDSByteSize: 0 bytes/workgroup (compile time only)
; SGPRBlocks: 1
; VGPRBlocks: 2
; NumSGPRsForWavesPerEU: 16
; NumVGPRsForWavesPerEU: 18
; AccumOffset: 20
; Occupancy: 8
; WaveLimiterHint : 1
; COMPUTE_PGM_RSRC2:SCRATCH_EN: 0
; COMPUTE_PGM_RSRC2:USER_SGPR: 2
; COMPUTE_PGM_RSRC2:TRAP_HANDLER: 0
; COMPUTE_PGM_RSRC2:TGID_X_EN: 1
; COMPUTE_PGM_RSRC2:TGID_Y_EN: 0
; COMPUTE_PGM_RSRC2:TGID_Z_EN: 0
; COMPUTE_PGM_RSRC2:TIDIG_COMP_CNT: 0
; COMPUTE_PGM_RSRC3_GFX90A:ACCUM_OFFSET: 4
; COMPUTE_PGM_RSRC3_GFX90A:TG_SPLIT: 0
	.section	.text._ZN9rocsparseL16sddmm_csx_kernelILi512ELi8EL20rocsparse_direction_0EfiifffEEv20rocsparse_operation_S2_16rocsparse_order_S3_T4_S4_S4_T3_NS_24const_host_device_scalarIT2_EEPKT5_lPKT6_lS8_PT7_PKS5_PKS4_21rocsparse_index_base_b,"axG",@progbits,_ZN9rocsparseL16sddmm_csx_kernelILi512ELi8EL20rocsparse_direction_0EfiifffEEv20rocsparse_operation_S2_16rocsparse_order_S3_T4_S4_S4_T3_NS_24const_host_device_scalarIT2_EEPKT5_lPKT6_lS8_PT7_PKS5_PKS4_21rocsparse_index_base_b,comdat
	.globl	_ZN9rocsparseL16sddmm_csx_kernelILi512ELi8EL20rocsparse_direction_0EfiifffEEv20rocsparse_operation_S2_16rocsparse_order_S3_T4_S4_S4_T3_NS_24const_host_device_scalarIT2_EEPKT5_lPKT6_lS8_PT7_PKS5_PKS4_21rocsparse_index_base_b ; -- Begin function _ZN9rocsparseL16sddmm_csx_kernelILi512ELi8EL20rocsparse_direction_0EfiifffEEv20rocsparse_operation_S2_16rocsparse_order_S3_T4_S4_S4_T3_NS_24const_host_device_scalarIT2_EEPKT5_lPKT6_lS8_PT7_PKS5_PKS4_21rocsparse_index_base_b
	.p2align	8
	.type	_ZN9rocsparseL16sddmm_csx_kernelILi512ELi8EL20rocsparse_direction_0EfiifffEEv20rocsparse_operation_S2_16rocsparse_order_S3_T4_S4_S4_T3_NS_24const_host_device_scalarIT2_EEPKT5_lPKT6_lS8_PT7_PKS5_PKS4_21rocsparse_index_base_b,@function
_ZN9rocsparseL16sddmm_csx_kernelILi512ELi8EL20rocsparse_direction_0EfiifffEEv20rocsparse_operation_S2_16rocsparse_order_S3_T4_S4_S4_T3_NS_24const_host_device_scalarIT2_EEPKT5_lPKT6_lS8_PT7_PKS5_PKS4_21rocsparse_index_base_b: ; @_ZN9rocsparseL16sddmm_csx_kernelILi512ELi8EL20rocsparse_direction_0EfiifffEEv20rocsparse_operation_S2_16rocsparse_order_S3_T4_S4_S4_T3_NS_24const_host_device_scalarIT2_EEPKT5_lPKT6_lS8_PT7_PKS5_PKS4_21rocsparse_index_base_b
; %bb.0:
	s_load_dwordx2 s[16:17], s[0:1], 0x68
	s_load_dwordx2 s[6:7], s[0:1], 0x20
	s_load_dwordx4 s[12:15], s[0:1], 0x40
	s_waitcnt lgkmcnt(0)
	s_bitcmp1_b32 s17, 0
	s_cselect_b64 s[8:9], -1, 0
	s_xor_b64 s[4:5], s[8:9], -1
	s_and_b64 vcc, exec, s[8:9]
	s_mov_b32 s19, s6
	s_cbranch_vccnz .LBB26_2
; %bb.1:
	s_load_dword s19, s[6:7], 0x0
.LBB26_2:
	s_andn2_b64 vcc, exec, s[4:5]
	s_mov_b32 s18, s14
	s_cbranch_vccnz .LBB26_4
; %bb.3:
	s_load_dword s18, s[14:15], 0x0
.LBB26_4:
	s_waitcnt lgkmcnt(0)
	v_cmp_eq_f32_e64 s[4:5], s19, 0
	v_cmp_eq_f32_e64 s[6:7], s18, 1.0
	s_and_b64 s[4:5], s[4:5], s[6:7]
	s_and_b64 vcc, exec, s[4:5]
	s_cbranch_vccnz .LBB26_36
; %bb.5:
	s_load_dword s3, s[0:1], 0x10
	v_lshrrev_b32_e32 v1, 3, v0
	v_lshl_or_b32 v4, s2, 6, v1
	s_waitcnt lgkmcnt(0)
	v_cmp_gt_i32_e32 vcc, s3, v4
	s_and_saveexec_b64 s[2:3], vcc
	s_cbranch_execz .LBB26_36
; %bb.6:
	s_load_dwordx4 s[4:7], s[0:1], 0x0
	s_load_dwordx2 s[14:15], s[0:1], 0x58
	s_load_dwordx2 s[2:3], s[0:1], 0x30
	v_ashrrev_i32_e32 v5, 31, v4
	s_waitcnt lgkmcnt(0)
	s_cmp_eq_u32 s6, 1
	s_cselect_b64 s[8:9], -1, 0
	s_cmpk_eq_i32 s4, 0x6f
	s_cselect_b64 s[10:11], -1, 0
	s_cmpk_lg_i32 s4, 0x6f
	s_cselect_b64 s[20:21], -1, 0
	s_cmp_lg_u32 s6, 1
	s_cbranch_scc0 .LBB26_10
; %bb.7:
	s_andn2_b64 vcc, exec, s[10:11]
	v_mov_b64_e32 v[2:3], v[4:5]
	s_cbranch_vccnz .LBB26_9
; %bb.8:
	v_mul_lo_u32 v6, s3, v4
	v_mul_lo_u32 v7, s2, v5
	v_mad_u64_u32 v[2:3], s[22:23], s2, v4, 0
	v_add3_u32 v3, v3, v7, v6
.LBB26_9:
	s_cbranch_execz .LBB26_11
	s_branch .LBB26_13
.LBB26_10:
                                        ; implicit-def: $vgpr2_vgpr3
.LBB26_11:
	s_andn2_b64 vcc, exec, s[20:21]
	v_mov_b64_e32 v[2:3], v[4:5]
	s_cbranch_vccnz .LBB26_13
; %bb.12:
	v_mul_lo_u32 v6, s3, v4
	v_mul_lo_u32 v7, s2, v5
	v_mad_u64_u32 v[2:3], s[20:21], s2, v4, 0
	v_add3_u32 v3, v3, v7, v6
.LBB26_13:
	v_lshl_add_u64 v[4:5], v[4:5], 2, s[14:15]
	global_load_dwordx2 v[4:5], v[4:5], off
	s_waitcnt vmcnt(0)
	v_cmp_lt_i32_e32 vcc, v4, v5
	s_and_b64 exec, exec, vcc
	s_cbranch_execz .LBB26_36
; %bb.14:
	s_xor_b64 s[8:9], s[10:11], s[8:9]
	s_and_b64 s[8:9], s[8:9], exec
	s_cselect_b32 s9, 0, s3
	s_cselect_b32 s8, 1, s2
	s_cmp_lg_u32 s7, 1
	s_cselect_b64 s[20:21], -1, 0
	s_cmp_eq_u32 s7, 1
	v_and_b32_e32 v10, 7, v0
	s_cselect_b64 s[2:3], -1, 0
	s_cmpk_eq_i32 s5, 0x6f
	v_subrev_u32_e32 v0, s16, v4
	v_subrev_u32_e32 v13, s16, v5
	v_mad_u64_u32 v[4:5], s[30:31], s8, v10, 0
	s_cselect_b64 s[6:7], -1, 0
	s_cmpk_lg_i32 s5, 0x6f
	s_load_dwordx2 s[26:27], s[0:1], 0x38
	s_load_dwordx2 s[22:23], s[0:1], 0x50
	;; [unrolled: 1-line block ×3, first 2 shown]
	s_load_dword s17, s[0:1], 0x18
	v_mov_b32_e32 v6, v5
	s_cselect_b64 s[10:11], -1, 0
	s_xor_b64 s[2:3], s[6:7], s[2:3]
	v_mad_u64_u32 v[6:7], s[30:31], s9, v10, v[6:7]
	s_and_b64 s[2:3], s[2:3], exec
	v_mov_b32_e32 v5, v6
	v_lshlrev_b64 v[2:3], 2, v[2:3]
	s_cselect_b32 s28, s12, 1
	v_lshl_add_u64 v[2:3], v[4:5], 2, v[2:3]
	s_load_dwordx2 s[14:15], s[0:1], 0x60
	s_cselect_b32 s29, s13, 0
	s_waitcnt lgkmcnt(0)
	v_lshl_add_u64 v[2:3], s[24:25], 0, v[2:3]
	s_lshl_b64 s[24:25], s[8:9], 5
	v_mad_u64_u32 v[4:5], s[8:9], s28, v10, 0
	v_mov_b32_e32 v6, v5
	v_mad_u64_u32 v[6:7], s[8:9], s29, v10, v[6:7]
	v_cndmask_b32_e64 v8, 0, 1, s[6:7]
	v_lshlrev_b32_e32 v11, 5, v1
	v_mov_b32_e32 v5, v6
	v_cndmask_b32_e64 v1, 0, 1, s[10:11]
	v_cmp_gt_i32_e64 s[0:1], s17, v10
	v_lshl_or_b32 v12, v10, 2, v11
	v_cmp_eq_u32_e64 s[2:3], 0, v10
	v_cmp_gt_u32_e64 s[4:5], 4, v10
	v_cmp_gt_u32_e64 s[6:7], 2, v10
	v_lshl_add_u64 v[4:5], v[4:5], 2, s[26:27]
	s_lshl_b64 s[26:27], s[28:29], 5
	s_mov_b64 s[28:29], 0
	v_cmp_ne_u32_e64 s[8:9], 1, v1
	v_cmp_ne_u32_e64 s[10:11], 1, v8
	s_branch .LBB26_16
.LBB26_15:                              ;   in Loop: Header=BB26_16 Depth=1
	s_or_b64 exec, exec, s[30:31]
	v_add_u32_e32 v0, 1, v0
	v_cmp_ge_i32_e32 vcc, v0, v13
	s_or_b64 s[28:29], vcc, s[28:29]
	s_andn2_b64 exec, exec, s[28:29]
	s_cbranch_execz .LBB26_36
.LBB26_16:                              ; =>This Loop Header: Depth=1
                                        ;     Child Loop BB26_26 Depth 2
	v_ashrrev_i32_e32 v1, 31, v0
	v_lshl_add_u64 v[6:7], v[0:1], 2, s[14:15]
	global_load_dword v6, v[6:7], off
	s_mov_b64 s[30:31], -1
	s_and_b64 vcc, exec, s[20:21]
                                        ; implicit-def: $vgpr8_vgpr9
	s_waitcnt vmcnt(0)
	v_subrev_u32_e32 v6, s16, v6
	v_ashrrev_i32_e32 v7, 31, v6
	s_cbranch_vccnz .LBB26_19
; %bb.17:                               ;   in Loop: Header=BB26_16 Depth=1
	s_andn2_b64 vcc, exec, s[30:31]
	s_cbranch_vccz .LBB26_22
.LBB26_18:                              ;   in Loop: Header=BB26_16 Depth=1
	v_mov_b32_e32 v14, 0
	s_and_saveexec_b64 s[30:31], s[0:1]
	s_cbranch_execnz .LBB26_25
	s_branch .LBB26_28
.LBB26_19:                              ;   in Loop: Header=BB26_16 Depth=1
	s_and_b64 vcc, exec, s[8:9]
	v_mov_b64_e32 v[8:9], v[6:7]
	s_cbranch_vccnz .LBB26_21
; %bb.20:                               ;   in Loop: Header=BB26_16 Depth=1
	v_mul_lo_u32 v14, s13, v6
	v_mul_lo_u32 v15, s12, v7
	v_mad_u64_u32 v[8:9], s[30:31], s12, v6, 0
	v_add3_u32 v9, v9, v15, v14
.LBB26_21:                              ;   in Loop: Header=BB26_16 Depth=1
	s_cbranch_execnz .LBB26_18
.LBB26_22:                              ;   in Loop: Header=BB26_16 Depth=1
	s_and_b64 vcc, exec, s[10:11]
	s_cbranch_vccnz .LBB26_24
; %bb.23:                               ;   in Loop: Header=BB26_16 Depth=1
	v_mul_lo_u32 v8, s13, v6
	v_mul_lo_u32 v9, s12, v7
	v_mad_u64_u32 v[6:7], s[30:31], s12, v6, 0
	v_add3_u32 v7, v7, v9, v8
.LBB26_24:                              ;   in Loop: Header=BB26_16 Depth=1
	v_mov_b64_e32 v[8:9], v[6:7]
	v_mov_b32_e32 v14, 0
	s_and_saveexec_b64 s[30:31], s[0:1]
	s_cbranch_execz .LBB26_28
.LBB26_25:                              ;   in Loop: Header=BB26_16 Depth=1
	v_lshl_add_u64 v[6:7], v[8:9], 2, v[4:5]
	v_mov_b32_e32 v14, 0
	s_mov_b64 s[34:35], 0
	v_mov_b64_e32 v[8:9], v[2:3]
	v_mov_b32_e32 v15, v10
.LBB26_26:                              ;   Parent Loop BB26_16 Depth=1
                                        ; =>  This Inner Loop Header: Depth=2
	global_load_dword v16, v[8:9], off
	global_load_dword v17, v[6:7], off
	v_add_u32_e32 v15, 8, v15
	v_cmp_le_i32_e32 vcc, s17, v15
	v_lshl_add_u64 v[8:9], v[8:9], 0, s[24:25]
	v_lshl_add_u64 v[6:7], v[6:7], 0, s[26:27]
	s_or_b64 s[34:35], vcc, s[34:35]
	s_waitcnt vmcnt(0)
	v_fmac_f32_e32 v14, v16, v17
	s_andn2_b64 exec, exec, s[34:35]
	s_cbranch_execnz .LBB26_26
; %bb.27:                               ;   in Loop: Header=BB26_16 Depth=1
	s_or_b64 exec, exec, s[34:35]
.LBB26_28:                              ;   in Loop: Header=BB26_16 Depth=1
	s_or_b64 exec, exec, s[30:31]
	ds_write_b32 v12, v14
	s_waitcnt lgkmcnt(0)
	s_barrier
	s_and_saveexec_b64 s[30:31], s[4:5]
	s_cbranch_execz .LBB26_30
; %bb.29:                               ;   in Loop: Header=BB26_16 Depth=1
	ds_read2_b32 v[6:7], v12 offset1:4
	s_waitcnt lgkmcnt(0)
	v_add_f32_e32 v6, v7, v6
	ds_write_b32 v12, v6
.LBB26_30:                              ;   in Loop: Header=BB26_16 Depth=1
	s_or_b64 exec, exec, s[30:31]
	s_waitcnt lgkmcnt(0)
	s_barrier
	s_and_saveexec_b64 s[30:31], s[6:7]
	s_cbranch_execz .LBB26_32
; %bb.31:                               ;   in Loop: Header=BB26_16 Depth=1
	ds_read2_b32 v[6:7], v12 offset1:2
	s_waitcnt lgkmcnt(0)
	v_add_f32_e32 v6, v7, v6
	ds_write_b32 v12, v6
.LBB26_32:                              ;   in Loop: Header=BB26_16 Depth=1
	s_or_b64 exec, exec, s[30:31]
	;; [unrolled: 11-line block ×3, first 2 shown]
	s_waitcnt lgkmcnt(0)
	s_barrier
	s_and_saveexec_b64 s[30:31], s[2:3]
	s_cbranch_execz .LBB26_15
; %bb.35:                               ;   in Loop: Header=BB26_16 Depth=1
	v_lshl_add_u64 v[6:7], v[0:1], 2, s[22:23]
	global_load_dword v8, v[6:7], off
	ds_read_b32 v9, v11
	s_waitcnt vmcnt(0) lgkmcnt(0)
	v_pk_mul_f32 v[8:9], s[18:19], v[8:9]
	s_nop 0
	v_add_f32_e32 v1, v8, v9
	global_store_dword v[6:7], v1, off
	s_branch .LBB26_15
.LBB26_36:
	s_endpgm
	.section	.rodata,"a",@progbits
	.p2align	6, 0x0
	.amdhsa_kernel _ZN9rocsparseL16sddmm_csx_kernelILi512ELi8EL20rocsparse_direction_0EfiifffEEv20rocsparse_operation_S2_16rocsparse_order_S3_T4_S4_S4_T3_NS_24const_host_device_scalarIT2_EEPKT5_lPKT6_lS8_PT7_PKS5_PKS4_21rocsparse_index_base_b
		.amdhsa_group_segment_fixed_size 2048
		.amdhsa_private_segment_fixed_size 0
		.amdhsa_kernarg_size 112
		.amdhsa_user_sgpr_count 2
		.amdhsa_user_sgpr_dispatch_ptr 0
		.amdhsa_user_sgpr_queue_ptr 0
		.amdhsa_user_sgpr_kernarg_segment_ptr 1
		.amdhsa_user_sgpr_dispatch_id 0
		.amdhsa_user_sgpr_kernarg_preload_length 0
		.amdhsa_user_sgpr_kernarg_preload_offset 0
		.amdhsa_user_sgpr_private_segment_size 0
		.amdhsa_uses_dynamic_stack 0
		.amdhsa_enable_private_segment 0
		.amdhsa_system_sgpr_workgroup_id_x 1
		.amdhsa_system_sgpr_workgroup_id_y 0
		.amdhsa_system_sgpr_workgroup_id_z 0
		.amdhsa_system_sgpr_workgroup_info 0
		.amdhsa_system_vgpr_workitem_id 0
		.amdhsa_next_free_vgpr 18
		.amdhsa_next_free_sgpr 36
		.amdhsa_accum_offset 20
		.amdhsa_reserve_vcc 1
		.amdhsa_float_round_mode_32 0
		.amdhsa_float_round_mode_16_64 0
		.amdhsa_float_denorm_mode_32 3
		.amdhsa_float_denorm_mode_16_64 3
		.amdhsa_dx10_clamp 1
		.amdhsa_ieee_mode 1
		.amdhsa_fp16_overflow 0
		.amdhsa_tg_split 0
		.amdhsa_exception_fp_ieee_invalid_op 0
		.amdhsa_exception_fp_denorm_src 0
		.amdhsa_exception_fp_ieee_div_zero 0
		.amdhsa_exception_fp_ieee_overflow 0
		.amdhsa_exception_fp_ieee_underflow 0
		.amdhsa_exception_fp_ieee_inexact 0
		.amdhsa_exception_int_div_zero 0
	.end_amdhsa_kernel
	.section	.text._ZN9rocsparseL16sddmm_csx_kernelILi512ELi8EL20rocsparse_direction_0EfiifffEEv20rocsparse_operation_S2_16rocsparse_order_S3_T4_S4_S4_T3_NS_24const_host_device_scalarIT2_EEPKT5_lPKT6_lS8_PT7_PKS5_PKS4_21rocsparse_index_base_b,"axG",@progbits,_ZN9rocsparseL16sddmm_csx_kernelILi512ELi8EL20rocsparse_direction_0EfiifffEEv20rocsparse_operation_S2_16rocsparse_order_S3_T4_S4_S4_T3_NS_24const_host_device_scalarIT2_EEPKT5_lPKT6_lS8_PT7_PKS5_PKS4_21rocsparse_index_base_b,comdat
.Lfunc_end26:
	.size	_ZN9rocsparseL16sddmm_csx_kernelILi512ELi8EL20rocsparse_direction_0EfiifffEEv20rocsparse_operation_S2_16rocsparse_order_S3_T4_S4_S4_T3_NS_24const_host_device_scalarIT2_EEPKT5_lPKT6_lS8_PT7_PKS5_PKS4_21rocsparse_index_base_b, .Lfunc_end26-_ZN9rocsparseL16sddmm_csx_kernelILi512ELi8EL20rocsparse_direction_0EfiifffEEv20rocsparse_operation_S2_16rocsparse_order_S3_T4_S4_S4_T3_NS_24const_host_device_scalarIT2_EEPKT5_lPKT6_lS8_PT7_PKS5_PKS4_21rocsparse_index_base_b
                                        ; -- End function
	.set _ZN9rocsparseL16sddmm_csx_kernelILi512ELi8EL20rocsparse_direction_0EfiifffEEv20rocsparse_operation_S2_16rocsparse_order_S3_T4_S4_S4_T3_NS_24const_host_device_scalarIT2_EEPKT5_lPKT6_lS8_PT7_PKS5_PKS4_21rocsparse_index_base_b.num_vgpr, 18
	.set _ZN9rocsparseL16sddmm_csx_kernelILi512ELi8EL20rocsparse_direction_0EfiifffEEv20rocsparse_operation_S2_16rocsparse_order_S3_T4_S4_S4_T3_NS_24const_host_device_scalarIT2_EEPKT5_lPKT6_lS8_PT7_PKS5_PKS4_21rocsparse_index_base_b.num_agpr, 0
	.set _ZN9rocsparseL16sddmm_csx_kernelILi512ELi8EL20rocsparse_direction_0EfiifffEEv20rocsparse_operation_S2_16rocsparse_order_S3_T4_S4_S4_T3_NS_24const_host_device_scalarIT2_EEPKT5_lPKT6_lS8_PT7_PKS5_PKS4_21rocsparse_index_base_b.numbered_sgpr, 36
	.set _ZN9rocsparseL16sddmm_csx_kernelILi512ELi8EL20rocsparse_direction_0EfiifffEEv20rocsparse_operation_S2_16rocsparse_order_S3_T4_S4_S4_T3_NS_24const_host_device_scalarIT2_EEPKT5_lPKT6_lS8_PT7_PKS5_PKS4_21rocsparse_index_base_b.num_named_barrier, 0
	.set _ZN9rocsparseL16sddmm_csx_kernelILi512ELi8EL20rocsparse_direction_0EfiifffEEv20rocsparse_operation_S2_16rocsparse_order_S3_T4_S4_S4_T3_NS_24const_host_device_scalarIT2_EEPKT5_lPKT6_lS8_PT7_PKS5_PKS4_21rocsparse_index_base_b.private_seg_size, 0
	.set _ZN9rocsparseL16sddmm_csx_kernelILi512ELi8EL20rocsparse_direction_0EfiifffEEv20rocsparse_operation_S2_16rocsparse_order_S3_T4_S4_S4_T3_NS_24const_host_device_scalarIT2_EEPKT5_lPKT6_lS8_PT7_PKS5_PKS4_21rocsparse_index_base_b.uses_vcc, 1
	.set _ZN9rocsparseL16sddmm_csx_kernelILi512ELi8EL20rocsparse_direction_0EfiifffEEv20rocsparse_operation_S2_16rocsparse_order_S3_T4_S4_S4_T3_NS_24const_host_device_scalarIT2_EEPKT5_lPKT6_lS8_PT7_PKS5_PKS4_21rocsparse_index_base_b.uses_flat_scratch, 0
	.set _ZN9rocsparseL16sddmm_csx_kernelILi512ELi8EL20rocsparse_direction_0EfiifffEEv20rocsparse_operation_S2_16rocsparse_order_S3_T4_S4_S4_T3_NS_24const_host_device_scalarIT2_EEPKT5_lPKT6_lS8_PT7_PKS5_PKS4_21rocsparse_index_base_b.has_dyn_sized_stack, 0
	.set _ZN9rocsparseL16sddmm_csx_kernelILi512ELi8EL20rocsparse_direction_0EfiifffEEv20rocsparse_operation_S2_16rocsparse_order_S3_T4_S4_S4_T3_NS_24const_host_device_scalarIT2_EEPKT5_lPKT6_lS8_PT7_PKS5_PKS4_21rocsparse_index_base_b.has_recursion, 0
	.set _ZN9rocsparseL16sddmm_csx_kernelILi512ELi8EL20rocsparse_direction_0EfiifffEEv20rocsparse_operation_S2_16rocsparse_order_S3_T4_S4_S4_T3_NS_24const_host_device_scalarIT2_EEPKT5_lPKT6_lS8_PT7_PKS5_PKS4_21rocsparse_index_base_b.has_indirect_call, 0
	.section	.AMDGPU.csdata,"",@progbits
; Kernel info:
; codeLenInByte = 1136
; TotalNumSgprs: 42
; NumVgprs: 18
; NumAgprs: 0
; TotalNumVgprs: 18
; ScratchSize: 0
; MemoryBound: 0
; FloatMode: 240
; IeeeMode: 1
; LDSByteSize: 2048 bytes/workgroup (compile time only)
; SGPRBlocks: 5
; VGPRBlocks: 2
; NumSGPRsForWavesPerEU: 42
; NumVGPRsForWavesPerEU: 18
; AccumOffset: 20
; Occupancy: 8
; WaveLimiterHint : 0
; COMPUTE_PGM_RSRC2:SCRATCH_EN: 0
; COMPUTE_PGM_RSRC2:USER_SGPR: 2
; COMPUTE_PGM_RSRC2:TRAP_HANDLER: 0
; COMPUTE_PGM_RSRC2:TGID_X_EN: 1
; COMPUTE_PGM_RSRC2:TGID_Y_EN: 0
; COMPUTE_PGM_RSRC2:TGID_Z_EN: 0
; COMPUTE_PGM_RSRC2:TIDIG_COMP_CNT: 0
; COMPUTE_PGM_RSRC3_GFX90A:ACCUM_OFFSET: 4
; COMPUTE_PGM_RSRC3_GFX90A:TG_SPLIT: 0
	.section	.text._ZN9rocsparseL16sddmm_csx_kernelILi512ELi4EL20rocsparse_direction_0EfiifffEEv20rocsparse_operation_S2_16rocsparse_order_S3_T4_S4_S4_T3_NS_24const_host_device_scalarIT2_EEPKT5_lPKT6_lS8_PT7_PKS5_PKS4_21rocsparse_index_base_b,"axG",@progbits,_ZN9rocsparseL16sddmm_csx_kernelILi512ELi4EL20rocsparse_direction_0EfiifffEEv20rocsparse_operation_S2_16rocsparse_order_S3_T4_S4_S4_T3_NS_24const_host_device_scalarIT2_EEPKT5_lPKT6_lS8_PT7_PKS5_PKS4_21rocsparse_index_base_b,comdat
	.globl	_ZN9rocsparseL16sddmm_csx_kernelILi512ELi4EL20rocsparse_direction_0EfiifffEEv20rocsparse_operation_S2_16rocsparse_order_S3_T4_S4_S4_T3_NS_24const_host_device_scalarIT2_EEPKT5_lPKT6_lS8_PT7_PKS5_PKS4_21rocsparse_index_base_b ; -- Begin function _ZN9rocsparseL16sddmm_csx_kernelILi512ELi4EL20rocsparse_direction_0EfiifffEEv20rocsparse_operation_S2_16rocsparse_order_S3_T4_S4_S4_T3_NS_24const_host_device_scalarIT2_EEPKT5_lPKT6_lS8_PT7_PKS5_PKS4_21rocsparse_index_base_b
	.p2align	8
	.type	_ZN9rocsparseL16sddmm_csx_kernelILi512ELi4EL20rocsparse_direction_0EfiifffEEv20rocsparse_operation_S2_16rocsparse_order_S3_T4_S4_S4_T3_NS_24const_host_device_scalarIT2_EEPKT5_lPKT6_lS8_PT7_PKS5_PKS4_21rocsparse_index_base_b,@function
_ZN9rocsparseL16sddmm_csx_kernelILi512ELi4EL20rocsparse_direction_0EfiifffEEv20rocsparse_operation_S2_16rocsparse_order_S3_T4_S4_S4_T3_NS_24const_host_device_scalarIT2_EEPKT5_lPKT6_lS8_PT7_PKS5_PKS4_21rocsparse_index_base_b: ; @_ZN9rocsparseL16sddmm_csx_kernelILi512ELi4EL20rocsparse_direction_0EfiifffEEv20rocsparse_operation_S2_16rocsparse_order_S3_T4_S4_S4_T3_NS_24const_host_device_scalarIT2_EEPKT5_lPKT6_lS8_PT7_PKS5_PKS4_21rocsparse_index_base_b
; %bb.0:
	s_load_dwordx2 s[10:11], s[0:1], 0x68
	s_load_dwordx2 s[6:7], s[0:1], 0x20
	s_load_dwordx4 s[12:15], s[0:1], 0x40
	s_waitcnt lgkmcnt(0)
	s_bitcmp1_b32 s11, 0
	s_cselect_b64 s[8:9], -1, 0
	s_xor_b64 s[4:5], s[8:9], -1
	s_and_b64 vcc, exec, s[8:9]
	s_mov_b32 s17, s6
	s_cbranch_vccnz .LBB27_2
; %bb.1:
	s_load_dword s17, s[6:7], 0x0
.LBB27_2:
	s_andn2_b64 vcc, exec, s[4:5]
	s_mov_b32 s16, s14
	s_cbranch_vccnz .LBB27_4
; %bb.3:
	s_load_dword s16, s[14:15], 0x0
.LBB27_4:
	s_waitcnt lgkmcnt(0)
	v_cmp_eq_f32_e64 s[4:5], s17, 0
	v_cmp_eq_f32_e64 s[6:7], s16, 1.0
	s_and_b64 s[4:5], s[4:5], s[6:7]
	s_and_b64 vcc, exec, s[4:5]
	s_cbranch_vccnz .LBB27_34
; %bb.5:
	s_load_dword s3, s[0:1], 0x10
	v_lshrrev_b32_e32 v1, 2, v0
	v_lshl_or_b32 v4, s2, 7, v1
	s_waitcnt lgkmcnt(0)
	v_cmp_gt_i32_e32 vcc, s3, v4
	s_and_saveexec_b64 s[2:3], vcc
	s_cbranch_execz .LBB27_34
; %bb.6:
	s_load_dwordx4 s[4:7], s[0:1], 0x0
	s_load_dwordx2 s[14:15], s[0:1], 0x58
	s_load_dwordx2 s[2:3], s[0:1], 0x30
	v_ashrrev_i32_e32 v5, 31, v4
	s_waitcnt lgkmcnt(0)
	s_cmp_eq_u32 s6, 1
	s_cselect_b64 s[8:9], -1, 0
	s_cmpk_eq_i32 s4, 0x6f
	s_cselect_b64 s[18:19], -1, 0
	s_cmpk_lg_i32 s4, 0x6f
	s_cselect_b64 s[20:21], -1, 0
	s_cmp_lg_u32 s6, 1
	s_cbranch_scc0 .LBB27_10
; %bb.7:
	s_andn2_b64 vcc, exec, s[18:19]
	v_mov_b64_e32 v[2:3], v[4:5]
	s_cbranch_vccnz .LBB27_9
; %bb.8:
	v_mul_lo_u32 v6, s3, v4
	v_mul_lo_u32 v7, s2, v5
	v_mad_u64_u32 v[2:3], s[22:23], s2, v4, 0
	v_add3_u32 v3, v3, v7, v6
.LBB27_9:
	s_cbranch_execz .LBB27_11
	s_branch .LBB27_13
.LBB27_10:
                                        ; implicit-def: $vgpr2_vgpr3
.LBB27_11:
	s_andn2_b64 vcc, exec, s[20:21]
	v_mov_b64_e32 v[2:3], v[4:5]
	s_cbranch_vccnz .LBB27_13
; %bb.12:
	v_mul_lo_u32 v6, s3, v4
	v_mul_lo_u32 v7, s2, v5
	v_mad_u64_u32 v[2:3], s[20:21], s2, v4, 0
	v_add3_u32 v3, v3, v7, v6
.LBB27_13:
	v_lshl_add_u64 v[4:5], v[4:5], 2, s[14:15]
	global_load_dwordx2 v[4:5], v[4:5], off
	s_waitcnt vmcnt(0)
	v_cmp_lt_i32_e32 vcc, v4, v5
	s_and_b64 exec, exec, vcc
	s_cbranch_execz .LBB27_34
; %bb.14:
	s_xor_b64 s[8:9], s[18:19], s[8:9]
	s_and_b64 s[8:9], s[8:9], exec
	s_cselect_b32 s9, 0, s3
	s_cselect_b32 s8, 1, s2
	s_cmp_lg_u32 s7, 1
	s_cselect_b64 s[18:19], -1, 0
	s_cmp_eq_u32 s7, 1
	s_cselect_b64 s[2:3], -1, 0
	s_cmpk_eq_i32 s5, 0x6f
	v_and_b32_e32 v10, 3, v0
	s_cselect_b64 s[6:7], -1, 0
	s_cmpk_lg_i32 s5, 0x6f
	v_subrev_u32_e32 v0, s10, v4
	v_subrev_u32_e32 v13, s10, v5
	v_mad_u64_u32 v[4:5], s[26:27], s8, v10, 0
	s_cselect_b64 s[28:29], -1, 0
	v_cndmask_b32_e64 v8, 0, 1, s[6:7]
	s_xor_b64 s[2:3], s[6:7], s[2:3]
	s_load_dwordx2 s[6:7], s[0:1], 0x38
	s_load_dwordx2 s[20:21], s[0:1], 0x50
	;; [unrolled: 1-line block ×3, first 2 shown]
	s_load_dword s11, s[0:1], 0x18
	v_mov_b32_e32 v6, v5
	v_mad_u64_u32 v[6:7], s[26:27], s9, v10, v[6:7]
	s_and_b64 s[2:3], s[2:3], exec
	v_mov_b32_e32 v5, v6
	v_lshlrev_b64 v[2:3], 2, v[2:3]
	s_cselect_b32 s24, s12, 1
	v_lshl_add_u64 v[2:3], v[4:5], 2, v[2:3]
	s_load_dwordx2 s[14:15], s[0:1], 0x60
	s_cselect_b32 s25, s13, 0
	s_waitcnt lgkmcnt(0)
	v_lshl_add_u64 v[2:3], s[22:23], 0, v[2:3]
	s_lshl_b64 s[22:23], s[8:9], 4
	v_mad_u64_u32 v[4:5], s[8:9], s24, v10, 0
	v_mov_b32_e32 v6, v5
	v_mad_u64_u32 v[6:7], s[8:9], s25, v10, v[6:7]
	v_lshlrev_b32_e32 v11, 4, v1
	v_mov_b32_e32 v5, v6
	v_cndmask_b32_e64 v1, 0, 1, s[28:29]
	v_cmp_gt_i32_e64 s[0:1], s11, v10
	v_lshl_or_b32 v12, v10, 2, v11
	v_cmp_eq_u32_e64 s[2:3], 0, v10
	v_cmp_gt_u32_e64 s[4:5], 2, v10
	v_lshl_add_u64 v[4:5], v[4:5], 2, s[6:7]
	s_lshl_b64 s[24:25], s[24:25], 4
	s_mov_b64 s[26:27], 0
	v_cmp_ne_u32_e64 s[6:7], 1, v1
	v_cmp_ne_u32_e64 s[8:9], 1, v8
	s_branch .LBB27_16
.LBB27_15:                              ;   in Loop: Header=BB27_16 Depth=1
	s_or_b64 exec, exec, s[28:29]
	v_add_u32_e32 v0, 1, v0
	v_cmp_ge_i32_e32 vcc, v0, v13
	s_or_b64 s[26:27], vcc, s[26:27]
	s_andn2_b64 exec, exec, s[26:27]
	s_cbranch_execz .LBB27_34
.LBB27_16:                              ; =>This Loop Header: Depth=1
                                        ;     Child Loop BB27_26 Depth 2
	v_ashrrev_i32_e32 v1, 31, v0
	v_lshl_add_u64 v[6:7], v[0:1], 2, s[14:15]
	global_load_dword v6, v[6:7], off
	s_mov_b64 s[28:29], -1
	s_and_b64 vcc, exec, s[18:19]
                                        ; implicit-def: $vgpr8_vgpr9
	s_waitcnt vmcnt(0)
	v_subrev_u32_e32 v6, s10, v6
	v_ashrrev_i32_e32 v7, 31, v6
	s_cbranch_vccnz .LBB27_19
; %bb.17:                               ;   in Loop: Header=BB27_16 Depth=1
	s_andn2_b64 vcc, exec, s[28:29]
	s_cbranch_vccz .LBB27_22
.LBB27_18:                              ;   in Loop: Header=BB27_16 Depth=1
	v_mov_b32_e32 v14, 0
	s_and_saveexec_b64 s[28:29], s[0:1]
	s_cbranch_execnz .LBB27_25
	s_branch .LBB27_28
.LBB27_19:                              ;   in Loop: Header=BB27_16 Depth=1
	s_and_b64 vcc, exec, s[6:7]
	v_mov_b64_e32 v[8:9], v[6:7]
	s_cbranch_vccnz .LBB27_21
; %bb.20:                               ;   in Loop: Header=BB27_16 Depth=1
	v_mul_lo_u32 v14, s13, v6
	v_mul_lo_u32 v15, s12, v7
	v_mad_u64_u32 v[8:9], s[28:29], s12, v6, 0
	v_add3_u32 v9, v9, v15, v14
.LBB27_21:                              ;   in Loop: Header=BB27_16 Depth=1
	s_cbranch_execnz .LBB27_18
.LBB27_22:                              ;   in Loop: Header=BB27_16 Depth=1
	s_and_b64 vcc, exec, s[8:9]
	s_cbranch_vccnz .LBB27_24
; %bb.23:                               ;   in Loop: Header=BB27_16 Depth=1
	v_mul_lo_u32 v8, s13, v6
	v_mul_lo_u32 v9, s12, v7
	v_mad_u64_u32 v[6:7], s[28:29], s12, v6, 0
	v_add3_u32 v7, v7, v9, v8
.LBB27_24:                              ;   in Loop: Header=BB27_16 Depth=1
	v_mov_b64_e32 v[8:9], v[6:7]
	v_mov_b32_e32 v14, 0
	s_and_saveexec_b64 s[28:29], s[0:1]
	s_cbranch_execz .LBB27_28
.LBB27_25:                              ;   in Loop: Header=BB27_16 Depth=1
	v_lshl_add_u64 v[6:7], v[8:9], 2, v[4:5]
	v_mov_b32_e32 v14, 0
	s_mov_b64 s[30:31], 0
	v_mov_b64_e32 v[8:9], v[2:3]
	v_mov_b32_e32 v15, v10
.LBB27_26:                              ;   Parent Loop BB27_16 Depth=1
                                        ; =>  This Inner Loop Header: Depth=2
	global_load_dword v16, v[8:9], off
	global_load_dword v17, v[6:7], off
	v_add_u32_e32 v15, 4, v15
	v_cmp_le_i32_e32 vcc, s11, v15
	v_lshl_add_u64 v[8:9], v[8:9], 0, s[22:23]
	v_lshl_add_u64 v[6:7], v[6:7], 0, s[24:25]
	s_or_b64 s[30:31], vcc, s[30:31]
	s_waitcnt vmcnt(0)
	v_fmac_f32_e32 v14, v16, v17
	s_andn2_b64 exec, exec, s[30:31]
	s_cbranch_execnz .LBB27_26
; %bb.27:                               ;   in Loop: Header=BB27_16 Depth=1
	s_or_b64 exec, exec, s[30:31]
.LBB27_28:                              ;   in Loop: Header=BB27_16 Depth=1
	s_or_b64 exec, exec, s[28:29]
	ds_write_b32 v12, v14
	s_waitcnt lgkmcnt(0)
	s_barrier
	s_and_saveexec_b64 s[28:29], s[4:5]
	s_cbranch_execz .LBB27_30
; %bb.29:                               ;   in Loop: Header=BB27_16 Depth=1
	ds_read2_b32 v[6:7], v12 offset1:2
	s_waitcnt lgkmcnt(0)
	v_add_f32_e32 v6, v7, v6
	ds_write_b32 v12, v6
.LBB27_30:                              ;   in Loop: Header=BB27_16 Depth=1
	s_or_b64 exec, exec, s[28:29]
	s_waitcnt lgkmcnt(0)
	s_barrier
	s_and_saveexec_b64 s[28:29], s[2:3]
	s_cbranch_execz .LBB27_32
; %bb.31:                               ;   in Loop: Header=BB27_16 Depth=1
	ds_read2_b32 v[6:7], v12 offset1:1
	s_waitcnt lgkmcnt(0)
	v_add_f32_e32 v6, v7, v6
	ds_write_b32 v12, v6
.LBB27_32:                              ;   in Loop: Header=BB27_16 Depth=1
	s_or_b64 exec, exec, s[28:29]
	s_waitcnt lgkmcnt(0)
	s_barrier
	s_and_saveexec_b64 s[28:29], s[2:3]
	s_cbranch_execz .LBB27_15
; %bb.33:                               ;   in Loop: Header=BB27_16 Depth=1
	v_lshl_add_u64 v[6:7], v[0:1], 2, s[20:21]
	global_load_dword v8, v[6:7], off
	ds_read_b32 v9, v11
	s_waitcnt vmcnt(0) lgkmcnt(0)
	v_pk_mul_f32 v[8:9], s[16:17], v[8:9]
	s_nop 0
	v_add_f32_e32 v1, v8, v9
	global_store_dword v[6:7], v1, off
	s_branch .LBB27_15
.LBB27_34:
	s_endpgm
	.section	.rodata,"a",@progbits
	.p2align	6, 0x0
	.amdhsa_kernel _ZN9rocsparseL16sddmm_csx_kernelILi512ELi4EL20rocsparse_direction_0EfiifffEEv20rocsparse_operation_S2_16rocsparse_order_S3_T4_S4_S4_T3_NS_24const_host_device_scalarIT2_EEPKT5_lPKT6_lS8_PT7_PKS5_PKS4_21rocsparse_index_base_b
		.amdhsa_group_segment_fixed_size 2048
		.amdhsa_private_segment_fixed_size 0
		.amdhsa_kernarg_size 112
		.amdhsa_user_sgpr_count 2
		.amdhsa_user_sgpr_dispatch_ptr 0
		.amdhsa_user_sgpr_queue_ptr 0
		.amdhsa_user_sgpr_kernarg_segment_ptr 1
		.amdhsa_user_sgpr_dispatch_id 0
		.amdhsa_user_sgpr_kernarg_preload_length 0
		.amdhsa_user_sgpr_kernarg_preload_offset 0
		.amdhsa_user_sgpr_private_segment_size 0
		.amdhsa_uses_dynamic_stack 0
		.amdhsa_enable_private_segment 0
		.amdhsa_system_sgpr_workgroup_id_x 1
		.amdhsa_system_sgpr_workgroup_id_y 0
		.amdhsa_system_sgpr_workgroup_id_z 0
		.amdhsa_system_sgpr_workgroup_info 0
		.amdhsa_system_vgpr_workitem_id 0
		.amdhsa_next_free_vgpr 18
		.amdhsa_next_free_sgpr 32
		.amdhsa_accum_offset 20
		.amdhsa_reserve_vcc 1
		.amdhsa_float_round_mode_32 0
		.amdhsa_float_round_mode_16_64 0
		.amdhsa_float_denorm_mode_32 3
		.amdhsa_float_denorm_mode_16_64 3
		.amdhsa_dx10_clamp 1
		.amdhsa_ieee_mode 1
		.amdhsa_fp16_overflow 0
		.amdhsa_tg_split 0
		.amdhsa_exception_fp_ieee_invalid_op 0
		.amdhsa_exception_fp_denorm_src 0
		.amdhsa_exception_fp_ieee_div_zero 0
		.amdhsa_exception_fp_ieee_overflow 0
		.amdhsa_exception_fp_ieee_underflow 0
		.amdhsa_exception_fp_ieee_inexact 0
		.amdhsa_exception_int_div_zero 0
	.end_amdhsa_kernel
	.section	.text._ZN9rocsparseL16sddmm_csx_kernelILi512ELi4EL20rocsparse_direction_0EfiifffEEv20rocsparse_operation_S2_16rocsparse_order_S3_T4_S4_S4_T3_NS_24const_host_device_scalarIT2_EEPKT5_lPKT6_lS8_PT7_PKS5_PKS4_21rocsparse_index_base_b,"axG",@progbits,_ZN9rocsparseL16sddmm_csx_kernelILi512ELi4EL20rocsparse_direction_0EfiifffEEv20rocsparse_operation_S2_16rocsparse_order_S3_T4_S4_S4_T3_NS_24const_host_device_scalarIT2_EEPKT5_lPKT6_lS8_PT7_PKS5_PKS4_21rocsparse_index_base_b,comdat
.Lfunc_end27:
	.size	_ZN9rocsparseL16sddmm_csx_kernelILi512ELi4EL20rocsparse_direction_0EfiifffEEv20rocsparse_operation_S2_16rocsparse_order_S3_T4_S4_S4_T3_NS_24const_host_device_scalarIT2_EEPKT5_lPKT6_lS8_PT7_PKS5_PKS4_21rocsparse_index_base_b, .Lfunc_end27-_ZN9rocsparseL16sddmm_csx_kernelILi512ELi4EL20rocsparse_direction_0EfiifffEEv20rocsparse_operation_S2_16rocsparse_order_S3_T4_S4_S4_T3_NS_24const_host_device_scalarIT2_EEPKT5_lPKT6_lS8_PT7_PKS5_PKS4_21rocsparse_index_base_b
                                        ; -- End function
	.set _ZN9rocsparseL16sddmm_csx_kernelILi512ELi4EL20rocsparse_direction_0EfiifffEEv20rocsparse_operation_S2_16rocsparse_order_S3_T4_S4_S4_T3_NS_24const_host_device_scalarIT2_EEPKT5_lPKT6_lS8_PT7_PKS5_PKS4_21rocsparse_index_base_b.num_vgpr, 18
	.set _ZN9rocsparseL16sddmm_csx_kernelILi512ELi4EL20rocsparse_direction_0EfiifffEEv20rocsparse_operation_S2_16rocsparse_order_S3_T4_S4_S4_T3_NS_24const_host_device_scalarIT2_EEPKT5_lPKT6_lS8_PT7_PKS5_PKS4_21rocsparse_index_base_b.num_agpr, 0
	.set _ZN9rocsparseL16sddmm_csx_kernelILi512ELi4EL20rocsparse_direction_0EfiifffEEv20rocsparse_operation_S2_16rocsparse_order_S3_T4_S4_S4_T3_NS_24const_host_device_scalarIT2_EEPKT5_lPKT6_lS8_PT7_PKS5_PKS4_21rocsparse_index_base_b.numbered_sgpr, 32
	.set _ZN9rocsparseL16sddmm_csx_kernelILi512ELi4EL20rocsparse_direction_0EfiifffEEv20rocsparse_operation_S2_16rocsparse_order_S3_T4_S4_S4_T3_NS_24const_host_device_scalarIT2_EEPKT5_lPKT6_lS8_PT7_PKS5_PKS4_21rocsparse_index_base_b.num_named_barrier, 0
	.set _ZN9rocsparseL16sddmm_csx_kernelILi512ELi4EL20rocsparse_direction_0EfiifffEEv20rocsparse_operation_S2_16rocsparse_order_S3_T4_S4_S4_T3_NS_24const_host_device_scalarIT2_EEPKT5_lPKT6_lS8_PT7_PKS5_PKS4_21rocsparse_index_base_b.private_seg_size, 0
	.set _ZN9rocsparseL16sddmm_csx_kernelILi512ELi4EL20rocsparse_direction_0EfiifffEEv20rocsparse_operation_S2_16rocsparse_order_S3_T4_S4_S4_T3_NS_24const_host_device_scalarIT2_EEPKT5_lPKT6_lS8_PT7_PKS5_PKS4_21rocsparse_index_base_b.uses_vcc, 1
	.set _ZN9rocsparseL16sddmm_csx_kernelILi512ELi4EL20rocsparse_direction_0EfiifffEEv20rocsparse_operation_S2_16rocsparse_order_S3_T4_S4_S4_T3_NS_24const_host_device_scalarIT2_EEPKT5_lPKT6_lS8_PT7_PKS5_PKS4_21rocsparse_index_base_b.uses_flat_scratch, 0
	.set _ZN9rocsparseL16sddmm_csx_kernelILi512ELi4EL20rocsparse_direction_0EfiifffEEv20rocsparse_operation_S2_16rocsparse_order_S3_T4_S4_S4_T3_NS_24const_host_device_scalarIT2_EEPKT5_lPKT6_lS8_PT7_PKS5_PKS4_21rocsparse_index_base_b.has_dyn_sized_stack, 0
	.set _ZN9rocsparseL16sddmm_csx_kernelILi512ELi4EL20rocsparse_direction_0EfiifffEEv20rocsparse_operation_S2_16rocsparse_order_S3_T4_S4_S4_T3_NS_24const_host_device_scalarIT2_EEPKT5_lPKT6_lS8_PT7_PKS5_PKS4_21rocsparse_index_base_b.has_recursion, 0
	.set _ZN9rocsparseL16sddmm_csx_kernelILi512ELi4EL20rocsparse_direction_0EfiifffEEv20rocsparse_operation_S2_16rocsparse_order_S3_T4_S4_S4_T3_NS_24const_host_device_scalarIT2_EEPKT5_lPKT6_lS8_PT7_PKS5_PKS4_21rocsparse_index_base_b.has_indirect_call, 0
	.section	.AMDGPU.csdata,"",@progbits
; Kernel info:
; codeLenInByte = 1084
; TotalNumSgprs: 38
; NumVgprs: 18
; NumAgprs: 0
; TotalNumVgprs: 18
; ScratchSize: 0
; MemoryBound: 0
; FloatMode: 240
; IeeeMode: 1
; LDSByteSize: 2048 bytes/workgroup (compile time only)
; SGPRBlocks: 4
; VGPRBlocks: 2
; NumSGPRsForWavesPerEU: 38
; NumVGPRsForWavesPerEU: 18
; AccumOffset: 20
; Occupancy: 8
; WaveLimiterHint : 0
; COMPUTE_PGM_RSRC2:SCRATCH_EN: 0
; COMPUTE_PGM_RSRC2:USER_SGPR: 2
; COMPUTE_PGM_RSRC2:TRAP_HANDLER: 0
; COMPUTE_PGM_RSRC2:TGID_X_EN: 1
; COMPUTE_PGM_RSRC2:TGID_Y_EN: 0
; COMPUTE_PGM_RSRC2:TGID_Z_EN: 0
; COMPUTE_PGM_RSRC2:TIDIG_COMP_CNT: 0
; COMPUTE_PGM_RSRC3_GFX90A:ACCUM_OFFSET: 4
; COMPUTE_PGM_RSRC3_GFX90A:TG_SPLIT: 0
	.section	.text._ZN9rocsparseL16sddmm_csx_kernelILi512ELi2EL20rocsparse_direction_0EfiifffEEv20rocsparse_operation_S2_16rocsparse_order_S3_T4_S4_S4_T3_NS_24const_host_device_scalarIT2_EEPKT5_lPKT6_lS8_PT7_PKS5_PKS4_21rocsparse_index_base_b,"axG",@progbits,_ZN9rocsparseL16sddmm_csx_kernelILi512ELi2EL20rocsparse_direction_0EfiifffEEv20rocsparse_operation_S2_16rocsparse_order_S3_T4_S4_S4_T3_NS_24const_host_device_scalarIT2_EEPKT5_lPKT6_lS8_PT7_PKS5_PKS4_21rocsparse_index_base_b,comdat
	.globl	_ZN9rocsparseL16sddmm_csx_kernelILi512ELi2EL20rocsparse_direction_0EfiifffEEv20rocsparse_operation_S2_16rocsparse_order_S3_T4_S4_S4_T3_NS_24const_host_device_scalarIT2_EEPKT5_lPKT6_lS8_PT7_PKS5_PKS4_21rocsparse_index_base_b ; -- Begin function _ZN9rocsparseL16sddmm_csx_kernelILi512ELi2EL20rocsparse_direction_0EfiifffEEv20rocsparse_operation_S2_16rocsparse_order_S3_T4_S4_S4_T3_NS_24const_host_device_scalarIT2_EEPKT5_lPKT6_lS8_PT7_PKS5_PKS4_21rocsparse_index_base_b
	.p2align	8
	.type	_ZN9rocsparseL16sddmm_csx_kernelILi512ELi2EL20rocsparse_direction_0EfiifffEEv20rocsparse_operation_S2_16rocsparse_order_S3_T4_S4_S4_T3_NS_24const_host_device_scalarIT2_EEPKT5_lPKT6_lS8_PT7_PKS5_PKS4_21rocsparse_index_base_b,@function
_ZN9rocsparseL16sddmm_csx_kernelILi512ELi2EL20rocsparse_direction_0EfiifffEEv20rocsparse_operation_S2_16rocsparse_order_S3_T4_S4_S4_T3_NS_24const_host_device_scalarIT2_EEPKT5_lPKT6_lS8_PT7_PKS5_PKS4_21rocsparse_index_base_b: ; @_ZN9rocsparseL16sddmm_csx_kernelILi512ELi2EL20rocsparse_direction_0EfiifffEEv20rocsparse_operation_S2_16rocsparse_order_S3_T4_S4_S4_T3_NS_24const_host_device_scalarIT2_EEPKT5_lPKT6_lS8_PT7_PKS5_PKS4_21rocsparse_index_base_b
; %bb.0:
	s_load_dwordx2 s[12:13], s[0:1], 0x68
	s_load_dwordx2 s[6:7], s[0:1], 0x20
	s_load_dwordx4 s[8:11], s[0:1], 0x40
	s_waitcnt lgkmcnt(0)
	s_bitcmp1_b32 s13, 0
	s_cselect_b64 s[14:15], -1, 0
	s_xor_b64 s[4:5], s[14:15], -1
	s_and_b64 vcc, exec, s[14:15]
	s_mov_b32 s15, s6
	s_cbranch_vccnz .LBB28_2
; %bb.1:
	s_load_dword s15, s[6:7], 0x0
.LBB28_2:
	s_andn2_b64 vcc, exec, s[4:5]
	s_mov_b32 s14, s10
	s_cbranch_vccnz .LBB28_4
; %bb.3:
	s_load_dword s14, s[10:11], 0x0
.LBB28_4:
	s_waitcnt lgkmcnt(0)
	v_cmp_eq_f32_e64 s[4:5], s15, 0
	v_cmp_eq_f32_e64 s[6:7], s14, 1.0
	s_and_b64 s[4:5], s[4:5], s[6:7]
	s_and_b64 vcc, exec, s[4:5]
	s_cbranch_vccnz .LBB28_32
; %bb.5:
	s_load_dword s3, s[0:1], 0x10
	v_lshrrev_b32_e32 v1, 1, v0
	v_lshl_or_b32 v4, s2, 8, v1
	s_waitcnt lgkmcnt(0)
	v_cmp_gt_i32_e32 vcc, s3, v4
	s_and_saveexec_b64 s[2:3], vcc
	s_cbranch_execz .LBB28_32
; %bb.6:
	s_load_dwordx4 s[4:7], s[0:1], 0x0
	s_load_dwordx2 s[10:11], s[0:1], 0x58
	s_load_dwordx2 s[2:3], s[0:1], 0x30
	v_ashrrev_i32_e32 v5, 31, v4
	s_waitcnt lgkmcnt(0)
	s_cmp_eq_u32 s6, 1
	s_cselect_b64 s[16:17], -1, 0
	s_cmpk_eq_i32 s4, 0x6f
	s_cselect_b64 s[18:19], -1, 0
	s_cmpk_lg_i32 s4, 0x6f
	s_cselect_b64 s[20:21], -1, 0
	s_cmp_lg_u32 s6, 1
	s_cbranch_scc0 .LBB28_10
; %bb.7:
	s_andn2_b64 vcc, exec, s[18:19]
	v_mov_b64_e32 v[2:3], v[4:5]
	s_cbranch_vccnz .LBB28_9
; %bb.8:
	v_mul_lo_u32 v6, s3, v4
	v_mul_lo_u32 v7, s2, v5
	v_mad_u64_u32 v[2:3], s[22:23], s2, v4, 0
	v_add3_u32 v3, v3, v7, v6
.LBB28_9:
	s_cbranch_execz .LBB28_11
	s_branch .LBB28_13
.LBB28_10:
                                        ; implicit-def: $vgpr2_vgpr3
.LBB28_11:
	s_andn2_b64 vcc, exec, s[20:21]
	v_mov_b64_e32 v[2:3], v[4:5]
	s_cbranch_vccnz .LBB28_13
; %bb.12:
	v_mul_lo_u32 v6, s3, v4
	v_mul_lo_u32 v7, s2, v5
	v_mad_u64_u32 v[2:3], s[20:21], s2, v4, 0
	v_add3_u32 v3, v3, v7, v6
.LBB28_13:
	v_lshl_add_u64 v[4:5], v[4:5], 2, s[10:11]
	global_load_dwordx2 v[4:5], v[4:5], off
	s_waitcnt vmcnt(0)
	v_cmp_lt_i32_e32 vcc, v4, v5
	s_and_b64 exec, exec, vcc
	s_cbranch_execz .LBB28_32
; %bb.14:
	s_xor_b64 s[16:17], s[18:19], s[16:17]
	s_and_b64 s[16:17], s[16:17], exec
	s_cselect_b32 s21, 0, s3
	s_cselect_b32 s20, 1, s2
	s_cmp_lg_u32 s7, 1
	s_cselect_b64 s[16:17], -1, 0
	s_cmp_eq_u32 s7, 1
	s_cselect_b64 s[2:3], -1, 0
	s_cmpk_eq_i32 s5, 0x6f
	s_cselect_b64 s[6:7], -1, 0
	s_cmpk_lg_i32 s5, 0x6f
	s_cselect_b64 s[4:5], -1, 0
	v_cndmask_b32_e64 v6, 0, 1, s[6:7]
	s_xor_b64 s[2:3], s[6:7], s[2:3]
	s_load_dwordx2 s[6:7], s[0:1], 0x38
	s_load_dwordx2 s[18:19], s[0:1], 0x50
	;; [unrolled: 1-line block ×3, first 2 shown]
	s_load_dword s13, s[0:1], 0x18
	s_load_dwordx2 s[10:11], s[0:1], 0x60
	s_and_b64 s[2:3], s[2:3], exec
	v_and_b32_e32 v10, 1, v0
	s_cselect_b32 s25, s9, 0
	s_cselect_b32 s24, s8, 1
	v_subrev_u32_e32 v0, s12, v4
	v_subrev_u32_e32 v13, s12, v5
	v_mul_lo_u32 v5, s21, v10
	v_mul_lo_u32 v4, s20, v10
	v_lshlrev_b64 v[2:3], 2, v[2:3]
	v_lshlrev_b32_e32 v11, 3, v1
	v_lshl_add_u64 v[2:3], v[4:5], 2, v[2:3]
	v_mul_lo_u32 v5, s25, v10
	v_mul_lo_u32 v4, s24, v10
	v_cndmask_b32_e64 v1, 0, 1, s[4:5]
	s_waitcnt lgkmcnt(0)
	v_cmp_gt_i32_e64 s[0:1], s13, v10
	v_lshl_or_b32 v12, v10, 2, v11
	v_cmp_eq_u32_e64 s[2:3], 0, v10
	v_lshl_add_u64 v[2:3], s[22:23], 0, v[2:3]
	s_lshl_b64 s[20:21], s[20:21], 3
	v_lshl_add_u64 v[4:5], v[4:5], 2, s[6:7]
	s_lshl_b64 s[22:23], s[24:25], 3
	s_mov_b64 s[24:25], 0
	v_cmp_ne_u32_e64 s[4:5], 1, v1
	v_cmp_ne_u32_e64 s[6:7], 1, v6
	s_branch .LBB28_16
.LBB28_15:                              ;   in Loop: Header=BB28_16 Depth=1
	s_or_b64 exec, exec, s[26:27]
	v_add_u32_e32 v0, 1, v0
	v_cmp_ge_i32_e32 vcc, v0, v13
	s_or_b64 s[24:25], vcc, s[24:25]
	s_andn2_b64 exec, exec, s[24:25]
	s_cbranch_execz .LBB28_32
.LBB28_16:                              ; =>This Loop Header: Depth=1
                                        ;     Child Loop BB28_26 Depth 2
	v_ashrrev_i32_e32 v1, 31, v0
	v_lshl_add_u64 v[6:7], v[0:1], 2, s[10:11]
	global_load_dword v6, v[6:7], off
	s_mov_b64 s[26:27], -1
	s_and_b64 vcc, exec, s[16:17]
                                        ; implicit-def: $vgpr8_vgpr9
	s_waitcnt vmcnt(0)
	v_subrev_u32_e32 v6, s12, v6
	v_ashrrev_i32_e32 v7, 31, v6
	s_cbranch_vccnz .LBB28_19
; %bb.17:                               ;   in Loop: Header=BB28_16 Depth=1
	s_andn2_b64 vcc, exec, s[26:27]
	s_cbranch_vccz .LBB28_22
.LBB28_18:                              ;   in Loop: Header=BB28_16 Depth=1
	v_mov_b32_e32 v14, 0
	s_and_saveexec_b64 s[26:27], s[0:1]
	s_cbranch_execnz .LBB28_25
	s_branch .LBB28_28
.LBB28_19:                              ;   in Loop: Header=BB28_16 Depth=1
	s_and_b64 vcc, exec, s[4:5]
	v_mov_b64_e32 v[8:9], v[6:7]
	s_cbranch_vccnz .LBB28_21
; %bb.20:                               ;   in Loop: Header=BB28_16 Depth=1
	v_mul_lo_u32 v14, s9, v6
	v_mul_lo_u32 v15, s8, v7
	v_mad_u64_u32 v[8:9], s[26:27], s8, v6, 0
	v_add3_u32 v9, v9, v15, v14
.LBB28_21:                              ;   in Loop: Header=BB28_16 Depth=1
	s_cbranch_execnz .LBB28_18
.LBB28_22:                              ;   in Loop: Header=BB28_16 Depth=1
	s_and_b64 vcc, exec, s[6:7]
	s_cbranch_vccnz .LBB28_24
; %bb.23:                               ;   in Loop: Header=BB28_16 Depth=1
	v_mul_lo_u32 v8, s9, v6
	v_mul_lo_u32 v9, s8, v7
	v_mad_u64_u32 v[6:7], s[26:27], s8, v6, 0
	v_add3_u32 v7, v7, v9, v8
.LBB28_24:                              ;   in Loop: Header=BB28_16 Depth=1
	v_mov_b64_e32 v[8:9], v[6:7]
	v_mov_b32_e32 v14, 0
	s_and_saveexec_b64 s[26:27], s[0:1]
	s_cbranch_execz .LBB28_28
.LBB28_25:                              ;   in Loop: Header=BB28_16 Depth=1
	v_lshl_add_u64 v[6:7], v[8:9], 2, v[4:5]
	v_mov_b32_e32 v14, 0
	s_mov_b64 s[28:29], 0
	v_mov_b64_e32 v[8:9], v[2:3]
	v_mov_b32_e32 v15, v10
.LBB28_26:                              ;   Parent Loop BB28_16 Depth=1
                                        ; =>  This Inner Loop Header: Depth=2
	global_load_dword v16, v[8:9], off
	global_load_dword v17, v[6:7], off
	v_add_u32_e32 v15, 2, v15
	v_cmp_le_i32_e32 vcc, s13, v15
	v_lshl_add_u64 v[8:9], v[8:9], 0, s[20:21]
	v_lshl_add_u64 v[6:7], v[6:7], 0, s[22:23]
	s_or_b64 s[28:29], vcc, s[28:29]
	s_waitcnt vmcnt(0)
	v_fmac_f32_e32 v14, v16, v17
	s_andn2_b64 exec, exec, s[28:29]
	s_cbranch_execnz .LBB28_26
; %bb.27:                               ;   in Loop: Header=BB28_16 Depth=1
	s_or_b64 exec, exec, s[28:29]
.LBB28_28:                              ;   in Loop: Header=BB28_16 Depth=1
	s_or_b64 exec, exec, s[26:27]
	ds_write_b32 v12, v14
	s_waitcnt lgkmcnt(0)
	s_barrier
	s_and_saveexec_b64 s[26:27], s[2:3]
	s_cbranch_execz .LBB28_30
; %bb.29:                               ;   in Loop: Header=BB28_16 Depth=1
	ds_read_b32 v6, v11 offset:4
	ds_read_b32 v7, v12
	s_waitcnt lgkmcnt(0)
	v_add_f32_e32 v6, v6, v7
	ds_write_b32 v12, v6
.LBB28_30:                              ;   in Loop: Header=BB28_16 Depth=1
	s_or_b64 exec, exec, s[26:27]
	s_waitcnt lgkmcnt(0)
	s_barrier
	s_and_saveexec_b64 s[26:27], s[2:3]
	s_cbranch_execz .LBB28_15
; %bb.31:                               ;   in Loop: Header=BB28_16 Depth=1
	v_lshl_add_u64 v[6:7], v[0:1], 2, s[18:19]
	global_load_dword v8, v[6:7], off
	ds_read_b32 v9, v11
	s_waitcnt vmcnt(0) lgkmcnt(0)
	v_pk_mul_f32 v[8:9], s[14:15], v[8:9]
	s_nop 0
	v_add_f32_e32 v1, v8, v9
	global_store_dword v[6:7], v1, off
	s_branch .LBB28_15
.LBB28_32:
	s_endpgm
	.section	.rodata,"a",@progbits
	.p2align	6, 0x0
	.amdhsa_kernel _ZN9rocsparseL16sddmm_csx_kernelILi512ELi2EL20rocsparse_direction_0EfiifffEEv20rocsparse_operation_S2_16rocsparse_order_S3_T4_S4_S4_T3_NS_24const_host_device_scalarIT2_EEPKT5_lPKT6_lS8_PT7_PKS5_PKS4_21rocsparse_index_base_b
		.amdhsa_group_segment_fixed_size 2048
		.amdhsa_private_segment_fixed_size 0
		.amdhsa_kernarg_size 112
		.amdhsa_user_sgpr_count 2
		.amdhsa_user_sgpr_dispatch_ptr 0
		.amdhsa_user_sgpr_queue_ptr 0
		.amdhsa_user_sgpr_kernarg_segment_ptr 1
		.amdhsa_user_sgpr_dispatch_id 0
		.amdhsa_user_sgpr_kernarg_preload_length 0
		.amdhsa_user_sgpr_kernarg_preload_offset 0
		.amdhsa_user_sgpr_private_segment_size 0
		.amdhsa_uses_dynamic_stack 0
		.amdhsa_enable_private_segment 0
		.amdhsa_system_sgpr_workgroup_id_x 1
		.amdhsa_system_sgpr_workgroup_id_y 0
		.amdhsa_system_sgpr_workgroup_id_z 0
		.amdhsa_system_sgpr_workgroup_info 0
		.amdhsa_system_vgpr_workitem_id 0
		.amdhsa_next_free_vgpr 18
		.amdhsa_next_free_sgpr 30
		.amdhsa_accum_offset 20
		.amdhsa_reserve_vcc 1
		.amdhsa_float_round_mode_32 0
		.amdhsa_float_round_mode_16_64 0
		.amdhsa_float_denorm_mode_32 3
		.amdhsa_float_denorm_mode_16_64 3
		.amdhsa_dx10_clamp 1
		.amdhsa_ieee_mode 1
		.amdhsa_fp16_overflow 0
		.amdhsa_tg_split 0
		.amdhsa_exception_fp_ieee_invalid_op 0
		.amdhsa_exception_fp_denorm_src 0
		.amdhsa_exception_fp_ieee_div_zero 0
		.amdhsa_exception_fp_ieee_overflow 0
		.amdhsa_exception_fp_ieee_underflow 0
		.amdhsa_exception_fp_ieee_inexact 0
		.amdhsa_exception_int_div_zero 0
	.end_amdhsa_kernel
	.section	.text._ZN9rocsparseL16sddmm_csx_kernelILi512ELi2EL20rocsparse_direction_0EfiifffEEv20rocsparse_operation_S2_16rocsparse_order_S3_T4_S4_S4_T3_NS_24const_host_device_scalarIT2_EEPKT5_lPKT6_lS8_PT7_PKS5_PKS4_21rocsparse_index_base_b,"axG",@progbits,_ZN9rocsparseL16sddmm_csx_kernelILi512ELi2EL20rocsparse_direction_0EfiifffEEv20rocsparse_operation_S2_16rocsparse_order_S3_T4_S4_S4_T3_NS_24const_host_device_scalarIT2_EEPKT5_lPKT6_lS8_PT7_PKS5_PKS4_21rocsparse_index_base_b,comdat
.Lfunc_end28:
	.size	_ZN9rocsparseL16sddmm_csx_kernelILi512ELi2EL20rocsparse_direction_0EfiifffEEv20rocsparse_operation_S2_16rocsparse_order_S3_T4_S4_S4_T3_NS_24const_host_device_scalarIT2_EEPKT5_lPKT6_lS8_PT7_PKS5_PKS4_21rocsparse_index_base_b, .Lfunc_end28-_ZN9rocsparseL16sddmm_csx_kernelILi512ELi2EL20rocsparse_direction_0EfiifffEEv20rocsparse_operation_S2_16rocsparse_order_S3_T4_S4_S4_T3_NS_24const_host_device_scalarIT2_EEPKT5_lPKT6_lS8_PT7_PKS5_PKS4_21rocsparse_index_base_b
                                        ; -- End function
	.set _ZN9rocsparseL16sddmm_csx_kernelILi512ELi2EL20rocsparse_direction_0EfiifffEEv20rocsparse_operation_S2_16rocsparse_order_S3_T4_S4_S4_T3_NS_24const_host_device_scalarIT2_EEPKT5_lPKT6_lS8_PT7_PKS5_PKS4_21rocsparse_index_base_b.num_vgpr, 18
	.set _ZN9rocsparseL16sddmm_csx_kernelILi512ELi2EL20rocsparse_direction_0EfiifffEEv20rocsparse_operation_S2_16rocsparse_order_S3_T4_S4_S4_T3_NS_24const_host_device_scalarIT2_EEPKT5_lPKT6_lS8_PT7_PKS5_PKS4_21rocsparse_index_base_b.num_agpr, 0
	.set _ZN9rocsparseL16sddmm_csx_kernelILi512ELi2EL20rocsparse_direction_0EfiifffEEv20rocsparse_operation_S2_16rocsparse_order_S3_T4_S4_S4_T3_NS_24const_host_device_scalarIT2_EEPKT5_lPKT6_lS8_PT7_PKS5_PKS4_21rocsparse_index_base_b.numbered_sgpr, 30
	.set _ZN9rocsparseL16sddmm_csx_kernelILi512ELi2EL20rocsparse_direction_0EfiifffEEv20rocsparse_operation_S2_16rocsparse_order_S3_T4_S4_S4_T3_NS_24const_host_device_scalarIT2_EEPKT5_lPKT6_lS8_PT7_PKS5_PKS4_21rocsparse_index_base_b.num_named_barrier, 0
	.set _ZN9rocsparseL16sddmm_csx_kernelILi512ELi2EL20rocsparse_direction_0EfiifffEEv20rocsparse_operation_S2_16rocsparse_order_S3_T4_S4_S4_T3_NS_24const_host_device_scalarIT2_EEPKT5_lPKT6_lS8_PT7_PKS5_PKS4_21rocsparse_index_base_b.private_seg_size, 0
	.set _ZN9rocsparseL16sddmm_csx_kernelILi512ELi2EL20rocsparse_direction_0EfiifffEEv20rocsparse_operation_S2_16rocsparse_order_S3_T4_S4_S4_T3_NS_24const_host_device_scalarIT2_EEPKT5_lPKT6_lS8_PT7_PKS5_PKS4_21rocsparse_index_base_b.uses_vcc, 1
	.set _ZN9rocsparseL16sddmm_csx_kernelILi512ELi2EL20rocsparse_direction_0EfiifffEEv20rocsparse_operation_S2_16rocsparse_order_S3_T4_S4_S4_T3_NS_24const_host_device_scalarIT2_EEPKT5_lPKT6_lS8_PT7_PKS5_PKS4_21rocsparse_index_base_b.uses_flat_scratch, 0
	.set _ZN9rocsparseL16sddmm_csx_kernelILi512ELi2EL20rocsparse_direction_0EfiifffEEv20rocsparse_operation_S2_16rocsparse_order_S3_T4_S4_S4_T3_NS_24const_host_device_scalarIT2_EEPKT5_lPKT6_lS8_PT7_PKS5_PKS4_21rocsparse_index_base_b.has_dyn_sized_stack, 0
	.set _ZN9rocsparseL16sddmm_csx_kernelILi512ELi2EL20rocsparse_direction_0EfiifffEEv20rocsparse_operation_S2_16rocsparse_order_S3_T4_S4_S4_T3_NS_24const_host_device_scalarIT2_EEPKT5_lPKT6_lS8_PT7_PKS5_PKS4_21rocsparse_index_base_b.has_recursion, 0
	.set _ZN9rocsparseL16sddmm_csx_kernelILi512ELi2EL20rocsparse_direction_0EfiifffEEv20rocsparse_operation_S2_16rocsparse_order_S3_T4_S4_S4_T3_NS_24const_host_device_scalarIT2_EEPKT5_lPKT6_lS8_PT7_PKS5_PKS4_21rocsparse_index_base_b.has_indirect_call, 0
	.section	.AMDGPU.csdata,"",@progbits
; Kernel info:
; codeLenInByte = 1024
; TotalNumSgprs: 36
; NumVgprs: 18
; NumAgprs: 0
; TotalNumVgprs: 18
; ScratchSize: 0
; MemoryBound: 0
; FloatMode: 240
; IeeeMode: 1
; LDSByteSize: 2048 bytes/workgroup (compile time only)
; SGPRBlocks: 4
; VGPRBlocks: 2
; NumSGPRsForWavesPerEU: 36
; NumVGPRsForWavesPerEU: 18
; AccumOffset: 20
; Occupancy: 8
; WaveLimiterHint : 0
; COMPUTE_PGM_RSRC2:SCRATCH_EN: 0
; COMPUTE_PGM_RSRC2:USER_SGPR: 2
; COMPUTE_PGM_RSRC2:TRAP_HANDLER: 0
; COMPUTE_PGM_RSRC2:TGID_X_EN: 1
; COMPUTE_PGM_RSRC2:TGID_Y_EN: 0
; COMPUTE_PGM_RSRC2:TGID_Z_EN: 0
; COMPUTE_PGM_RSRC2:TIDIG_COMP_CNT: 0
; COMPUTE_PGM_RSRC3_GFX90A:ACCUM_OFFSET: 4
; COMPUTE_PGM_RSRC3_GFX90A:TG_SPLIT: 0
	.section	.text._ZN9rocsparseL16sddmm_csx_kernelILi512ELi1EL20rocsparse_direction_0EfiifffEEv20rocsparse_operation_S2_16rocsparse_order_S3_T4_S4_S4_T3_NS_24const_host_device_scalarIT2_EEPKT5_lPKT6_lS8_PT7_PKS5_PKS4_21rocsparse_index_base_b,"axG",@progbits,_ZN9rocsparseL16sddmm_csx_kernelILi512ELi1EL20rocsparse_direction_0EfiifffEEv20rocsparse_operation_S2_16rocsparse_order_S3_T4_S4_S4_T3_NS_24const_host_device_scalarIT2_EEPKT5_lPKT6_lS8_PT7_PKS5_PKS4_21rocsparse_index_base_b,comdat
	.globl	_ZN9rocsparseL16sddmm_csx_kernelILi512ELi1EL20rocsparse_direction_0EfiifffEEv20rocsparse_operation_S2_16rocsparse_order_S3_T4_S4_S4_T3_NS_24const_host_device_scalarIT2_EEPKT5_lPKT6_lS8_PT7_PKS5_PKS4_21rocsparse_index_base_b ; -- Begin function _ZN9rocsparseL16sddmm_csx_kernelILi512ELi1EL20rocsparse_direction_0EfiifffEEv20rocsparse_operation_S2_16rocsparse_order_S3_T4_S4_S4_T3_NS_24const_host_device_scalarIT2_EEPKT5_lPKT6_lS8_PT7_PKS5_PKS4_21rocsparse_index_base_b
	.p2align	8
	.type	_ZN9rocsparseL16sddmm_csx_kernelILi512ELi1EL20rocsparse_direction_0EfiifffEEv20rocsparse_operation_S2_16rocsparse_order_S3_T4_S4_S4_T3_NS_24const_host_device_scalarIT2_EEPKT5_lPKT6_lS8_PT7_PKS5_PKS4_21rocsparse_index_base_b,@function
_ZN9rocsparseL16sddmm_csx_kernelILi512ELi1EL20rocsparse_direction_0EfiifffEEv20rocsparse_operation_S2_16rocsparse_order_S3_T4_S4_S4_T3_NS_24const_host_device_scalarIT2_EEPKT5_lPKT6_lS8_PT7_PKS5_PKS4_21rocsparse_index_base_b: ; @_ZN9rocsparseL16sddmm_csx_kernelILi512ELi1EL20rocsparse_direction_0EfiifffEEv20rocsparse_operation_S2_16rocsparse_order_S3_T4_S4_S4_T3_NS_24const_host_device_scalarIT2_EEPKT5_lPKT6_lS8_PT7_PKS5_PKS4_21rocsparse_index_base_b
; %bb.0:
	s_load_dwordx2 s[12:13], s[0:1], 0x68
	s_load_dwordx2 s[6:7], s[0:1], 0x20
	s_load_dwordx4 s[8:11], s[0:1], 0x40
	s_waitcnt lgkmcnt(0)
	s_bitcmp1_b32 s13, 0
	s_cselect_b64 s[14:15], -1, 0
	s_xor_b64 s[4:5], s[14:15], -1
	s_and_b64 vcc, exec, s[14:15]
	s_mov_b32 s15, s6
	s_cbranch_vccnz .LBB29_2
; %bb.1:
	s_load_dword s15, s[6:7], 0x0
.LBB29_2:
	s_andn2_b64 vcc, exec, s[4:5]
	s_mov_b32 s14, s10
	s_cbranch_vccnz .LBB29_4
; %bb.3:
	s_load_dword s14, s[10:11], 0x0
.LBB29_4:
	s_waitcnt lgkmcnt(0)
	v_cmp_eq_f32_e64 s[4:5], s15, 0
	v_cmp_eq_f32_e64 s[6:7], s14, 1.0
	s_and_b64 s[4:5], s[4:5], s[6:7]
	s_and_b64 vcc, exec, s[4:5]
	s_cbranch_vccnz .LBB29_28
; %bb.5:
	s_load_dword s3, s[0:1], 0x10
	v_lshl_or_b32 v2, s2, 9, v0
	s_waitcnt lgkmcnt(0)
	v_cmp_gt_i32_e32 vcc, s3, v2
	s_and_saveexec_b64 s[2:3], vcc
	s_cbranch_execz .LBB29_28
; %bb.6:
	s_load_dwordx4 s[4:7], s[0:1], 0x0
	s_load_dwordx2 s[10:11], s[0:1], 0x58
	s_load_dwordx2 s[2:3], s[0:1], 0x30
	v_ashrrev_i32_e32 v3, 31, v2
	s_waitcnt lgkmcnt(0)
	s_cmp_eq_u32 s6, 1
	s_cselect_b64 s[20:21], -1, 0
	s_cmpk_eq_i32 s4, 0x6f
	s_cselect_b64 s[22:23], -1, 0
	s_cmpk_lg_i32 s4, 0x6f
	s_cselect_b64 s[16:17], -1, 0
	s_cmp_lg_u32 s6, 1
	s_cbranch_scc0 .LBB29_10
; %bb.7:
	s_andn2_b64 vcc, exec, s[22:23]
	v_mov_b64_e32 v[4:5], v[2:3]
	s_cbranch_vccnz .LBB29_9
; %bb.8:
	v_mul_lo_u32 v1, s3, v2
	v_mul_lo_u32 v6, s2, v3
	v_mad_u64_u32 v[4:5], s[18:19], s2, v2, 0
	v_add3_u32 v5, v5, v6, v1
.LBB29_9:
	s_cbranch_execz .LBB29_11
	s_branch .LBB29_13
.LBB29_10:
                                        ; implicit-def: $vgpr4_vgpr5
.LBB29_11:
	s_andn2_b64 vcc, exec, s[16:17]
	v_mov_b64_e32 v[4:5], v[2:3]
	s_cbranch_vccnz .LBB29_13
; %bb.12:
	v_mul_lo_u32 v1, s3, v2
	v_mul_lo_u32 v6, s2, v3
	v_mad_u64_u32 v[4:5], s[16:17], s2, v2, 0
	v_add3_u32 v5, v5, v6, v1
.LBB29_13:
	v_lshl_add_u64 v[2:3], v[2:3], 2, s[10:11]
	global_load_dwordx2 v[6:7], v[2:3], off
	s_waitcnt vmcnt(0)
	v_cmp_lt_i32_e32 vcc, v6, v7
	s_and_b64 exec, exec, vcc
	s_cbranch_execz .LBB29_28
; %bb.14:
	s_load_dwordx2 s[24:25], s[0:1], 0x28
	s_load_dwordx2 s[10:11], s[0:1], 0x60
	;; [unrolled: 1-line block ×4, first 2 shown]
	s_load_dword s13, s[0:1], 0x18
	s_xor_b64 s[0:1], s[22:23], s[20:21]
	s_and_b64 s[0:1], s[0:1], exec
	s_cselect_b32 s1, 0, s3
	s_cselect_b32 s0, 1, s2
	s_cmp_lg_u32 s7, 1
	s_cselect_b64 s[20:21], -1, 0
	s_cmp_eq_u32 s7, 1
	s_cselect_b64 s[2:3], -1, 0
	s_cmpk_eq_i32 s5, 0x6f
	s_cselect_b64 s[6:7], -1, 0
	s_cmpk_lg_i32 s5, 0x6f
	s_cselect_b64 s[4:5], -1, 0
	s_xor_b64 s[2:3], s[6:7], s[2:3]
	s_and_b64 s[2:3], s[2:3], exec
	s_cselect_b32 s3, s9, 0
	s_cselect_b32 s2, s8, 1
	s_waitcnt lgkmcnt(0)
	s_cmp_gt_i32 s13, 0
	s_cselect_b64 s[26:27], -1, 0
	v_lshlrev_b32_e32 v8, 2, v0
	v_cndmask_b32_e64 v0, 0, 1, s[4:5]
	v_cndmask_b32_e64 v1, 0, 1, s[6:7]
	s_lshl_b64 s[6:7], s[0:1], 2
	v_cmp_ne_u32_e64 s[0:1], 1, v0
	v_cndmask_b32_e64 v0, 0, 1, s[26:27]
	v_lshl_add_u64 v[2:3], v[4:5], 2, s[24:25]
	v_subrev_u32_e32 v4, s12, v6
	v_subrev_u32_e32 v9, s12, v7
	s_lshl_b64 s[22:23], s[2:3], 2
	s_mov_b64 s[24:25], 0
	v_cmp_ne_u32_e64 s[2:3], 1, v1
	v_cmp_ne_u32_e64 s[4:5], 1, v0
	s_branch .LBB29_17
.LBB29_15:                              ;   in Loop: Header=BB29_17 Depth=1
	v_mov_b32_e32 v10, 0
.LBB29_16:                              ;   in Loop: Header=BB29_17 Depth=1
	v_lshl_add_u64 v[0:1], v[4:5], 2, s[18:19]
	ds_write_b32 v8, v10
	s_waitcnt lgkmcnt(0)
	s_barrier
	global_load_dword v6, v[0:1], off
	ds_read_b32 v7, v8
	v_add_u32_e32 v4, 1, v4
	v_cmp_ge_i32_e32 vcc, v4, v9
	s_or_b64 s[24:25], vcc, s[24:25]
	s_waitcnt vmcnt(0) lgkmcnt(0)
	v_pk_mul_f32 v[6:7], s[14:15], v[6:7]
	s_nop 0
	v_add_f32_e32 v5, v6, v7
	global_store_dword v[0:1], v5, off
	s_andn2_b64 exec, exec, s[24:25]
	s_cbranch_execz .LBB29_28
.LBB29_17:                              ; =>This Loop Header: Depth=1
                                        ;     Child Loop BB29_27 Depth 2
	v_ashrrev_i32_e32 v5, 31, v4
	v_lshl_add_u64 v[0:1], v[4:5], 2, s[10:11]
	global_load_dword v0, v[0:1], off
	s_mov_b64 s[26:27], -1
	s_and_b64 vcc, exec, s[20:21]
                                        ; implicit-def: $vgpr6_vgpr7
	s_waitcnt vmcnt(0)
	v_subrev_u32_e32 v0, s12, v0
	v_ashrrev_i32_e32 v1, 31, v0
	s_cbranch_vccnz .LBB29_20
; %bb.18:                               ;   in Loop: Header=BB29_17 Depth=1
	s_andn2_b64 vcc, exec, s[26:27]
	s_cbranch_vccz .LBB29_23
.LBB29_19:                              ;   in Loop: Header=BB29_17 Depth=1
	s_and_b64 vcc, exec, s[4:5]
	s_cbranch_vccz .LBB29_26
	s_branch .LBB29_15
.LBB29_20:                              ;   in Loop: Header=BB29_17 Depth=1
	s_and_b64 vcc, exec, s[0:1]
	v_mov_b64_e32 v[6:7], v[0:1]
	s_cbranch_vccnz .LBB29_22
; %bb.21:                               ;   in Loop: Header=BB29_17 Depth=1
	v_mul_lo_u32 v10, s9, v0
	v_mul_lo_u32 v11, s8, v1
	v_mad_u64_u32 v[6:7], s[26:27], s8, v0, 0
	v_add3_u32 v7, v7, v11, v10
.LBB29_22:                              ;   in Loop: Header=BB29_17 Depth=1
	s_cbranch_execnz .LBB29_19
.LBB29_23:                              ;   in Loop: Header=BB29_17 Depth=1
	s_and_b64 vcc, exec, s[2:3]
	s_cbranch_vccnz .LBB29_25
; %bb.24:                               ;   in Loop: Header=BB29_17 Depth=1
	v_mul_lo_u32 v6, s9, v0
	v_mul_lo_u32 v7, s8, v1
	v_mad_u64_u32 v[0:1], s[26:27], s8, v0, 0
	v_add3_u32 v1, v1, v7, v6
.LBB29_25:                              ;   in Loop: Header=BB29_17 Depth=1
	v_mov_b64_e32 v[6:7], v[0:1]
	s_and_b64 vcc, exec, s[4:5]
	s_cbranch_vccnz .LBB29_15
.LBB29_26:                              ;   in Loop: Header=BB29_17 Depth=1
	v_lshl_add_u64 v[0:1], v[6:7], 2, s[16:17]
	v_mov_b32_e32 v10, 0
	v_mov_b64_e32 v[6:7], v[2:3]
	s_mov_b32 s26, s13
.LBB29_27:                              ;   Parent Loop BB29_17 Depth=1
                                        ; =>  This Inner Loop Header: Depth=2
	global_load_dword v11, v[6:7], off
	global_load_dword v12, v[0:1], off
	s_add_i32 s26, s26, -1
	v_lshl_add_u64 v[6:7], v[6:7], 0, s[6:7]
	v_lshl_add_u64 v[0:1], v[0:1], 0, s[22:23]
	s_cmp_eq_u32 s26, 0
	s_waitcnt vmcnt(0)
	v_fmac_f32_e32 v10, v11, v12
	s_cbranch_scc0 .LBB29_27
	s_branch .LBB29_16
.LBB29_28:
	s_endpgm
	.section	.rodata,"a",@progbits
	.p2align	6, 0x0
	.amdhsa_kernel _ZN9rocsparseL16sddmm_csx_kernelILi512ELi1EL20rocsparse_direction_0EfiifffEEv20rocsparse_operation_S2_16rocsparse_order_S3_T4_S4_S4_T3_NS_24const_host_device_scalarIT2_EEPKT5_lPKT6_lS8_PT7_PKS5_PKS4_21rocsparse_index_base_b
		.amdhsa_group_segment_fixed_size 2048
		.amdhsa_private_segment_fixed_size 0
		.amdhsa_kernarg_size 112
		.amdhsa_user_sgpr_count 2
		.amdhsa_user_sgpr_dispatch_ptr 0
		.amdhsa_user_sgpr_queue_ptr 0
		.amdhsa_user_sgpr_kernarg_segment_ptr 1
		.amdhsa_user_sgpr_dispatch_id 0
		.amdhsa_user_sgpr_kernarg_preload_length 0
		.amdhsa_user_sgpr_kernarg_preload_offset 0
		.amdhsa_user_sgpr_private_segment_size 0
		.amdhsa_uses_dynamic_stack 0
		.amdhsa_enable_private_segment 0
		.amdhsa_system_sgpr_workgroup_id_x 1
		.amdhsa_system_sgpr_workgroup_id_y 0
		.amdhsa_system_sgpr_workgroup_id_z 0
		.amdhsa_system_sgpr_workgroup_info 0
		.amdhsa_system_vgpr_workitem_id 0
		.amdhsa_next_free_vgpr 13
		.amdhsa_next_free_sgpr 28
		.amdhsa_accum_offset 16
		.amdhsa_reserve_vcc 1
		.amdhsa_float_round_mode_32 0
		.amdhsa_float_round_mode_16_64 0
		.amdhsa_float_denorm_mode_32 3
		.amdhsa_float_denorm_mode_16_64 3
		.amdhsa_dx10_clamp 1
		.amdhsa_ieee_mode 1
		.amdhsa_fp16_overflow 0
		.amdhsa_tg_split 0
		.amdhsa_exception_fp_ieee_invalid_op 0
		.amdhsa_exception_fp_denorm_src 0
		.amdhsa_exception_fp_ieee_div_zero 0
		.amdhsa_exception_fp_ieee_overflow 0
		.amdhsa_exception_fp_ieee_underflow 0
		.amdhsa_exception_fp_ieee_inexact 0
		.amdhsa_exception_int_div_zero 0
	.end_amdhsa_kernel
	.section	.text._ZN9rocsparseL16sddmm_csx_kernelILi512ELi1EL20rocsparse_direction_0EfiifffEEv20rocsparse_operation_S2_16rocsparse_order_S3_T4_S4_S4_T3_NS_24const_host_device_scalarIT2_EEPKT5_lPKT6_lS8_PT7_PKS5_PKS4_21rocsparse_index_base_b,"axG",@progbits,_ZN9rocsparseL16sddmm_csx_kernelILi512ELi1EL20rocsparse_direction_0EfiifffEEv20rocsparse_operation_S2_16rocsparse_order_S3_T4_S4_S4_T3_NS_24const_host_device_scalarIT2_EEPKT5_lPKT6_lS8_PT7_PKS5_PKS4_21rocsparse_index_base_b,comdat
.Lfunc_end29:
	.size	_ZN9rocsparseL16sddmm_csx_kernelILi512ELi1EL20rocsparse_direction_0EfiifffEEv20rocsparse_operation_S2_16rocsparse_order_S3_T4_S4_S4_T3_NS_24const_host_device_scalarIT2_EEPKT5_lPKT6_lS8_PT7_PKS5_PKS4_21rocsparse_index_base_b, .Lfunc_end29-_ZN9rocsparseL16sddmm_csx_kernelILi512ELi1EL20rocsparse_direction_0EfiifffEEv20rocsparse_operation_S2_16rocsparse_order_S3_T4_S4_S4_T3_NS_24const_host_device_scalarIT2_EEPKT5_lPKT6_lS8_PT7_PKS5_PKS4_21rocsparse_index_base_b
                                        ; -- End function
	.set _ZN9rocsparseL16sddmm_csx_kernelILi512ELi1EL20rocsparse_direction_0EfiifffEEv20rocsparse_operation_S2_16rocsparse_order_S3_T4_S4_S4_T3_NS_24const_host_device_scalarIT2_EEPKT5_lPKT6_lS8_PT7_PKS5_PKS4_21rocsparse_index_base_b.num_vgpr, 13
	.set _ZN9rocsparseL16sddmm_csx_kernelILi512ELi1EL20rocsparse_direction_0EfiifffEEv20rocsparse_operation_S2_16rocsparse_order_S3_T4_S4_S4_T3_NS_24const_host_device_scalarIT2_EEPKT5_lPKT6_lS8_PT7_PKS5_PKS4_21rocsparse_index_base_b.num_agpr, 0
	.set _ZN9rocsparseL16sddmm_csx_kernelILi512ELi1EL20rocsparse_direction_0EfiifffEEv20rocsparse_operation_S2_16rocsparse_order_S3_T4_S4_S4_T3_NS_24const_host_device_scalarIT2_EEPKT5_lPKT6_lS8_PT7_PKS5_PKS4_21rocsparse_index_base_b.numbered_sgpr, 28
	.set _ZN9rocsparseL16sddmm_csx_kernelILi512ELi1EL20rocsparse_direction_0EfiifffEEv20rocsparse_operation_S2_16rocsparse_order_S3_T4_S4_S4_T3_NS_24const_host_device_scalarIT2_EEPKT5_lPKT6_lS8_PT7_PKS5_PKS4_21rocsparse_index_base_b.num_named_barrier, 0
	.set _ZN9rocsparseL16sddmm_csx_kernelILi512ELi1EL20rocsparse_direction_0EfiifffEEv20rocsparse_operation_S2_16rocsparse_order_S3_T4_S4_S4_T3_NS_24const_host_device_scalarIT2_EEPKT5_lPKT6_lS8_PT7_PKS5_PKS4_21rocsparse_index_base_b.private_seg_size, 0
	.set _ZN9rocsparseL16sddmm_csx_kernelILi512ELi1EL20rocsparse_direction_0EfiifffEEv20rocsparse_operation_S2_16rocsparse_order_S3_T4_S4_S4_T3_NS_24const_host_device_scalarIT2_EEPKT5_lPKT6_lS8_PT7_PKS5_PKS4_21rocsparse_index_base_b.uses_vcc, 1
	.set _ZN9rocsparseL16sddmm_csx_kernelILi512ELi1EL20rocsparse_direction_0EfiifffEEv20rocsparse_operation_S2_16rocsparse_order_S3_T4_S4_S4_T3_NS_24const_host_device_scalarIT2_EEPKT5_lPKT6_lS8_PT7_PKS5_PKS4_21rocsparse_index_base_b.uses_flat_scratch, 0
	.set _ZN9rocsparseL16sddmm_csx_kernelILi512ELi1EL20rocsparse_direction_0EfiifffEEv20rocsparse_operation_S2_16rocsparse_order_S3_T4_S4_S4_T3_NS_24const_host_device_scalarIT2_EEPKT5_lPKT6_lS8_PT7_PKS5_PKS4_21rocsparse_index_base_b.has_dyn_sized_stack, 0
	.set _ZN9rocsparseL16sddmm_csx_kernelILi512ELi1EL20rocsparse_direction_0EfiifffEEv20rocsparse_operation_S2_16rocsparse_order_S3_T4_S4_S4_T3_NS_24const_host_device_scalarIT2_EEPKT5_lPKT6_lS8_PT7_PKS5_PKS4_21rocsparse_index_base_b.has_recursion, 0
	.set _ZN9rocsparseL16sddmm_csx_kernelILi512ELi1EL20rocsparse_direction_0EfiifffEEv20rocsparse_operation_S2_16rocsparse_order_S3_T4_S4_S4_T3_NS_24const_host_device_scalarIT2_EEPKT5_lPKT6_lS8_PT7_PKS5_PKS4_21rocsparse_index_base_b.has_indirect_call, 0
	.section	.AMDGPU.csdata,"",@progbits
; Kernel info:
; codeLenInByte = 872
; TotalNumSgprs: 34
; NumVgprs: 13
; NumAgprs: 0
; TotalNumVgprs: 13
; ScratchSize: 0
; MemoryBound: 0
; FloatMode: 240
; IeeeMode: 1
; LDSByteSize: 2048 bytes/workgroup (compile time only)
; SGPRBlocks: 4
; VGPRBlocks: 1
; NumSGPRsForWavesPerEU: 34
; NumVGPRsForWavesPerEU: 13
; AccumOffset: 16
; Occupancy: 8
; WaveLimiterHint : 0
; COMPUTE_PGM_RSRC2:SCRATCH_EN: 0
; COMPUTE_PGM_RSRC2:USER_SGPR: 2
; COMPUTE_PGM_RSRC2:TRAP_HANDLER: 0
; COMPUTE_PGM_RSRC2:TGID_X_EN: 1
; COMPUTE_PGM_RSRC2:TGID_Y_EN: 0
; COMPUTE_PGM_RSRC2:TGID_Z_EN: 0
; COMPUTE_PGM_RSRC2:TIDIG_COMP_CNT: 0
; COMPUTE_PGM_RSRC3_GFX90A:ACCUM_OFFSET: 3
; COMPUTE_PGM_RSRC3_GFX90A:TG_SPLIT: 0
	.section	.text._ZN9rocsparseL16csr2dense_kernelILi16ELi32EiidEEviT2_S1_PKT3_PKT1_PKS1_PS2_l16rocsparse_order_,"axG",@progbits,_ZN9rocsparseL16csr2dense_kernelILi16ELi32EiidEEviT2_S1_PKT3_PKT1_PKS1_PS2_l16rocsparse_order_,comdat
	.globl	_ZN9rocsparseL16csr2dense_kernelILi16ELi32EiidEEviT2_S1_PKT3_PKT1_PKS1_PS2_l16rocsparse_order_ ; -- Begin function _ZN9rocsparseL16csr2dense_kernelILi16ELi32EiidEEviT2_S1_PKT3_PKT1_PKS1_PS2_l16rocsparse_order_
	.p2align	8
	.type	_ZN9rocsparseL16csr2dense_kernelILi16ELi32EiidEEviT2_S1_PKT3_PKT1_PKS1_PS2_l16rocsparse_order_,@function
_ZN9rocsparseL16csr2dense_kernelILi16ELi32EiidEEviT2_S1_PKT3_PKT1_PKS1_PS2_l16rocsparse_order_: ; @_ZN9rocsparseL16csr2dense_kernelILi16ELi32EiidEEviT2_S1_PKT3_PKT1_PKS1_PS2_l16rocsparse_order_
; %bb.0:
	s_load_dwordx2 s[8:9], s[0:1], 0x0
	v_lshrrev_b32_e32 v1, 5, v0
	v_lshl_or_b32 v2, s2, 4, v1
	s_waitcnt lgkmcnt(0)
	v_cmp_gt_i32_e32 vcc, s9, v2
	s_and_saveexec_b64 s[2:3], vcc
	s_cbranch_execz .LBB30_8
; %bb.1:
	s_load_dwordx2 s[2:3], s[0:1], 0x18
	v_ashrrev_i32_e32 v3, 31, v2
	v_and_b32_e32 v8, 31, v0
	s_waitcnt lgkmcnt(0)
	v_lshl_add_u64 v[4:5], v[2:3], 2, s[2:3]
	global_load_dwordx2 v[4:5], v[4:5], off
	s_waitcnt vmcnt(0)
	v_sub_u32_e32 v9, v5, v4
	v_cmp_lt_i32_e32 vcc, v8, v9
	s_and_b64 exec, exec, vcc
	s_cbranch_execz .LBB30_8
; %bb.2:
	s_load_dwordx4 s[4:7], s[0:1], 0x20
	s_load_dword s9, s[0:1], 0x38
	s_load_dwordx2 s[2:3], s[0:1], 0x10
	s_load_dwordx2 s[10:11], s[0:1], 0x30
	v_subrev_u32_e32 v10, s8, v4
	s_waitcnt lgkmcnt(0)
	v_lshl_add_u64 v[0:1], v[2:3], 3, s[6:7]
	s_cmp_lg_u32 s9, 1
	s_cselect_b64 s[0:1], -1, 0
	v_mul_lo_u32 v4, s11, v2
	v_mul_lo_u32 v5, s10, v3
	v_mad_u64_u32 v[2:3], s[12:13], s10, v2, 0
	v_add3_u32 v3, v3, v5, v4
	v_lshl_add_u64 v[2:3], v[2:3], 3, s[6:7]
	s_mov_b64 s[6:7], 0
	s_branch .LBB30_4
.LBB30_3:                               ;   in Loop: Header=BB30_4 Depth=1
	v_add_u32_e32 v8, 32, v8
	v_cmp_ge_i32_e32 vcc, v8, v9
	s_or_b64 s[6:7], vcc, s[6:7]
	s_andn2_b64 exec, exec, s[6:7]
	s_cbranch_execz .LBB30_8
.LBB30_4:                               ; =>This Inner Loop Header: Depth=1
	s_waitcnt vmcnt(0)
	v_add_u32_e32 v4, v10, v8
	v_ashrrev_i32_e32 v5, 31, v4
	v_lshl_add_u64 v[6:7], v[4:5], 2, s[4:5]
	s_barrier
	global_load_dword v6, v[6:7], off
	v_lshl_add_u64 v[4:5], v[4:5], 3, s[2:3]
	global_load_dwordx2 v[4:5], v[4:5], off
	s_mov_b64 s[12:13], -1
	s_and_b64 vcc, exec, s[0:1]
	s_waitcnt vmcnt(1)
	v_subrev_u32_e32 v6, s8, v6
	v_ashrrev_i32_e32 v7, 31, v6
	s_cbranch_vccz .LBB30_6
; %bb.5:                                ;   in Loop: Header=BB30_4 Depth=1
	v_lshl_add_u64 v[12:13], v[6:7], 3, v[2:3]
	s_waitcnt vmcnt(0)
	global_store_dwordx2 v[12:13], v[4:5], off
	s_mov_b64 s[12:13], 0
.LBB30_6:                               ;   in Loop: Header=BB30_4 Depth=1
	s_andn2_b64 vcc, exec, s[12:13]
	s_cbranch_vccnz .LBB30_3
; %bb.7:                                ;   in Loop: Header=BB30_4 Depth=1
	v_mul_lo_u32 v11, s11, v6
	v_mul_lo_u32 v12, s10, v7
	v_mad_u64_u32 v[6:7], s[12:13], s10, v6, 0
	v_add3_u32 v7, v7, v12, v11
	v_lshl_add_u64 v[6:7], v[6:7], 3, v[0:1]
	s_waitcnt vmcnt(0)
	global_store_dwordx2 v[6:7], v[4:5], off
	s_branch .LBB30_3
.LBB30_8:
	s_endpgm
	.section	.rodata,"a",@progbits
	.p2align	6, 0x0
	.amdhsa_kernel _ZN9rocsparseL16csr2dense_kernelILi16ELi32EiidEEviT2_S1_PKT3_PKT1_PKS1_PS2_l16rocsparse_order_
		.amdhsa_group_segment_fixed_size 0
		.amdhsa_private_segment_fixed_size 0
		.amdhsa_kernarg_size 60
		.amdhsa_user_sgpr_count 2
		.amdhsa_user_sgpr_dispatch_ptr 0
		.amdhsa_user_sgpr_queue_ptr 0
		.amdhsa_user_sgpr_kernarg_segment_ptr 1
		.amdhsa_user_sgpr_dispatch_id 0
		.amdhsa_user_sgpr_kernarg_preload_length 0
		.amdhsa_user_sgpr_kernarg_preload_offset 0
		.amdhsa_user_sgpr_private_segment_size 0
		.amdhsa_uses_dynamic_stack 0
		.amdhsa_enable_private_segment 0
		.amdhsa_system_sgpr_workgroup_id_x 1
		.amdhsa_system_sgpr_workgroup_id_y 0
		.amdhsa_system_sgpr_workgroup_id_z 0
		.amdhsa_system_sgpr_workgroup_info 0
		.amdhsa_system_vgpr_workitem_id 0
		.amdhsa_next_free_vgpr 14
		.amdhsa_next_free_sgpr 14
		.amdhsa_accum_offset 16
		.amdhsa_reserve_vcc 1
		.amdhsa_float_round_mode_32 0
		.amdhsa_float_round_mode_16_64 0
		.amdhsa_float_denorm_mode_32 3
		.amdhsa_float_denorm_mode_16_64 3
		.amdhsa_dx10_clamp 1
		.amdhsa_ieee_mode 1
		.amdhsa_fp16_overflow 0
		.amdhsa_tg_split 0
		.amdhsa_exception_fp_ieee_invalid_op 0
		.amdhsa_exception_fp_denorm_src 0
		.amdhsa_exception_fp_ieee_div_zero 0
		.amdhsa_exception_fp_ieee_overflow 0
		.amdhsa_exception_fp_ieee_underflow 0
		.amdhsa_exception_fp_ieee_inexact 0
		.amdhsa_exception_int_div_zero 0
	.end_amdhsa_kernel
	.section	.text._ZN9rocsparseL16csr2dense_kernelILi16ELi32EiidEEviT2_S1_PKT3_PKT1_PKS1_PS2_l16rocsparse_order_,"axG",@progbits,_ZN9rocsparseL16csr2dense_kernelILi16ELi32EiidEEviT2_S1_PKT3_PKT1_PKS1_PS2_l16rocsparse_order_,comdat
.Lfunc_end30:
	.size	_ZN9rocsparseL16csr2dense_kernelILi16ELi32EiidEEviT2_S1_PKT3_PKT1_PKS1_PS2_l16rocsparse_order_, .Lfunc_end30-_ZN9rocsparseL16csr2dense_kernelILi16ELi32EiidEEviT2_S1_PKT3_PKT1_PKS1_PS2_l16rocsparse_order_
                                        ; -- End function
	.set _ZN9rocsparseL16csr2dense_kernelILi16ELi32EiidEEviT2_S1_PKT3_PKT1_PKS1_PS2_l16rocsparse_order_.num_vgpr, 14
	.set _ZN9rocsparseL16csr2dense_kernelILi16ELi32EiidEEviT2_S1_PKT3_PKT1_PKS1_PS2_l16rocsparse_order_.num_agpr, 0
	.set _ZN9rocsparseL16csr2dense_kernelILi16ELi32EiidEEviT2_S1_PKT3_PKT1_PKS1_PS2_l16rocsparse_order_.numbered_sgpr, 14
	.set _ZN9rocsparseL16csr2dense_kernelILi16ELi32EiidEEviT2_S1_PKT3_PKT1_PKS1_PS2_l16rocsparse_order_.num_named_barrier, 0
	.set _ZN9rocsparseL16csr2dense_kernelILi16ELi32EiidEEviT2_S1_PKT3_PKT1_PKS1_PS2_l16rocsparse_order_.private_seg_size, 0
	.set _ZN9rocsparseL16csr2dense_kernelILi16ELi32EiidEEviT2_S1_PKT3_PKT1_PKS1_PS2_l16rocsparse_order_.uses_vcc, 1
	.set _ZN9rocsparseL16csr2dense_kernelILi16ELi32EiidEEviT2_S1_PKT3_PKT1_PKS1_PS2_l16rocsparse_order_.uses_flat_scratch, 0
	.set _ZN9rocsparseL16csr2dense_kernelILi16ELi32EiidEEviT2_S1_PKT3_PKT1_PKS1_PS2_l16rocsparse_order_.has_dyn_sized_stack, 0
	.set _ZN9rocsparseL16csr2dense_kernelILi16ELi32EiidEEviT2_S1_PKT3_PKT1_PKS1_PS2_l16rocsparse_order_.has_recursion, 0
	.set _ZN9rocsparseL16csr2dense_kernelILi16ELi32EiidEEviT2_S1_PKT3_PKT1_PKS1_PS2_l16rocsparse_order_.has_indirect_call, 0
	.section	.AMDGPU.csdata,"",@progbits
; Kernel info:
; codeLenInByte = 380
; TotalNumSgprs: 20
; NumVgprs: 14
; NumAgprs: 0
; TotalNumVgprs: 14
; ScratchSize: 0
; MemoryBound: 0
; FloatMode: 240
; IeeeMode: 1
; LDSByteSize: 0 bytes/workgroup (compile time only)
; SGPRBlocks: 2
; VGPRBlocks: 1
; NumSGPRsForWavesPerEU: 20
; NumVGPRsForWavesPerEU: 14
; AccumOffset: 16
; Occupancy: 8
; WaveLimiterHint : 1
; COMPUTE_PGM_RSRC2:SCRATCH_EN: 0
; COMPUTE_PGM_RSRC2:USER_SGPR: 2
; COMPUTE_PGM_RSRC2:TRAP_HANDLER: 0
; COMPUTE_PGM_RSRC2:TGID_X_EN: 1
; COMPUTE_PGM_RSRC2:TGID_Y_EN: 0
; COMPUTE_PGM_RSRC2:TGID_Z_EN: 0
; COMPUTE_PGM_RSRC2:TIDIG_COMP_CNT: 0
; COMPUTE_PGM_RSRC3_GFX90A:ACCUM_OFFSET: 3
; COMPUTE_PGM_RSRC3_GFX90A:TG_SPLIT: 0
	.section	.text._ZN9rocsparseL16csr2dense_kernelILi16ELi64EiidEEviT2_S1_PKT3_PKT1_PKS1_PS2_l16rocsparse_order_,"axG",@progbits,_ZN9rocsparseL16csr2dense_kernelILi16ELi64EiidEEviT2_S1_PKT3_PKT1_PKS1_PS2_l16rocsparse_order_,comdat
	.globl	_ZN9rocsparseL16csr2dense_kernelILi16ELi64EiidEEviT2_S1_PKT3_PKT1_PKS1_PS2_l16rocsparse_order_ ; -- Begin function _ZN9rocsparseL16csr2dense_kernelILi16ELi64EiidEEviT2_S1_PKT3_PKT1_PKS1_PS2_l16rocsparse_order_
	.p2align	8
	.type	_ZN9rocsparseL16csr2dense_kernelILi16ELi64EiidEEviT2_S1_PKT3_PKT1_PKS1_PS2_l16rocsparse_order_,@function
_ZN9rocsparseL16csr2dense_kernelILi16ELi64EiidEEviT2_S1_PKT3_PKT1_PKS1_PS2_l16rocsparse_order_: ; @_ZN9rocsparseL16csr2dense_kernelILi16ELi64EiidEEviT2_S1_PKT3_PKT1_PKS1_PS2_l16rocsparse_order_
; %bb.0:
	s_load_dwordx2 s[8:9], s[0:1], 0x0
	v_lshrrev_b32_e32 v1, 6, v0
	v_lshl_or_b32 v2, s2, 4, v1
	s_waitcnt lgkmcnt(0)
	v_cmp_gt_i32_e32 vcc, s9, v2
	s_and_saveexec_b64 s[2:3], vcc
	s_cbranch_execz .LBB31_8
; %bb.1:
	s_load_dwordx2 s[2:3], s[0:1], 0x18
	v_ashrrev_i32_e32 v3, 31, v2
	v_and_b32_e32 v8, 63, v0
	s_waitcnt lgkmcnt(0)
	v_lshl_add_u64 v[4:5], v[2:3], 2, s[2:3]
	global_load_dwordx2 v[4:5], v[4:5], off
	s_waitcnt vmcnt(0)
	v_sub_u32_e32 v9, v5, v4
	v_cmp_lt_i32_e32 vcc, v8, v9
	s_and_b64 exec, exec, vcc
	s_cbranch_execz .LBB31_8
; %bb.2:
	s_load_dwordx4 s[4:7], s[0:1], 0x20
	s_load_dword s9, s[0:1], 0x38
	s_load_dwordx2 s[2:3], s[0:1], 0x10
	s_load_dwordx2 s[10:11], s[0:1], 0x30
	v_subrev_u32_e32 v10, s8, v4
	s_waitcnt lgkmcnt(0)
	v_lshl_add_u64 v[0:1], v[2:3], 3, s[6:7]
	s_cmp_lg_u32 s9, 1
	s_cselect_b64 s[0:1], -1, 0
	v_mul_lo_u32 v4, s11, v2
	v_mul_lo_u32 v5, s10, v3
	v_mad_u64_u32 v[2:3], s[12:13], s10, v2, 0
	v_add3_u32 v3, v3, v5, v4
	v_lshl_add_u64 v[2:3], v[2:3], 3, s[6:7]
	s_mov_b64 s[6:7], 0
	s_branch .LBB31_4
.LBB31_3:                               ;   in Loop: Header=BB31_4 Depth=1
	v_add_u32_e32 v8, 64, v8
	v_cmp_ge_i32_e32 vcc, v8, v9
	s_or_b64 s[6:7], vcc, s[6:7]
	s_andn2_b64 exec, exec, s[6:7]
	s_cbranch_execz .LBB31_8
.LBB31_4:                               ; =>This Inner Loop Header: Depth=1
	s_waitcnt vmcnt(0)
	v_add_u32_e32 v4, v10, v8
	v_ashrrev_i32_e32 v5, 31, v4
	v_lshl_add_u64 v[6:7], v[4:5], 2, s[4:5]
	s_barrier
	global_load_dword v6, v[6:7], off
	v_lshl_add_u64 v[4:5], v[4:5], 3, s[2:3]
	global_load_dwordx2 v[4:5], v[4:5], off
	s_mov_b64 s[12:13], -1
	s_and_b64 vcc, exec, s[0:1]
	s_waitcnt vmcnt(1)
	v_subrev_u32_e32 v6, s8, v6
	v_ashrrev_i32_e32 v7, 31, v6
	s_cbranch_vccz .LBB31_6
; %bb.5:                                ;   in Loop: Header=BB31_4 Depth=1
	v_lshl_add_u64 v[12:13], v[6:7], 3, v[2:3]
	s_waitcnt vmcnt(0)
	global_store_dwordx2 v[12:13], v[4:5], off
	s_mov_b64 s[12:13], 0
.LBB31_6:                               ;   in Loop: Header=BB31_4 Depth=1
	s_andn2_b64 vcc, exec, s[12:13]
	s_cbranch_vccnz .LBB31_3
; %bb.7:                                ;   in Loop: Header=BB31_4 Depth=1
	v_mul_lo_u32 v11, s11, v6
	v_mul_lo_u32 v12, s10, v7
	v_mad_u64_u32 v[6:7], s[12:13], s10, v6, 0
	v_add3_u32 v7, v7, v12, v11
	v_lshl_add_u64 v[6:7], v[6:7], 3, v[0:1]
	s_waitcnt vmcnt(0)
	global_store_dwordx2 v[6:7], v[4:5], off
	s_branch .LBB31_3
.LBB31_8:
	s_endpgm
	.section	.rodata,"a",@progbits
	.p2align	6, 0x0
	.amdhsa_kernel _ZN9rocsparseL16csr2dense_kernelILi16ELi64EiidEEviT2_S1_PKT3_PKT1_PKS1_PS2_l16rocsparse_order_
		.amdhsa_group_segment_fixed_size 0
		.amdhsa_private_segment_fixed_size 0
		.amdhsa_kernarg_size 60
		.amdhsa_user_sgpr_count 2
		.amdhsa_user_sgpr_dispatch_ptr 0
		.amdhsa_user_sgpr_queue_ptr 0
		.amdhsa_user_sgpr_kernarg_segment_ptr 1
		.amdhsa_user_sgpr_dispatch_id 0
		.amdhsa_user_sgpr_kernarg_preload_length 0
		.amdhsa_user_sgpr_kernarg_preload_offset 0
		.amdhsa_user_sgpr_private_segment_size 0
		.amdhsa_uses_dynamic_stack 0
		.amdhsa_enable_private_segment 0
		.amdhsa_system_sgpr_workgroup_id_x 1
		.amdhsa_system_sgpr_workgroup_id_y 0
		.amdhsa_system_sgpr_workgroup_id_z 0
		.amdhsa_system_sgpr_workgroup_info 0
		.amdhsa_system_vgpr_workitem_id 0
		.amdhsa_next_free_vgpr 14
		.amdhsa_next_free_sgpr 14
		.amdhsa_accum_offset 16
		.amdhsa_reserve_vcc 1
		.amdhsa_float_round_mode_32 0
		.amdhsa_float_round_mode_16_64 0
		.amdhsa_float_denorm_mode_32 3
		.amdhsa_float_denorm_mode_16_64 3
		.amdhsa_dx10_clamp 1
		.amdhsa_ieee_mode 1
		.amdhsa_fp16_overflow 0
		.amdhsa_tg_split 0
		.amdhsa_exception_fp_ieee_invalid_op 0
		.amdhsa_exception_fp_denorm_src 0
		.amdhsa_exception_fp_ieee_div_zero 0
		.amdhsa_exception_fp_ieee_overflow 0
		.amdhsa_exception_fp_ieee_underflow 0
		.amdhsa_exception_fp_ieee_inexact 0
		.amdhsa_exception_int_div_zero 0
	.end_amdhsa_kernel
	.section	.text._ZN9rocsparseL16csr2dense_kernelILi16ELi64EiidEEviT2_S1_PKT3_PKT1_PKS1_PS2_l16rocsparse_order_,"axG",@progbits,_ZN9rocsparseL16csr2dense_kernelILi16ELi64EiidEEviT2_S1_PKT3_PKT1_PKS1_PS2_l16rocsparse_order_,comdat
.Lfunc_end31:
	.size	_ZN9rocsparseL16csr2dense_kernelILi16ELi64EiidEEviT2_S1_PKT3_PKT1_PKS1_PS2_l16rocsparse_order_, .Lfunc_end31-_ZN9rocsparseL16csr2dense_kernelILi16ELi64EiidEEviT2_S1_PKT3_PKT1_PKS1_PS2_l16rocsparse_order_
                                        ; -- End function
	.set _ZN9rocsparseL16csr2dense_kernelILi16ELi64EiidEEviT2_S1_PKT3_PKT1_PKS1_PS2_l16rocsparse_order_.num_vgpr, 14
	.set _ZN9rocsparseL16csr2dense_kernelILi16ELi64EiidEEviT2_S1_PKT3_PKT1_PKS1_PS2_l16rocsparse_order_.num_agpr, 0
	.set _ZN9rocsparseL16csr2dense_kernelILi16ELi64EiidEEviT2_S1_PKT3_PKT1_PKS1_PS2_l16rocsparse_order_.numbered_sgpr, 14
	.set _ZN9rocsparseL16csr2dense_kernelILi16ELi64EiidEEviT2_S1_PKT3_PKT1_PKS1_PS2_l16rocsparse_order_.num_named_barrier, 0
	.set _ZN9rocsparseL16csr2dense_kernelILi16ELi64EiidEEviT2_S1_PKT3_PKT1_PKS1_PS2_l16rocsparse_order_.private_seg_size, 0
	.set _ZN9rocsparseL16csr2dense_kernelILi16ELi64EiidEEviT2_S1_PKT3_PKT1_PKS1_PS2_l16rocsparse_order_.uses_vcc, 1
	.set _ZN9rocsparseL16csr2dense_kernelILi16ELi64EiidEEviT2_S1_PKT3_PKT1_PKS1_PS2_l16rocsparse_order_.uses_flat_scratch, 0
	.set _ZN9rocsparseL16csr2dense_kernelILi16ELi64EiidEEviT2_S1_PKT3_PKT1_PKS1_PS2_l16rocsparse_order_.has_dyn_sized_stack, 0
	.set _ZN9rocsparseL16csr2dense_kernelILi16ELi64EiidEEviT2_S1_PKT3_PKT1_PKS1_PS2_l16rocsparse_order_.has_recursion, 0
	.set _ZN9rocsparseL16csr2dense_kernelILi16ELi64EiidEEviT2_S1_PKT3_PKT1_PKS1_PS2_l16rocsparse_order_.has_indirect_call, 0
	.section	.AMDGPU.csdata,"",@progbits
; Kernel info:
; codeLenInByte = 380
; TotalNumSgprs: 20
; NumVgprs: 14
; NumAgprs: 0
; TotalNumVgprs: 14
; ScratchSize: 0
; MemoryBound: 0
; FloatMode: 240
; IeeeMode: 1
; LDSByteSize: 0 bytes/workgroup (compile time only)
; SGPRBlocks: 2
; VGPRBlocks: 1
; NumSGPRsForWavesPerEU: 20
; NumVGPRsForWavesPerEU: 14
; AccumOffset: 16
; Occupancy: 8
; WaveLimiterHint : 1
; COMPUTE_PGM_RSRC2:SCRATCH_EN: 0
; COMPUTE_PGM_RSRC2:USER_SGPR: 2
; COMPUTE_PGM_RSRC2:TRAP_HANDLER: 0
; COMPUTE_PGM_RSRC2:TGID_X_EN: 1
; COMPUTE_PGM_RSRC2:TGID_Y_EN: 0
; COMPUTE_PGM_RSRC2:TGID_Z_EN: 0
; COMPUTE_PGM_RSRC2:TIDIG_COMP_CNT: 0
; COMPUTE_PGM_RSRC3_GFX90A:ACCUM_OFFSET: 3
; COMPUTE_PGM_RSRC3_GFX90A:TG_SPLIT: 0
	.section	.text._ZN9rocsparseL16csc2dense_kernelILi16ELi32EiidEEviT2_S1_PKT3_PKT1_PKS1_PS2_l16rocsparse_order_,"axG",@progbits,_ZN9rocsparseL16csc2dense_kernelILi16ELi32EiidEEviT2_S1_PKT3_PKT1_PKS1_PS2_l16rocsparse_order_,comdat
	.globl	_ZN9rocsparseL16csc2dense_kernelILi16ELi32EiidEEviT2_S1_PKT3_PKT1_PKS1_PS2_l16rocsparse_order_ ; -- Begin function _ZN9rocsparseL16csc2dense_kernelILi16ELi32EiidEEviT2_S1_PKT3_PKT1_PKS1_PS2_l16rocsparse_order_
	.p2align	8
	.type	_ZN9rocsparseL16csc2dense_kernelILi16ELi32EiidEEviT2_S1_PKT3_PKT1_PKS1_PS2_l16rocsparse_order_,@function
_ZN9rocsparseL16csc2dense_kernelILi16ELi32EiidEEviT2_S1_PKT3_PKT1_PKS1_PS2_l16rocsparse_order_: ; @_ZN9rocsparseL16csc2dense_kernelILi16ELi32EiidEEviT2_S1_PKT3_PKT1_PKS1_PS2_l16rocsparse_order_
; %bb.0:
	s_load_dword s3, s[0:1], 0x8
	v_lshrrev_b32_e32 v1, 5, v0
	v_lshl_or_b32 v2, s2, 4, v1
	s_waitcnt lgkmcnt(0)
	v_cmp_gt_i32_e32 vcc, s3, v2
	s_and_saveexec_b64 s[2:3], vcc
	s_cbranch_execz .LBB32_8
; %bb.1:
	s_load_dwordx2 s[2:3], s[0:1], 0x18
	v_ashrrev_i32_e32 v3, 31, v2
	v_and_b32_e32 v8, 31, v0
	s_waitcnt lgkmcnt(0)
	v_lshl_add_u64 v[4:5], v[2:3], 2, s[2:3]
	global_load_dwordx2 v[4:5], v[4:5], off
	s_waitcnt vmcnt(0)
	v_sub_u32_e32 v9, v5, v4
	v_cmp_lt_i32_e32 vcc, v8, v9
	s_and_b64 exec, exec, vcc
	s_cbranch_execz .LBB32_8
; %bb.2:
	s_load_dword s12, s[0:1], 0x0
	s_load_dwordx4 s[4:7], s[0:1], 0x20
	s_load_dword s10, s[0:1], 0x38
	s_load_dwordx2 s[2:3], s[0:1], 0x10
	s_load_dwordx2 s[8:9], s[0:1], 0x30
	s_waitcnt lgkmcnt(0)
	v_subrev_u32_e32 v10, s12, v4
	v_lshl_add_u64 v[0:1], v[2:3], 3, s[6:7]
	s_cmp_lg_u32 s10, 1
	s_cselect_b64 s[0:1], -1, 0
	v_mul_lo_u32 v4, s9, v2
	v_mul_lo_u32 v5, s8, v3
	v_mad_u64_u32 v[2:3], s[10:11], s8, v2, 0
	v_add3_u32 v3, v3, v5, v4
	v_lshl_add_u64 v[2:3], v[2:3], 3, s[6:7]
	s_mov_b64 s[6:7], 0
	s_branch .LBB32_4
.LBB32_3:                               ;   in Loop: Header=BB32_4 Depth=1
	v_add_u32_e32 v8, 32, v8
	v_cmp_ge_i32_e32 vcc, v8, v9
	s_or_b64 s[6:7], vcc, s[6:7]
	s_andn2_b64 exec, exec, s[6:7]
	s_cbranch_execz .LBB32_8
.LBB32_4:                               ; =>This Inner Loop Header: Depth=1
	s_waitcnt vmcnt(0)
	v_add_u32_e32 v4, v10, v8
	v_ashrrev_i32_e32 v5, 31, v4
	v_lshl_add_u64 v[6:7], v[4:5], 2, s[4:5]
	global_load_dword v6, v[6:7], off
	v_lshl_add_u64 v[4:5], v[4:5], 3, s[2:3]
	global_load_dwordx2 v[4:5], v[4:5], off
	s_mov_b64 s[10:11], -1
	s_and_b64 vcc, exec, s[0:1]
	s_waitcnt vmcnt(1)
	v_subrev_u32_e32 v6, s12, v6
	v_ashrrev_i32_e32 v7, 31, v6
	s_cbranch_vccz .LBB32_6
; %bb.5:                                ;   in Loop: Header=BB32_4 Depth=1
	v_mul_lo_u32 v11, s9, v6
	v_mul_lo_u32 v14, s8, v7
	v_mad_u64_u32 v[12:13], s[10:11], s8, v6, 0
	v_add3_u32 v13, v13, v14, v11
	v_lshl_add_u64 v[12:13], v[12:13], 3, v[0:1]
	s_waitcnt vmcnt(0)
	global_store_dwordx2 v[12:13], v[4:5], off
	s_mov_b64 s[10:11], 0
.LBB32_6:                               ;   in Loop: Header=BB32_4 Depth=1
	s_andn2_b64 vcc, exec, s[10:11]
	s_cbranch_vccnz .LBB32_3
; %bb.7:                                ;   in Loop: Header=BB32_4 Depth=1
	v_lshl_add_u64 v[6:7], v[6:7], 3, v[2:3]
	s_waitcnt vmcnt(0)
	global_store_dwordx2 v[6:7], v[4:5], off
	s_branch .LBB32_3
.LBB32_8:
	s_endpgm
	.section	.rodata,"a",@progbits
	.p2align	6, 0x0
	.amdhsa_kernel _ZN9rocsparseL16csc2dense_kernelILi16ELi32EiidEEviT2_S1_PKT3_PKT1_PKS1_PS2_l16rocsparse_order_
		.amdhsa_group_segment_fixed_size 0
		.amdhsa_private_segment_fixed_size 0
		.amdhsa_kernarg_size 60
		.amdhsa_user_sgpr_count 2
		.amdhsa_user_sgpr_dispatch_ptr 0
		.amdhsa_user_sgpr_queue_ptr 0
		.amdhsa_user_sgpr_kernarg_segment_ptr 1
		.amdhsa_user_sgpr_dispatch_id 0
		.amdhsa_user_sgpr_kernarg_preload_length 0
		.amdhsa_user_sgpr_kernarg_preload_offset 0
		.amdhsa_user_sgpr_private_segment_size 0
		.amdhsa_uses_dynamic_stack 0
		.amdhsa_enable_private_segment 0
		.amdhsa_system_sgpr_workgroup_id_x 1
		.amdhsa_system_sgpr_workgroup_id_y 0
		.amdhsa_system_sgpr_workgroup_id_z 0
		.amdhsa_system_sgpr_workgroup_info 0
		.amdhsa_system_vgpr_workitem_id 0
		.amdhsa_next_free_vgpr 15
		.amdhsa_next_free_sgpr 13
		.amdhsa_accum_offset 16
		.amdhsa_reserve_vcc 1
		.amdhsa_float_round_mode_32 0
		.amdhsa_float_round_mode_16_64 0
		.amdhsa_float_denorm_mode_32 3
		.amdhsa_float_denorm_mode_16_64 3
		.amdhsa_dx10_clamp 1
		.amdhsa_ieee_mode 1
		.amdhsa_fp16_overflow 0
		.amdhsa_tg_split 0
		.amdhsa_exception_fp_ieee_invalid_op 0
		.amdhsa_exception_fp_denorm_src 0
		.amdhsa_exception_fp_ieee_div_zero 0
		.amdhsa_exception_fp_ieee_overflow 0
		.amdhsa_exception_fp_ieee_underflow 0
		.amdhsa_exception_fp_ieee_inexact 0
		.amdhsa_exception_int_div_zero 0
	.end_amdhsa_kernel
	.section	.text._ZN9rocsparseL16csc2dense_kernelILi16ELi32EiidEEviT2_S1_PKT3_PKT1_PKS1_PS2_l16rocsparse_order_,"axG",@progbits,_ZN9rocsparseL16csc2dense_kernelILi16ELi32EiidEEviT2_S1_PKT3_PKT1_PKS1_PS2_l16rocsparse_order_,comdat
.Lfunc_end32:
	.size	_ZN9rocsparseL16csc2dense_kernelILi16ELi32EiidEEviT2_S1_PKT3_PKT1_PKS1_PS2_l16rocsparse_order_, .Lfunc_end32-_ZN9rocsparseL16csc2dense_kernelILi16ELi32EiidEEviT2_S1_PKT3_PKT1_PKS1_PS2_l16rocsparse_order_
                                        ; -- End function
	.set _ZN9rocsparseL16csc2dense_kernelILi16ELi32EiidEEviT2_S1_PKT3_PKT1_PKS1_PS2_l16rocsparse_order_.num_vgpr, 15
	.set _ZN9rocsparseL16csc2dense_kernelILi16ELi32EiidEEviT2_S1_PKT3_PKT1_PKS1_PS2_l16rocsparse_order_.num_agpr, 0
	.set _ZN9rocsparseL16csc2dense_kernelILi16ELi32EiidEEviT2_S1_PKT3_PKT1_PKS1_PS2_l16rocsparse_order_.numbered_sgpr, 13
	.set _ZN9rocsparseL16csc2dense_kernelILi16ELi32EiidEEviT2_S1_PKT3_PKT1_PKS1_PS2_l16rocsparse_order_.num_named_barrier, 0
	.set _ZN9rocsparseL16csc2dense_kernelILi16ELi32EiidEEviT2_S1_PKT3_PKT1_PKS1_PS2_l16rocsparse_order_.private_seg_size, 0
	.set _ZN9rocsparseL16csc2dense_kernelILi16ELi32EiidEEviT2_S1_PKT3_PKT1_PKS1_PS2_l16rocsparse_order_.uses_vcc, 1
	.set _ZN9rocsparseL16csc2dense_kernelILi16ELi32EiidEEviT2_S1_PKT3_PKT1_PKS1_PS2_l16rocsparse_order_.uses_flat_scratch, 0
	.set _ZN9rocsparseL16csc2dense_kernelILi16ELi32EiidEEviT2_S1_PKT3_PKT1_PKS1_PS2_l16rocsparse_order_.has_dyn_sized_stack, 0
	.set _ZN9rocsparseL16csc2dense_kernelILi16ELi32EiidEEviT2_S1_PKT3_PKT1_PKS1_PS2_l16rocsparse_order_.has_recursion, 0
	.set _ZN9rocsparseL16csc2dense_kernelILi16ELi32EiidEEviT2_S1_PKT3_PKT1_PKS1_PS2_l16rocsparse_order_.has_indirect_call, 0
	.section	.AMDGPU.csdata,"",@progbits
; Kernel info:
; codeLenInByte = 384
; TotalNumSgprs: 19
; NumVgprs: 15
; NumAgprs: 0
; TotalNumVgprs: 15
; ScratchSize: 0
; MemoryBound: 0
; FloatMode: 240
; IeeeMode: 1
; LDSByteSize: 0 bytes/workgroup (compile time only)
; SGPRBlocks: 2
; VGPRBlocks: 1
; NumSGPRsForWavesPerEU: 19
; NumVGPRsForWavesPerEU: 15
; AccumOffset: 16
; Occupancy: 8
; WaveLimiterHint : 1
; COMPUTE_PGM_RSRC2:SCRATCH_EN: 0
; COMPUTE_PGM_RSRC2:USER_SGPR: 2
; COMPUTE_PGM_RSRC2:TRAP_HANDLER: 0
; COMPUTE_PGM_RSRC2:TGID_X_EN: 1
; COMPUTE_PGM_RSRC2:TGID_Y_EN: 0
; COMPUTE_PGM_RSRC2:TGID_Z_EN: 0
; COMPUTE_PGM_RSRC2:TIDIG_COMP_CNT: 0
; COMPUTE_PGM_RSRC3_GFX90A:ACCUM_OFFSET: 3
; COMPUTE_PGM_RSRC3_GFX90A:TG_SPLIT: 0
	.section	.text._ZN9rocsparseL16csc2dense_kernelILi16ELi64EiidEEviT2_S1_PKT3_PKT1_PKS1_PS2_l16rocsparse_order_,"axG",@progbits,_ZN9rocsparseL16csc2dense_kernelILi16ELi64EiidEEviT2_S1_PKT3_PKT1_PKS1_PS2_l16rocsparse_order_,comdat
	.globl	_ZN9rocsparseL16csc2dense_kernelILi16ELi64EiidEEviT2_S1_PKT3_PKT1_PKS1_PS2_l16rocsparse_order_ ; -- Begin function _ZN9rocsparseL16csc2dense_kernelILi16ELi64EiidEEviT2_S1_PKT3_PKT1_PKS1_PS2_l16rocsparse_order_
	.p2align	8
	.type	_ZN9rocsparseL16csc2dense_kernelILi16ELi64EiidEEviT2_S1_PKT3_PKT1_PKS1_PS2_l16rocsparse_order_,@function
_ZN9rocsparseL16csc2dense_kernelILi16ELi64EiidEEviT2_S1_PKT3_PKT1_PKS1_PS2_l16rocsparse_order_: ; @_ZN9rocsparseL16csc2dense_kernelILi16ELi64EiidEEviT2_S1_PKT3_PKT1_PKS1_PS2_l16rocsparse_order_
; %bb.0:
	s_load_dword s3, s[0:1], 0x8
	v_lshrrev_b32_e32 v1, 6, v0
	v_lshl_or_b32 v2, s2, 4, v1
	s_waitcnt lgkmcnt(0)
	v_cmp_gt_i32_e32 vcc, s3, v2
	s_and_saveexec_b64 s[2:3], vcc
	s_cbranch_execz .LBB33_8
; %bb.1:
	s_load_dwordx2 s[2:3], s[0:1], 0x18
	v_ashrrev_i32_e32 v3, 31, v2
	v_and_b32_e32 v8, 63, v0
	s_waitcnt lgkmcnt(0)
	v_lshl_add_u64 v[4:5], v[2:3], 2, s[2:3]
	global_load_dwordx2 v[4:5], v[4:5], off
	s_waitcnt vmcnt(0)
	v_sub_u32_e32 v9, v5, v4
	v_cmp_lt_i32_e32 vcc, v8, v9
	s_and_b64 exec, exec, vcc
	s_cbranch_execz .LBB33_8
; %bb.2:
	s_load_dword s12, s[0:1], 0x0
	s_load_dwordx4 s[4:7], s[0:1], 0x20
	s_load_dword s10, s[0:1], 0x38
	s_load_dwordx2 s[2:3], s[0:1], 0x10
	s_load_dwordx2 s[8:9], s[0:1], 0x30
	s_waitcnt lgkmcnt(0)
	v_subrev_u32_e32 v10, s12, v4
	v_lshl_add_u64 v[0:1], v[2:3], 3, s[6:7]
	s_cmp_lg_u32 s10, 1
	s_cselect_b64 s[0:1], -1, 0
	v_mul_lo_u32 v4, s9, v2
	v_mul_lo_u32 v5, s8, v3
	v_mad_u64_u32 v[2:3], s[10:11], s8, v2, 0
	v_add3_u32 v3, v3, v5, v4
	v_lshl_add_u64 v[2:3], v[2:3], 3, s[6:7]
	s_mov_b64 s[6:7], 0
	s_branch .LBB33_4
.LBB33_3:                               ;   in Loop: Header=BB33_4 Depth=1
	v_add_u32_e32 v8, 64, v8
	v_cmp_ge_i32_e32 vcc, v8, v9
	s_or_b64 s[6:7], vcc, s[6:7]
	s_andn2_b64 exec, exec, s[6:7]
	s_cbranch_execz .LBB33_8
.LBB33_4:                               ; =>This Inner Loop Header: Depth=1
	s_waitcnt vmcnt(0)
	v_add_u32_e32 v4, v10, v8
	v_ashrrev_i32_e32 v5, 31, v4
	v_lshl_add_u64 v[6:7], v[4:5], 2, s[4:5]
	global_load_dword v6, v[6:7], off
	v_lshl_add_u64 v[4:5], v[4:5], 3, s[2:3]
	global_load_dwordx2 v[4:5], v[4:5], off
	s_mov_b64 s[10:11], -1
	s_and_b64 vcc, exec, s[0:1]
	s_waitcnt vmcnt(1)
	v_subrev_u32_e32 v6, s12, v6
	v_ashrrev_i32_e32 v7, 31, v6
	s_cbranch_vccz .LBB33_6
; %bb.5:                                ;   in Loop: Header=BB33_4 Depth=1
	v_mul_lo_u32 v11, s9, v6
	v_mul_lo_u32 v14, s8, v7
	v_mad_u64_u32 v[12:13], s[10:11], s8, v6, 0
	v_add3_u32 v13, v13, v14, v11
	v_lshl_add_u64 v[12:13], v[12:13], 3, v[0:1]
	s_waitcnt vmcnt(0)
	global_store_dwordx2 v[12:13], v[4:5], off
	s_mov_b64 s[10:11], 0
.LBB33_6:                               ;   in Loop: Header=BB33_4 Depth=1
	s_andn2_b64 vcc, exec, s[10:11]
	s_cbranch_vccnz .LBB33_3
; %bb.7:                                ;   in Loop: Header=BB33_4 Depth=1
	v_lshl_add_u64 v[6:7], v[6:7], 3, v[2:3]
	s_waitcnt vmcnt(0)
	global_store_dwordx2 v[6:7], v[4:5], off
	s_branch .LBB33_3
.LBB33_8:
	s_endpgm
	.section	.rodata,"a",@progbits
	.p2align	6, 0x0
	.amdhsa_kernel _ZN9rocsparseL16csc2dense_kernelILi16ELi64EiidEEviT2_S1_PKT3_PKT1_PKS1_PS2_l16rocsparse_order_
		.amdhsa_group_segment_fixed_size 0
		.amdhsa_private_segment_fixed_size 0
		.amdhsa_kernarg_size 60
		.amdhsa_user_sgpr_count 2
		.amdhsa_user_sgpr_dispatch_ptr 0
		.amdhsa_user_sgpr_queue_ptr 0
		.amdhsa_user_sgpr_kernarg_segment_ptr 1
		.amdhsa_user_sgpr_dispatch_id 0
		.amdhsa_user_sgpr_kernarg_preload_length 0
		.amdhsa_user_sgpr_kernarg_preload_offset 0
		.amdhsa_user_sgpr_private_segment_size 0
		.amdhsa_uses_dynamic_stack 0
		.amdhsa_enable_private_segment 0
		.amdhsa_system_sgpr_workgroup_id_x 1
		.amdhsa_system_sgpr_workgroup_id_y 0
		.amdhsa_system_sgpr_workgroup_id_z 0
		.amdhsa_system_sgpr_workgroup_info 0
		.amdhsa_system_vgpr_workitem_id 0
		.amdhsa_next_free_vgpr 15
		.amdhsa_next_free_sgpr 13
		.amdhsa_accum_offset 16
		.amdhsa_reserve_vcc 1
		.amdhsa_float_round_mode_32 0
		.amdhsa_float_round_mode_16_64 0
		.amdhsa_float_denorm_mode_32 3
		.amdhsa_float_denorm_mode_16_64 3
		.amdhsa_dx10_clamp 1
		.amdhsa_ieee_mode 1
		.amdhsa_fp16_overflow 0
		.amdhsa_tg_split 0
		.amdhsa_exception_fp_ieee_invalid_op 0
		.amdhsa_exception_fp_denorm_src 0
		.amdhsa_exception_fp_ieee_div_zero 0
		.amdhsa_exception_fp_ieee_overflow 0
		.amdhsa_exception_fp_ieee_underflow 0
		.amdhsa_exception_fp_ieee_inexact 0
		.amdhsa_exception_int_div_zero 0
	.end_amdhsa_kernel
	.section	.text._ZN9rocsparseL16csc2dense_kernelILi16ELi64EiidEEviT2_S1_PKT3_PKT1_PKS1_PS2_l16rocsparse_order_,"axG",@progbits,_ZN9rocsparseL16csc2dense_kernelILi16ELi64EiidEEviT2_S1_PKT3_PKT1_PKS1_PS2_l16rocsparse_order_,comdat
.Lfunc_end33:
	.size	_ZN9rocsparseL16csc2dense_kernelILi16ELi64EiidEEviT2_S1_PKT3_PKT1_PKS1_PS2_l16rocsparse_order_, .Lfunc_end33-_ZN9rocsparseL16csc2dense_kernelILi16ELi64EiidEEviT2_S1_PKT3_PKT1_PKS1_PS2_l16rocsparse_order_
                                        ; -- End function
	.set _ZN9rocsparseL16csc2dense_kernelILi16ELi64EiidEEviT2_S1_PKT3_PKT1_PKS1_PS2_l16rocsparse_order_.num_vgpr, 15
	.set _ZN9rocsparseL16csc2dense_kernelILi16ELi64EiidEEviT2_S1_PKT3_PKT1_PKS1_PS2_l16rocsparse_order_.num_agpr, 0
	.set _ZN9rocsparseL16csc2dense_kernelILi16ELi64EiidEEviT2_S1_PKT3_PKT1_PKS1_PS2_l16rocsparse_order_.numbered_sgpr, 13
	.set _ZN9rocsparseL16csc2dense_kernelILi16ELi64EiidEEviT2_S1_PKT3_PKT1_PKS1_PS2_l16rocsparse_order_.num_named_barrier, 0
	.set _ZN9rocsparseL16csc2dense_kernelILi16ELi64EiidEEviT2_S1_PKT3_PKT1_PKS1_PS2_l16rocsparse_order_.private_seg_size, 0
	.set _ZN9rocsparseL16csc2dense_kernelILi16ELi64EiidEEviT2_S1_PKT3_PKT1_PKS1_PS2_l16rocsparse_order_.uses_vcc, 1
	.set _ZN9rocsparseL16csc2dense_kernelILi16ELi64EiidEEviT2_S1_PKT3_PKT1_PKS1_PS2_l16rocsparse_order_.uses_flat_scratch, 0
	.set _ZN9rocsparseL16csc2dense_kernelILi16ELi64EiidEEviT2_S1_PKT3_PKT1_PKS1_PS2_l16rocsparse_order_.has_dyn_sized_stack, 0
	.set _ZN9rocsparseL16csc2dense_kernelILi16ELi64EiidEEviT2_S1_PKT3_PKT1_PKS1_PS2_l16rocsparse_order_.has_recursion, 0
	.set _ZN9rocsparseL16csc2dense_kernelILi16ELi64EiidEEviT2_S1_PKT3_PKT1_PKS1_PS2_l16rocsparse_order_.has_indirect_call, 0
	.section	.AMDGPU.csdata,"",@progbits
; Kernel info:
; codeLenInByte = 384
; TotalNumSgprs: 19
; NumVgprs: 15
; NumAgprs: 0
; TotalNumVgprs: 15
; ScratchSize: 0
; MemoryBound: 0
; FloatMode: 240
; IeeeMode: 1
; LDSByteSize: 0 bytes/workgroup (compile time only)
; SGPRBlocks: 2
; VGPRBlocks: 1
; NumSGPRsForWavesPerEU: 19
; NumVGPRsForWavesPerEU: 15
; AccumOffset: 16
; Occupancy: 8
; WaveLimiterHint : 1
; COMPUTE_PGM_RSRC2:SCRATCH_EN: 0
; COMPUTE_PGM_RSRC2:USER_SGPR: 2
; COMPUTE_PGM_RSRC2:TRAP_HANDLER: 0
; COMPUTE_PGM_RSRC2:TGID_X_EN: 1
; COMPUTE_PGM_RSRC2:TGID_Y_EN: 0
; COMPUTE_PGM_RSRC2:TGID_Z_EN: 0
; COMPUTE_PGM_RSRC2:TIDIG_COMP_CNT: 0
; COMPUTE_PGM_RSRC3_GFX90A:ACCUM_OFFSET: 3
; COMPUTE_PGM_RSRC3_GFX90A:TG_SPLIT: 0
	.section	.text._ZN9rocsparseL23sddmm_csx_sample_kernelILi512ELi64EL20rocsparse_direction_1EdiidEEvT4_S2_T3_PKT5_S2_PS4_PKS3_PKS2_21rocsparse_index_base_,"axG",@progbits,_ZN9rocsparseL23sddmm_csx_sample_kernelILi512ELi64EL20rocsparse_direction_1EdiidEEvT4_S2_T3_PKT5_S2_PS4_PKS3_PKS2_21rocsparse_index_base_,comdat
	.globl	_ZN9rocsparseL23sddmm_csx_sample_kernelILi512ELi64EL20rocsparse_direction_1EdiidEEvT4_S2_T3_PKT5_S2_PS4_PKS3_PKS2_21rocsparse_index_base_ ; -- Begin function _ZN9rocsparseL23sddmm_csx_sample_kernelILi512ELi64EL20rocsparse_direction_1EdiidEEvT4_S2_T3_PKT5_S2_PS4_PKS3_PKS2_21rocsparse_index_base_
	.p2align	8
	.type	_ZN9rocsparseL23sddmm_csx_sample_kernelILi512ELi64EL20rocsparse_direction_1EdiidEEvT4_S2_T3_PKT5_S2_PS4_PKS3_PKS2_21rocsparse_index_base_,@function
_ZN9rocsparseL23sddmm_csx_sample_kernelILi512ELi64EL20rocsparse_direction_1EdiidEEvT4_S2_T3_PKT5_S2_PS4_PKS3_PKS2_21rocsparse_index_base_: ; @_ZN9rocsparseL23sddmm_csx_sample_kernelILi512ELi64EL20rocsparse_direction_1EdiidEEvT4_S2_T3_PKT5_S2_PS4_PKS3_PKS2_21rocsparse_index_base_
; %bb.0:
	s_load_dword s3, s[0:1], 0x4
	v_lshrrev_b32_e32 v1, 6, v0
	v_lshl_or_b32 v2, s2, 3, v1
	s_waitcnt lgkmcnt(0)
	v_cmp_gt_u32_e32 vcc, s3, v2
	s_and_saveexec_b64 s[2:3], vcc
	s_cbranch_execz .LBB34_4
; %bb.1:
	s_load_dwordx2 s[2:3], s[0:1], 0x28
	s_load_dword s4, s[0:1], 0x38
	v_mov_b32_e32 v3, 0
	v_and_b32_e32 v0, 63, v0
	s_waitcnt lgkmcnt(0)
	v_lshl_add_u64 v[4:5], v[2:3], 2, s[2:3]
	global_load_dwordx2 v[4:5], v[4:5], off
	v_subrev_u32_e32 v0, s4, v0
	s_waitcnt vmcnt(0)
	v_add_u32_e32 v0, v0, v4
	v_subrev_u32_e32 v6, s4, v5
	v_cmp_lt_i32_e32 vcc, v0, v6
	s_and_b64 exec, exec, vcc
	s_cbranch_execz .LBB34_4
; %bb.2:
	s_load_dwordx2 s[6:7], s[0:1], 0x30
	s_load_dword s5, s[0:1], 0x18
	s_load_dwordx2 s[8:9], s[0:1], 0x20
	s_load_dwordx2 s[2:3], s[0:1], 0x10
	v_ashrrev_i32_e32 v1, 31, v0
	s_mov_b64 s[0:1], 0
	s_waitcnt lgkmcnt(0)
	v_mul_lo_u32 v2, s5, v2
	v_subrev_u32_e32 v7, s4, v2
	v_lshl_add_u64 v[2:3], v[0:1], 2, s[6:7]
	v_lshl_add_u64 v[4:5], v[0:1], 3, s[8:9]
	s_mov_b64 s[4:5], 0x100
	s_mov_b64 s[6:7], 0x200
.LBB34_3:                               ; =>This Inner Loop Header: Depth=1
	global_load_dword v1, v[2:3], off
	v_add_u32_e32 v0, 64, v0
	v_cmp_ge_i32_e32 vcc, v0, v6
	v_lshl_add_u64 v[2:3], v[2:3], 0, s[4:5]
	s_or_b64 s[0:1], vcc, s[0:1]
	s_waitcnt vmcnt(0)
	v_add_u32_e32 v8, v7, v1
	v_ashrrev_i32_e32 v9, 31, v8
	v_lshl_add_u64 v[8:9], v[8:9], 3, s[2:3]
	global_load_dwordx2 v[8:9], v[8:9], off
	s_waitcnt vmcnt(0)
	global_store_dwordx2 v[4:5], v[8:9], off
	v_lshl_add_u64 v[4:5], v[4:5], 0, s[6:7]
	s_andn2_b64 exec, exec, s[0:1]
	s_cbranch_execnz .LBB34_3
.LBB34_4:
	s_endpgm
	.section	.rodata,"a",@progbits
	.p2align	6, 0x0
	.amdhsa_kernel _ZN9rocsparseL23sddmm_csx_sample_kernelILi512ELi64EL20rocsparse_direction_1EdiidEEvT4_S2_T3_PKT5_S2_PS4_PKS3_PKS2_21rocsparse_index_base_
		.amdhsa_group_segment_fixed_size 0
		.amdhsa_private_segment_fixed_size 0
		.amdhsa_kernarg_size 60
		.amdhsa_user_sgpr_count 2
		.amdhsa_user_sgpr_dispatch_ptr 0
		.amdhsa_user_sgpr_queue_ptr 0
		.amdhsa_user_sgpr_kernarg_segment_ptr 1
		.amdhsa_user_sgpr_dispatch_id 0
		.amdhsa_user_sgpr_kernarg_preload_length 0
		.amdhsa_user_sgpr_kernarg_preload_offset 0
		.amdhsa_user_sgpr_private_segment_size 0
		.amdhsa_uses_dynamic_stack 0
		.amdhsa_enable_private_segment 0
		.amdhsa_system_sgpr_workgroup_id_x 1
		.amdhsa_system_sgpr_workgroup_id_y 0
		.amdhsa_system_sgpr_workgroup_id_z 0
		.amdhsa_system_sgpr_workgroup_info 0
		.amdhsa_system_vgpr_workitem_id 0
		.amdhsa_next_free_vgpr 10
		.amdhsa_next_free_sgpr 10
		.amdhsa_accum_offset 12
		.amdhsa_reserve_vcc 1
		.amdhsa_float_round_mode_32 0
		.amdhsa_float_round_mode_16_64 0
		.amdhsa_float_denorm_mode_32 3
		.amdhsa_float_denorm_mode_16_64 3
		.amdhsa_dx10_clamp 1
		.amdhsa_ieee_mode 1
		.amdhsa_fp16_overflow 0
		.amdhsa_tg_split 0
		.amdhsa_exception_fp_ieee_invalid_op 0
		.amdhsa_exception_fp_denorm_src 0
		.amdhsa_exception_fp_ieee_div_zero 0
		.amdhsa_exception_fp_ieee_overflow 0
		.amdhsa_exception_fp_ieee_underflow 0
		.amdhsa_exception_fp_ieee_inexact 0
		.amdhsa_exception_int_div_zero 0
	.end_amdhsa_kernel
	.section	.text._ZN9rocsparseL23sddmm_csx_sample_kernelILi512ELi64EL20rocsparse_direction_1EdiidEEvT4_S2_T3_PKT5_S2_PS4_PKS3_PKS2_21rocsparse_index_base_,"axG",@progbits,_ZN9rocsparseL23sddmm_csx_sample_kernelILi512ELi64EL20rocsparse_direction_1EdiidEEvT4_S2_T3_PKT5_S2_PS4_PKS3_PKS2_21rocsparse_index_base_,comdat
.Lfunc_end34:
	.size	_ZN9rocsparseL23sddmm_csx_sample_kernelILi512ELi64EL20rocsparse_direction_1EdiidEEvT4_S2_T3_PKT5_S2_PS4_PKS3_PKS2_21rocsparse_index_base_, .Lfunc_end34-_ZN9rocsparseL23sddmm_csx_sample_kernelILi512ELi64EL20rocsparse_direction_1EdiidEEvT4_S2_T3_PKT5_S2_PS4_PKS3_PKS2_21rocsparse_index_base_
                                        ; -- End function
	.set _ZN9rocsparseL23sddmm_csx_sample_kernelILi512ELi64EL20rocsparse_direction_1EdiidEEvT4_S2_T3_PKT5_S2_PS4_PKS3_PKS2_21rocsparse_index_base_.num_vgpr, 10
	.set _ZN9rocsparseL23sddmm_csx_sample_kernelILi512ELi64EL20rocsparse_direction_1EdiidEEvT4_S2_T3_PKT5_S2_PS4_PKS3_PKS2_21rocsparse_index_base_.num_agpr, 0
	.set _ZN9rocsparseL23sddmm_csx_sample_kernelILi512ELi64EL20rocsparse_direction_1EdiidEEvT4_S2_T3_PKT5_S2_PS4_PKS3_PKS2_21rocsparse_index_base_.numbered_sgpr, 10
	.set _ZN9rocsparseL23sddmm_csx_sample_kernelILi512ELi64EL20rocsparse_direction_1EdiidEEvT4_S2_T3_PKT5_S2_PS4_PKS3_PKS2_21rocsparse_index_base_.num_named_barrier, 0
	.set _ZN9rocsparseL23sddmm_csx_sample_kernelILi512ELi64EL20rocsparse_direction_1EdiidEEvT4_S2_T3_PKT5_S2_PS4_PKS3_PKS2_21rocsparse_index_base_.private_seg_size, 0
	.set _ZN9rocsparseL23sddmm_csx_sample_kernelILi512ELi64EL20rocsparse_direction_1EdiidEEvT4_S2_T3_PKT5_S2_PS4_PKS3_PKS2_21rocsparse_index_base_.uses_vcc, 1
	.set _ZN9rocsparseL23sddmm_csx_sample_kernelILi512ELi64EL20rocsparse_direction_1EdiidEEvT4_S2_T3_PKT5_S2_PS4_PKS3_PKS2_21rocsparse_index_base_.uses_flat_scratch, 0
	.set _ZN9rocsparseL23sddmm_csx_sample_kernelILi512ELi64EL20rocsparse_direction_1EdiidEEvT4_S2_T3_PKT5_S2_PS4_PKS3_PKS2_21rocsparse_index_base_.has_dyn_sized_stack, 0
	.set _ZN9rocsparseL23sddmm_csx_sample_kernelILi512ELi64EL20rocsparse_direction_1EdiidEEvT4_S2_T3_PKT5_S2_PS4_PKS3_PKS2_21rocsparse_index_base_.has_recursion, 0
	.set _ZN9rocsparseL23sddmm_csx_sample_kernelILi512ELi64EL20rocsparse_direction_1EdiidEEvT4_S2_T3_PKT5_S2_PS4_PKS3_PKS2_21rocsparse_index_base_.has_indirect_call, 0
	.section	.AMDGPU.csdata,"",@progbits
; Kernel info:
; codeLenInByte = 284
; TotalNumSgprs: 16
; NumVgprs: 10
; NumAgprs: 0
; TotalNumVgprs: 10
; ScratchSize: 0
; MemoryBound: 0
; FloatMode: 240
; IeeeMode: 1
; LDSByteSize: 0 bytes/workgroup (compile time only)
; SGPRBlocks: 1
; VGPRBlocks: 1
; NumSGPRsForWavesPerEU: 16
; NumVGPRsForWavesPerEU: 10
; AccumOffset: 12
; Occupancy: 8
; WaveLimiterHint : 1
; COMPUTE_PGM_RSRC2:SCRATCH_EN: 0
; COMPUTE_PGM_RSRC2:USER_SGPR: 2
; COMPUTE_PGM_RSRC2:TRAP_HANDLER: 0
; COMPUTE_PGM_RSRC2:TGID_X_EN: 1
; COMPUTE_PGM_RSRC2:TGID_Y_EN: 0
; COMPUTE_PGM_RSRC2:TGID_Z_EN: 0
; COMPUTE_PGM_RSRC2:TIDIG_COMP_CNT: 0
; COMPUTE_PGM_RSRC3_GFX90A:ACCUM_OFFSET: 2
; COMPUTE_PGM_RSRC3_GFX90A:TG_SPLIT: 0
	.section	.text._ZN9rocsparseL23sddmm_csx_sample_kernelILi512ELi32EL20rocsparse_direction_1EdiidEEvT4_S2_T3_PKT5_S2_PS4_PKS3_PKS2_21rocsparse_index_base_,"axG",@progbits,_ZN9rocsparseL23sddmm_csx_sample_kernelILi512ELi32EL20rocsparse_direction_1EdiidEEvT4_S2_T3_PKT5_S2_PS4_PKS3_PKS2_21rocsparse_index_base_,comdat
	.globl	_ZN9rocsparseL23sddmm_csx_sample_kernelILi512ELi32EL20rocsparse_direction_1EdiidEEvT4_S2_T3_PKT5_S2_PS4_PKS3_PKS2_21rocsparse_index_base_ ; -- Begin function _ZN9rocsparseL23sddmm_csx_sample_kernelILi512ELi32EL20rocsparse_direction_1EdiidEEvT4_S2_T3_PKT5_S2_PS4_PKS3_PKS2_21rocsparse_index_base_
	.p2align	8
	.type	_ZN9rocsparseL23sddmm_csx_sample_kernelILi512ELi32EL20rocsparse_direction_1EdiidEEvT4_S2_T3_PKT5_S2_PS4_PKS3_PKS2_21rocsparse_index_base_,@function
_ZN9rocsparseL23sddmm_csx_sample_kernelILi512ELi32EL20rocsparse_direction_1EdiidEEvT4_S2_T3_PKT5_S2_PS4_PKS3_PKS2_21rocsparse_index_base_: ; @_ZN9rocsparseL23sddmm_csx_sample_kernelILi512ELi32EL20rocsparse_direction_1EdiidEEvT4_S2_T3_PKT5_S2_PS4_PKS3_PKS2_21rocsparse_index_base_
; %bb.0:
	s_load_dword s3, s[0:1], 0x4
	v_lshrrev_b32_e32 v1, 5, v0
	v_lshl_or_b32 v2, s2, 4, v1
	s_waitcnt lgkmcnt(0)
	v_cmp_gt_u32_e32 vcc, s3, v2
	s_and_saveexec_b64 s[2:3], vcc
	s_cbranch_execz .LBB35_4
; %bb.1:
	s_load_dwordx2 s[2:3], s[0:1], 0x28
	s_load_dword s4, s[0:1], 0x38
	v_mov_b32_e32 v3, 0
	v_and_b32_e32 v0, 31, v0
	s_waitcnt lgkmcnt(0)
	v_lshl_add_u64 v[4:5], v[2:3], 2, s[2:3]
	global_load_dwordx2 v[4:5], v[4:5], off
	v_subrev_u32_e32 v0, s4, v0
	s_waitcnt vmcnt(0)
	v_add_u32_e32 v0, v0, v4
	v_subrev_u32_e32 v6, s4, v5
	v_cmp_lt_i32_e32 vcc, v0, v6
	s_and_b64 exec, exec, vcc
	s_cbranch_execz .LBB35_4
; %bb.2:
	s_load_dwordx2 s[6:7], s[0:1], 0x30
	s_load_dword s5, s[0:1], 0x18
	s_load_dwordx2 s[8:9], s[0:1], 0x20
	s_load_dwordx2 s[2:3], s[0:1], 0x10
	v_ashrrev_i32_e32 v1, 31, v0
	s_mov_b64 s[0:1], 0
	s_waitcnt lgkmcnt(0)
	v_mul_lo_u32 v2, s5, v2
	v_subrev_u32_e32 v7, s4, v2
	v_lshl_add_u64 v[2:3], v[0:1], 2, s[6:7]
	v_lshl_add_u64 v[4:5], v[0:1], 3, s[8:9]
	s_mov_b64 s[4:5], 0x80
	s_mov_b64 s[6:7], 0x100
.LBB35_3:                               ; =>This Inner Loop Header: Depth=1
	global_load_dword v1, v[2:3], off
	v_add_u32_e32 v0, 32, v0
	v_cmp_ge_i32_e32 vcc, v0, v6
	v_lshl_add_u64 v[2:3], v[2:3], 0, s[4:5]
	s_or_b64 s[0:1], vcc, s[0:1]
	s_waitcnt vmcnt(0)
	v_add_u32_e32 v8, v7, v1
	v_ashrrev_i32_e32 v9, 31, v8
	v_lshl_add_u64 v[8:9], v[8:9], 3, s[2:3]
	global_load_dwordx2 v[8:9], v[8:9], off
	s_waitcnt vmcnt(0)
	global_store_dwordx2 v[4:5], v[8:9], off
	v_lshl_add_u64 v[4:5], v[4:5], 0, s[6:7]
	s_andn2_b64 exec, exec, s[0:1]
	s_cbranch_execnz .LBB35_3
.LBB35_4:
	s_endpgm
	.section	.rodata,"a",@progbits
	.p2align	6, 0x0
	.amdhsa_kernel _ZN9rocsparseL23sddmm_csx_sample_kernelILi512ELi32EL20rocsparse_direction_1EdiidEEvT4_S2_T3_PKT5_S2_PS4_PKS3_PKS2_21rocsparse_index_base_
		.amdhsa_group_segment_fixed_size 0
		.amdhsa_private_segment_fixed_size 0
		.amdhsa_kernarg_size 60
		.amdhsa_user_sgpr_count 2
		.amdhsa_user_sgpr_dispatch_ptr 0
		.amdhsa_user_sgpr_queue_ptr 0
		.amdhsa_user_sgpr_kernarg_segment_ptr 1
		.amdhsa_user_sgpr_dispatch_id 0
		.amdhsa_user_sgpr_kernarg_preload_length 0
		.amdhsa_user_sgpr_kernarg_preload_offset 0
		.amdhsa_user_sgpr_private_segment_size 0
		.amdhsa_uses_dynamic_stack 0
		.amdhsa_enable_private_segment 0
		.amdhsa_system_sgpr_workgroup_id_x 1
		.amdhsa_system_sgpr_workgroup_id_y 0
		.amdhsa_system_sgpr_workgroup_id_z 0
		.amdhsa_system_sgpr_workgroup_info 0
		.amdhsa_system_vgpr_workitem_id 0
		.amdhsa_next_free_vgpr 10
		.amdhsa_next_free_sgpr 10
		.amdhsa_accum_offset 12
		.amdhsa_reserve_vcc 1
		.amdhsa_float_round_mode_32 0
		.amdhsa_float_round_mode_16_64 0
		.amdhsa_float_denorm_mode_32 3
		.amdhsa_float_denorm_mode_16_64 3
		.amdhsa_dx10_clamp 1
		.amdhsa_ieee_mode 1
		.amdhsa_fp16_overflow 0
		.amdhsa_tg_split 0
		.amdhsa_exception_fp_ieee_invalid_op 0
		.amdhsa_exception_fp_denorm_src 0
		.amdhsa_exception_fp_ieee_div_zero 0
		.amdhsa_exception_fp_ieee_overflow 0
		.amdhsa_exception_fp_ieee_underflow 0
		.amdhsa_exception_fp_ieee_inexact 0
		.amdhsa_exception_int_div_zero 0
	.end_amdhsa_kernel
	.section	.text._ZN9rocsparseL23sddmm_csx_sample_kernelILi512ELi32EL20rocsparse_direction_1EdiidEEvT4_S2_T3_PKT5_S2_PS4_PKS3_PKS2_21rocsparse_index_base_,"axG",@progbits,_ZN9rocsparseL23sddmm_csx_sample_kernelILi512ELi32EL20rocsparse_direction_1EdiidEEvT4_S2_T3_PKT5_S2_PS4_PKS3_PKS2_21rocsparse_index_base_,comdat
.Lfunc_end35:
	.size	_ZN9rocsparseL23sddmm_csx_sample_kernelILi512ELi32EL20rocsparse_direction_1EdiidEEvT4_S2_T3_PKT5_S2_PS4_PKS3_PKS2_21rocsparse_index_base_, .Lfunc_end35-_ZN9rocsparseL23sddmm_csx_sample_kernelILi512ELi32EL20rocsparse_direction_1EdiidEEvT4_S2_T3_PKT5_S2_PS4_PKS3_PKS2_21rocsparse_index_base_
                                        ; -- End function
	.set _ZN9rocsparseL23sddmm_csx_sample_kernelILi512ELi32EL20rocsparse_direction_1EdiidEEvT4_S2_T3_PKT5_S2_PS4_PKS3_PKS2_21rocsparse_index_base_.num_vgpr, 10
	.set _ZN9rocsparseL23sddmm_csx_sample_kernelILi512ELi32EL20rocsparse_direction_1EdiidEEvT4_S2_T3_PKT5_S2_PS4_PKS3_PKS2_21rocsparse_index_base_.num_agpr, 0
	.set _ZN9rocsparseL23sddmm_csx_sample_kernelILi512ELi32EL20rocsparse_direction_1EdiidEEvT4_S2_T3_PKT5_S2_PS4_PKS3_PKS2_21rocsparse_index_base_.numbered_sgpr, 10
	.set _ZN9rocsparseL23sddmm_csx_sample_kernelILi512ELi32EL20rocsparse_direction_1EdiidEEvT4_S2_T3_PKT5_S2_PS4_PKS3_PKS2_21rocsparse_index_base_.num_named_barrier, 0
	.set _ZN9rocsparseL23sddmm_csx_sample_kernelILi512ELi32EL20rocsparse_direction_1EdiidEEvT4_S2_T3_PKT5_S2_PS4_PKS3_PKS2_21rocsparse_index_base_.private_seg_size, 0
	.set _ZN9rocsparseL23sddmm_csx_sample_kernelILi512ELi32EL20rocsparse_direction_1EdiidEEvT4_S2_T3_PKT5_S2_PS4_PKS3_PKS2_21rocsparse_index_base_.uses_vcc, 1
	.set _ZN9rocsparseL23sddmm_csx_sample_kernelILi512ELi32EL20rocsparse_direction_1EdiidEEvT4_S2_T3_PKT5_S2_PS4_PKS3_PKS2_21rocsparse_index_base_.uses_flat_scratch, 0
	.set _ZN9rocsparseL23sddmm_csx_sample_kernelILi512ELi32EL20rocsparse_direction_1EdiidEEvT4_S2_T3_PKT5_S2_PS4_PKS3_PKS2_21rocsparse_index_base_.has_dyn_sized_stack, 0
	.set _ZN9rocsparseL23sddmm_csx_sample_kernelILi512ELi32EL20rocsparse_direction_1EdiidEEvT4_S2_T3_PKT5_S2_PS4_PKS3_PKS2_21rocsparse_index_base_.has_recursion, 0
	.set _ZN9rocsparseL23sddmm_csx_sample_kernelILi512ELi32EL20rocsparse_direction_1EdiidEEvT4_S2_T3_PKT5_S2_PS4_PKS3_PKS2_21rocsparse_index_base_.has_indirect_call, 0
	.section	.AMDGPU.csdata,"",@progbits
; Kernel info:
; codeLenInByte = 284
; TotalNumSgprs: 16
; NumVgprs: 10
; NumAgprs: 0
; TotalNumVgprs: 10
; ScratchSize: 0
; MemoryBound: 0
; FloatMode: 240
; IeeeMode: 1
; LDSByteSize: 0 bytes/workgroup (compile time only)
; SGPRBlocks: 1
; VGPRBlocks: 1
; NumSGPRsForWavesPerEU: 16
; NumVGPRsForWavesPerEU: 10
; AccumOffset: 12
; Occupancy: 8
; WaveLimiterHint : 1
; COMPUTE_PGM_RSRC2:SCRATCH_EN: 0
; COMPUTE_PGM_RSRC2:USER_SGPR: 2
; COMPUTE_PGM_RSRC2:TRAP_HANDLER: 0
; COMPUTE_PGM_RSRC2:TGID_X_EN: 1
; COMPUTE_PGM_RSRC2:TGID_Y_EN: 0
; COMPUTE_PGM_RSRC2:TGID_Z_EN: 0
; COMPUTE_PGM_RSRC2:TIDIG_COMP_CNT: 0
; COMPUTE_PGM_RSRC3_GFX90A:ACCUM_OFFSET: 2
; COMPUTE_PGM_RSRC3_GFX90A:TG_SPLIT: 0
	.section	.text._ZN9rocsparseL23sddmm_csx_sample_kernelILi512ELi16EL20rocsparse_direction_1EdiidEEvT4_S2_T3_PKT5_S2_PS4_PKS3_PKS2_21rocsparse_index_base_,"axG",@progbits,_ZN9rocsparseL23sddmm_csx_sample_kernelILi512ELi16EL20rocsparse_direction_1EdiidEEvT4_S2_T3_PKT5_S2_PS4_PKS3_PKS2_21rocsparse_index_base_,comdat
	.globl	_ZN9rocsparseL23sddmm_csx_sample_kernelILi512ELi16EL20rocsparse_direction_1EdiidEEvT4_S2_T3_PKT5_S2_PS4_PKS3_PKS2_21rocsparse_index_base_ ; -- Begin function _ZN9rocsparseL23sddmm_csx_sample_kernelILi512ELi16EL20rocsparse_direction_1EdiidEEvT4_S2_T3_PKT5_S2_PS4_PKS3_PKS2_21rocsparse_index_base_
	.p2align	8
	.type	_ZN9rocsparseL23sddmm_csx_sample_kernelILi512ELi16EL20rocsparse_direction_1EdiidEEvT4_S2_T3_PKT5_S2_PS4_PKS3_PKS2_21rocsparse_index_base_,@function
_ZN9rocsparseL23sddmm_csx_sample_kernelILi512ELi16EL20rocsparse_direction_1EdiidEEvT4_S2_T3_PKT5_S2_PS4_PKS3_PKS2_21rocsparse_index_base_: ; @_ZN9rocsparseL23sddmm_csx_sample_kernelILi512ELi16EL20rocsparse_direction_1EdiidEEvT4_S2_T3_PKT5_S2_PS4_PKS3_PKS2_21rocsparse_index_base_
; %bb.0:
	s_load_dword s3, s[0:1], 0x4
	v_lshrrev_b32_e32 v1, 4, v0
	v_lshl_or_b32 v2, s2, 5, v1
	s_waitcnt lgkmcnt(0)
	v_cmp_gt_u32_e32 vcc, s3, v2
	s_and_saveexec_b64 s[2:3], vcc
	s_cbranch_execz .LBB36_4
; %bb.1:
	s_load_dwordx2 s[2:3], s[0:1], 0x28
	s_load_dword s4, s[0:1], 0x38
	v_mov_b32_e32 v3, 0
	v_and_b32_e32 v0, 15, v0
	s_waitcnt lgkmcnt(0)
	v_lshl_add_u64 v[4:5], v[2:3], 2, s[2:3]
	global_load_dwordx2 v[4:5], v[4:5], off
	v_subrev_u32_e32 v0, s4, v0
	s_waitcnt vmcnt(0)
	v_add_u32_e32 v0, v0, v4
	v_subrev_u32_e32 v6, s4, v5
	v_cmp_lt_i32_e32 vcc, v0, v6
	s_and_b64 exec, exec, vcc
	s_cbranch_execz .LBB36_4
; %bb.2:
	s_load_dwordx2 s[6:7], s[0:1], 0x30
	s_load_dword s5, s[0:1], 0x18
	s_load_dwordx2 s[8:9], s[0:1], 0x20
	s_load_dwordx2 s[2:3], s[0:1], 0x10
	v_ashrrev_i32_e32 v1, 31, v0
	s_mov_b64 s[0:1], 0
	s_waitcnt lgkmcnt(0)
	v_mul_lo_u32 v2, s5, v2
	v_subrev_u32_e32 v7, s4, v2
	v_lshl_add_u64 v[2:3], v[0:1], 2, s[6:7]
	v_lshl_add_u64 v[4:5], v[0:1], 3, s[8:9]
	s_mov_b64 s[4:5], 0x80
.LBB36_3:                               ; =>This Inner Loop Header: Depth=1
	global_load_dword v1, v[2:3], off
	v_add_u32_e32 v0, 16, v0
	v_cmp_ge_i32_e32 vcc, v0, v6
	v_lshl_add_u64 v[2:3], v[2:3], 0, 64
	s_or_b64 s[0:1], vcc, s[0:1]
	s_waitcnt vmcnt(0)
	v_add_u32_e32 v8, v7, v1
	v_ashrrev_i32_e32 v9, 31, v8
	v_lshl_add_u64 v[8:9], v[8:9], 3, s[2:3]
	global_load_dwordx2 v[8:9], v[8:9], off
	s_waitcnt vmcnt(0)
	global_store_dwordx2 v[4:5], v[8:9], off
	v_lshl_add_u64 v[4:5], v[4:5], 0, s[4:5]
	s_andn2_b64 exec, exec, s[0:1]
	s_cbranch_execnz .LBB36_3
.LBB36_4:
	s_endpgm
	.section	.rodata,"a",@progbits
	.p2align	6, 0x0
	.amdhsa_kernel _ZN9rocsparseL23sddmm_csx_sample_kernelILi512ELi16EL20rocsparse_direction_1EdiidEEvT4_S2_T3_PKT5_S2_PS4_PKS3_PKS2_21rocsparse_index_base_
		.amdhsa_group_segment_fixed_size 0
		.amdhsa_private_segment_fixed_size 0
		.amdhsa_kernarg_size 60
		.amdhsa_user_sgpr_count 2
		.amdhsa_user_sgpr_dispatch_ptr 0
		.amdhsa_user_sgpr_queue_ptr 0
		.amdhsa_user_sgpr_kernarg_segment_ptr 1
		.amdhsa_user_sgpr_dispatch_id 0
		.amdhsa_user_sgpr_kernarg_preload_length 0
		.amdhsa_user_sgpr_kernarg_preload_offset 0
		.amdhsa_user_sgpr_private_segment_size 0
		.amdhsa_uses_dynamic_stack 0
		.amdhsa_enable_private_segment 0
		.amdhsa_system_sgpr_workgroup_id_x 1
		.amdhsa_system_sgpr_workgroup_id_y 0
		.amdhsa_system_sgpr_workgroup_id_z 0
		.amdhsa_system_sgpr_workgroup_info 0
		.amdhsa_system_vgpr_workitem_id 0
		.amdhsa_next_free_vgpr 10
		.amdhsa_next_free_sgpr 10
		.amdhsa_accum_offset 12
		.amdhsa_reserve_vcc 1
		.amdhsa_float_round_mode_32 0
		.amdhsa_float_round_mode_16_64 0
		.amdhsa_float_denorm_mode_32 3
		.amdhsa_float_denorm_mode_16_64 3
		.amdhsa_dx10_clamp 1
		.amdhsa_ieee_mode 1
		.amdhsa_fp16_overflow 0
		.amdhsa_tg_split 0
		.amdhsa_exception_fp_ieee_invalid_op 0
		.amdhsa_exception_fp_denorm_src 0
		.amdhsa_exception_fp_ieee_div_zero 0
		.amdhsa_exception_fp_ieee_overflow 0
		.amdhsa_exception_fp_ieee_underflow 0
		.amdhsa_exception_fp_ieee_inexact 0
		.amdhsa_exception_int_div_zero 0
	.end_amdhsa_kernel
	.section	.text._ZN9rocsparseL23sddmm_csx_sample_kernelILi512ELi16EL20rocsparse_direction_1EdiidEEvT4_S2_T3_PKT5_S2_PS4_PKS3_PKS2_21rocsparse_index_base_,"axG",@progbits,_ZN9rocsparseL23sddmm_csx_sample_kernelILi512ELi16EL20rocsparse_direction_1EdiidEEvT4_S2_T3_PKT5_S2_PS4_PKS3_PKS2_21rocsparse_index_base_,comdat
.Lfunc_end36:
	.size	_ZN9rocsparseL23sddmm_csx_sample_kernelILi512ELi16EL20rocsparse_direction_1EdiidEEvT4_S2_T3_PKT5_S2_PS4_PKS3_PKS2_21rocsparse_index_base_, .Lfunc_end36-_ZN9rocsparseL23sddmm_csx_sample_kernelILi512ELi16EL20rocsparse_direction_1EdiidEEvT4_S2_T3_PKT5_S2_PS4_PKS3_PKS2_21rocsparse_index_base_
                                        ; -- End function
	.set _ZN9rocsparseL23sddmm_csx_sample_kernelILi512ELi16EL20rocsparse_direction_1EdiidEEvT4_S2_T3_PKT5_S2_PS4_PKS3_PKS2_21rocsparse_index_base_.num_vgpr, 10
	.set _ZN9rocsparseL23sddmm_csx_sample_kernelILi512ELi16EL20rocsparse_direction_1EdiidEEvT4_S2_T3_PKT5_S2_PS4_PKS3_PKS2_21rocsparse_index_base_.num_agpr, 0
	.set _ZN9rocsparseL23sddmm_csx_sample_kernelILi512ELi16EL20rocsparse_direction_1EdiidEEvT4_S2_T3_PKT5_S2_PS4_PKS3_PKS2_21rocsparse_index_base_.numbered_sgpr, 10
	.set _ZN9rocsparseL23sddmm_csx_sample_kernelILi512ELi16EL20rocsparse_direction_1EdiidEEvT4_S2_T3_PKT5_S2_PS4_PKS3_PKS2_21rocsparse_index_base_.num_named_barrier, 0
	.set _ZN9rocsparseL23sddmm_csx_sample_kernelILi512ELi16EL20rocsparse_direction_1EdiidEEvT4_S2_T3_PKT5_S2_PS4_PKS3_PKS2_21rocsparse_index_base_.private_seg_size, 0
	.set _ZN9rocsparseL23sddmm_csx_sample_kernelILi512ELi16EL20rocsparse_direction_1EdiidEEvT4_S2_T3_PKT5_S2_PS4_PKS3_PKS2_21rocsparse_index_base_.uses_vcc, 1
	.set _ZN9rocsparseL23sddmm_csx_sample_kernelILi512ELi16EL20rocsparse_direction_1EdiidEEvT4_S2_T3_PKT5_S2_PS4_PKS3_PKS2_21rocsparse_index_base_.uses_flat_scratch, 0
	.set _ZN9rocsparseL23sddmm_csx_sample_kernelILi512ELi16EL20rocsparse_direction_1EdiidEEvT4_S2_T3_PKT5_S2_PS4_PKS3_PKS2_21rocsparse_index_base_.has_dyn_sized_stack, 0
	.set _ZN9rocsparseL23sddmm_csx_sample_kernelILi512ELi16EL20rocsparse_direction_1EdiidEEvT4_S2_T3_PKT5_S2_PS4_PKS3_PKS2_21rocsparse_index_base_.has_recursion, 0
	.set _ZN9rocsparseL23sddmm_csx_sample_kernelILi512ELi16EL20rocsparse_direction_1EdiidEEvT4_S2_T3_PKT5_S2_PS4_PKS3_PKS2_21rocsparse_index_base_.has_indirect_call, 0
	.section	.AMDGPU.csdata,"",@progbits
; Kernel info:
; codeLenInByte = 276
; TotalNumSgprs: 16
; NumVgprs: 10
; NumAgprs: 0
; TotalNumVgprs: 10
; ScratchSize: 0
; MemoryBound: 0
; FloatMode: 240
; IeeeMode: 1
; LDSByteSize: 0 bytes/workgroup (compile time only)
; SGPRBlocks: 1
; VGPRBlocks: 1
; NumSGPRsForWavesPerEU: 16
; NumVGPRsForWavesPerEU: 10
; AccumOffset: 12
; Occupancy: 8
; WaveLimiterHint : 1
; COMPUTE_PGM_RSRC2:SCRATCH_EN: 0
; COMPUTE_PGM_RSRC2:USER_SGPR: 2
; COMPUTE_PGM_RSRC2:TRAP_HANDLER: 0
; COMPUTE_PGM_RSRC2:TGID_X_EN: 1
; COMPUTE_PGM_RSRC2:TGID_Y_EN: 0
; COMPUTE_PGM_RSRC2:TGID_Z_EN: 0
; COMPUTE_PGM_RSRC2:TIDIG_COMP_CNT: 0
; COMPUTE_PGM_RSRC3_GFX90A:ACCUM_OFFSET: 2
; COMPUTE_PGM_RSRC3_GFX90A:TG_SPLIT: 0
	.section	.text._ZN9rocsparseL23sddmm_csx_sample_kernelILi512ELi8EL20rocsparse_direction_1EdiidEEvT4_S2_T3_PKT5_S2_PS4_PKS3_PKS2_21rocsparse_index_base_,"axG",@progbits,_ZN9rocsparseL23sddmm_csx_sample_kernelILi512ELi8EL20rocsparse_direction_1EdiidEEvT4_S2_T3_PKT5_S2_PS4_PKS3_PKS2_21rocsparse_index_base_,comdat
	.globl	_ZN9rocsparseL23sddmm_csx_sample_kernelILi512ELi8EL20rocsparse_direction_1EdiidEEvT4_S2_T3_PKT5_S2_PS4_PKS3_PKS2_21rocsparse_index_base_ ; -- Begin function _ZN9rocsparseL23sddmm_csx_sample_kernelILi512ELi8EL20rocsparse_direction_1EdiidEEvT4_S2_T3_PKT5_S2_PS4_PKS3_PKS2_21rocsparse_index_base_
	.p2align	8
	.type	_ZN9rocsparseL23sddmm_csx_sample_kernelILi512ELi8EL20rocsparse_direction_1EdiidEEvT4_S2_T3_PKT5_S2_PS4_PKS3_PKS2_21rocsparse_index_base_,@function
_ZN9rocsparseL23sddmm_csx_sample_kernelILi512ELi8EL20rocsparse_direction_1EdiidEEvT4_S2_T3_PKT5_S2_PS4_PKS3_PKS2_21rocsparse_index_base_: ; @_ZN9rocsparseL23sddmm_csx_sample_kernelILi512ELi8EL20rocsparse_direction_1EdiidEEvT4_S2_T3_PKT5_S2_PS4_PKS3_PKS2_21rocsparse_index_base_
; %bb.0:
	s_load_dword s3, s[0:1], 0x4
	v_lshrrev_b32_e32 v1, 3, v0
	v_lshl_or_b32 v2, s2, 6, v1
	s_waitcnt lgkmcnt(0)
	v_cmp_gt_u32_e32 vcc, s3, v2
	s_and_saveexec_b64 s[2:3], vcc
	s_cbranch_execz .LBB37_4
; %bb.1:
	s_load_dwordx2 s[2:3], s[0:1], 0x28
	s_load_dword s4, s[0:1], 0x38
	v_mov_b32_e32 v3, 0
	v_and_b32_e32 v0, 7, v0
	s_waitcnt lgkmcnt(0)
	v_lshl_add_u64 v[4:5], v[2:3], 2, s[2:3]
	global_load_dwordx2 v[4:5], v[4:5], off
	v_subrev_u32_e32 v0, s4, v0
	s_waitcnt vmcnt(0)
	v_add_u32_e32 v0, v0, v4
	v_subrev_u32_e32 v6, s4, v5
	v_cmp_lt_i32_e32 vcc, v0, v6
	s_and_b64 exec, exec, vcc
	s_cbranch_execz .LBB37_4
; %bb.2:
	s_load_dwordx2 s[6:7], s[0:1], 0x30
	s_load_dword s5, s[0:1], 0x18
	s_load_dwordx2 s[8:9], s[0:1], 0x20
	s_load_dwordx2 s[2:3], s[0:1], 0x10
	v_ashrrev_i32_e32 v1, 31, v0
	s_mov_b64 s[0:1], 0
	s_waitcnt lgkmcnt(0)
	v_mul_lo_u32 v2, s5, v2
	v_subrev_u32_e32 v7, s4, v2
	v_lshl_add_u64 v[2:3], v[0:1], 2, s[6:7]
	v_lshl_add_u64 v[4:5], v[0:1], 3, s[8:9]
.LBB37_3:                               ; =>This Inner Loop Header: Depth=1
	global_load_dword v1, v[2:3], off
	v_add_u32_e32 v0, 8, v0
	v_cmp_ge_i32_e32 vcc, v0, v6
	v_lshl_add_u64 v[2:3], v[2:3], 0, 32
	s_or_b64 s[0:1], vcc, s[0:1]
	s_waitcnt vmcnt(0)
	v_add_u32_e32 v8, v7, v1
	v_ashrrev_i32_e32 v9, 31, v8
	v_lshl_add_u64 v[8:9], v[8:9], 3, s[2:3]
	global_load_dwordx2 v[8:9], v[8:9], off
	s_waitcnt vmcnt(0)
	global_store_dwordx2 v[4:5], v[8:9], off
	v_lshl_add_u64 v[4:5], v[4:5], 0, 64
	s_andn2_b64 exec, exec, s[0:1]
	s_cbranch_execnz .LBB37_3
.LBB37_4:
	s_endpgm
	.section	.rodata,"a",@progbits
	.p2align	6, 0x0
	.amdhsa_kernel _ZN9rocsparseL23sddmm_csx_sample_kernelILi512ELi8EL20rocsparse_direction_1EdiidEEvT4_S2_T3_PKT5_S2_PS4_PKS3_PKS2_21rocsparse_index_base_
		.amdhsa_group_segment_fixed_size 0
		.amdhsa_private_segment_fixed_size 0
		.amdhsa_kernarg_size 60
		.amdhsa_user_sgpr_count 2
		.amdhsa_user_sgpr_dispatch_ptr 0
		.amdhsa_user_sgpr_queue_ptr 0
		.amdhsa_user_sgpr_kernarg_segment_ptr 1
		.amdhsa_user_sgpr_dispatch_id 0
		.amdhsa_user_sgpr_kernarg_preload_length 0
		.amdhsa_user_sgpr_kernarg_preload_offset 0
		.amdhsa_user_sgpr_private_segment_size 0
		.amdhsa_uses_dynamic_stack 0
		.amdhsa_enable_private_segment 0
		.amdhsa_system_sgpr_workgroup_id_x 1
		.amdhsa_system_sgpr_workgroup_id_y 0
		.amdhsa_system_sgpr_workgroup_id_z 0
		.amdhsa_system_sgpr_workgroup_info 0
		.amdhsa_system_vgpr_workitem_id 0
		.amdhsa_next_free_vgpr 10
		.amdhsa_next_free_sgpr 10
		.amdhsa_accum_offset 12
		.amdhsa_reserve_vcc 1
		.amdhsa_float_round_mode_32 0
		.amdhsa_float_round_mode_16_64 0
		.amdhsa_float_denorm_mode_32 3
		.amdhsa_float_denorm_mode_16_64 3
		.amdhsa_dx10_clamp 1
		.amdhsa_ieee_mode 1
		.amdhsa_fp16_overflow 0
		.amdhsa_tg_split 0
		.amdhsa_exception_fp_ieee_invalid_op 0
		.amdhsa_exception_fp_denorm_src 0
		.amdhsa_exception_fp_ieee_div_zero 0
		.amdhsa_exception_fp_ieee_overflow 0
		.amdhsa_exception_fp_ieee_underflow 0
		.amdhsa_exception_fp_ieee_inexact 0
		.amdhsa_exception_int_div_zero 0
	.end_amdhsa_kernel
	.section	.text._ZN9rocsparseL23sddmm_csx_sample_kernelILi512ELi8EL20rocsparse_direction_1EdiidEEvT4_S2_T3_PKT5_S2_PS4_PKS3_PKS2_21rocsparse_index_base_,"axG",@progbits,_ZN9rocsparseL23sddmm_csx_sample_kernelILi512ELi8EL20rocsparse_direction_1EdiidEEvT4_S2_T3_PKT5_S2_PS4_PKS3_PKS2_21rocsparse_index_base_,comdat
.Lfunc_end37:
	.size	_ZN9rocsparseL23sddmm_csx_sample_kernelILi512ELi8EL20rocsparse_direction_1EdiidEEvT4_S2_T3_PKT5_S2_PS4_PKS3_PKS2_21rocsparse_index_base_, .Lfunc_end37-_ZN9rocsparseL23sddmm_csx_sample_kernelILi512ELi8EL20rocsparse_direction_1EdiidEEvT4_S2_T3_PKT5_S2_PS4_PKS3_PKS2_21rocsparse_index_base_
                                        ; -- End function
	.set _ZN9rocsparseL23sddmm_csx_sample_kernelILi512ELi8EL20rocsparse_direction_1EdiidEEvT4_S2_T3_PKT5_S2_PS4_PKS3_PKS2_21rocsparse_index_base_.num_vgpr, 10
	.set _ZN9rocsparseL23sddmm_csx_sample_kernelILi512ELi8EL20rocsparse_direction_1EdiidEEvT4_S2_T3_PKT5_S2_PS4_PKS3_PKS2_21rocsparse_index_base_.num_agpr, 0
	.set _ZN9rocsparseL23sddmm_csx_sample_kernelILi512ELi8EL20rocsparse_direction_1EdiidEEvT4_S2_T3_PKT5_S2_PS4_PKS3_PKS2_21rocsparse_index_base_.numbered_sgpr, 10
	.set _ZN9rocsparseL23sddmm_csx_sample_kernelILi512ELi8EL20rocsparse_direction_1EdiidEEvT4_S2_T3_PKT5_S2_PS4_PKS3_PKS2_21rocsparse_index_base_.num_named_barrier, 0
	.set _ZN9rocsparseL23sddmm_csx_sample_kernelILi512ELi8EL20rocsparse_direction_1EdiidEEvT4_S2_T3_PKT5_S2_PS4_PKS3_PKS2_21rocsparse_index_base_.private_seg_size, 0
	.set _ZN9rocsparseL23sddmm_csx_sample_kernelILi512ELi8EL20rocsparse_direction_1EdiidEEvT4_S2_T3_PKT5_S2_PS4_PKS3_PKS2_21rocsparse_index_base_.uses_vcc, 1
	.set _ZN9rocsparseL23sddmm_csx_sample_kernelILi512ELi8EL20rocsparse_direction_1EdiidEEvT4_S2_T3_PKT5_S2_PS4_PKS3_PKS2_21rocsparse_index_base_.uses_flat_scratch, 0
	.set _ZN9rocsparseL23sddmm_csx_sample_kernelILi512ELi8EL20rocsparse_direction_1EdiidEEvT4_S2_T3_PKT5_S2_PS4_PKS3_PKS2_21rocsparse_index_base_.has_dyn_sized_stack, 0
	.set _ZN9rocsparseL23sddmm_csx_sample_kernelILi512ELi8EL20rocsparse_direction_1EdiidEEvT4_S2_T3_PKT5_S2_PS4_PKS3_PKS2_21rocsparse_index_base_.has_recursion, 0
	.set _ZN9rocsparseL23sddmm_csx_sample_kernelILi512ELi8EL20rocsparse_direction_1EdiidEEvT4_S2_T3_PKT5_S2_PS4_PKS3_PKS2_21rocsparse_index_base_.has_indirect_call, 0
	.section	.AMDGPU.csdata,"",@progbits
; Kernel info:
; codeLenInByte = 268
; TotalNumSgprs: 16
; NumVgprs: 10
; NumAgprs: 0
; TotalNumVgprs: 10
; ScratchSize: 0
; MemoryBound: 0
; FloatMode: 240
; IeeeMode: 1
; LDSByteSize: 0 bytes/workgroup (compile time only)
; SGPRBlocks: 1
; VGPRBlocks: 1
; NumSGPRsForWavesPerEU: 16
; NumVGPRsForWavesPerEU: 10
; AccumOffset: 12
; Occupancy: 8
; WaveLimiterHint : 1
; COMPUTE_PGM_RSRC2:SCRATCH_EN: 0
; COMPUTE_PGM_RSRC2:USER_SGPR: 2
; COMPUTE_PGM_RSRC2:TRAP_HANDLER: 0
; COMPUTE_PGM_RSRC2:TGID_X_EN: 1
; COMPUTE_PGM_RSRC2:TGID_Y_EN: 0
; COMPUTE_PGM_RSRC2:TGID_Z_EN: 0
; COMPUTE_PGM_RSRC2:TIDIG_COMP_CNT: 0
; COMPUTE_PGM_RSRC3_GFX90A:ACCUM_OFFSET: 2
; COMPUTE_PGM_RSRC3_GFX90A:TG_SPLIT: 0
	.section	.text._ZN9rocsparseL23sddmm_csx_sample_kernelILi512ELi4EL20rocsparse_direction_1EdiidEEvT4_S2_T3_PKT5_S2_PS4_PKS3_PKS2_21rocsparse_index_base_,"axG",@progbits,_ZN9rocsparseL23sddmm_csx_sample_kernelILi512ELi4EL20rocsparse_direction_1EdiidEEvT4_S2_T3_PKT5_S2_PS4_PKS3_PKS2_21rocsparse_index_base_,comdat
	.globl	_ZN9rocsparseL23sddmm_csx_sample_kernelILi512ELi4EL20rocsparse_direction_1EdiidEEvT4_S2_T3_PKT5_S2_PS4_PKS3_PKS2_21rocsparse_index_base_ ; -- Begin function _ZN9rocsparseL23sddmm_csx_sample_kernelILi512ELi4EL20rocsparse_direction_1EdiidEEvT4_S2_T3_PKT5_S2_PS4_PKS3_PKS2_21rocsparse_index_base_
	.p2align	8
	.type	_ZN9rocsparseL23sddmm_csx_sample_kernelILi512ELi4EL20rocsparse_direction_1EdiidEEvT4_S2_T3_PKT5_S2_PS4_PKS3_PKS2_21rocsparse_index_base_,@function
_ZN9rocsparseL23sddmm_csx_sample_kernelILi512ELi4EL20rocsparse_direction_1EdiidEEvT4_S2_T3_PKT5_S2_PS4_PKS3_PKS2_21rocsparse_index_base_: ; @_ZN9rocsparseL23sddmm_csx_sample_kernelILi512ELi4EL20rocsparse_direction_1EdiidEEvT4_S2_T3_PKT5_S2_PS4_PKS3_PKS2_21rocsparse_index_base_
; %bb.0:
	s_load_dword s3, s[0:1], 0x4
	v_lshrrev_b32_e32 v1, 2, v0
	v_lshl_or_b32 v2, s2, 7, v1
	s_waitcnt lgkmcnt(0)
	v_cmp_gt_u32_e32 vcc, s3, v2
	s_and_saveexec_b64 s[2:3], vcc
	s_cbranch_execz .LBB38_4
; %bb.1:
	s_load_dwordx2 s[2:3], s[0:1], 0x28
	s_load_dword s4, s[0:1], 0x38
	v_mov_b32_e32 v3, 0
	v_and_b32_e32 v0, 3, v0
	s_waitcnt lgkmcnt(0)
	v_lshl_add_u64 v[4:5], v[2:3], 2, s[2:3]
	global_load_dwordx2 v[4:5], v[4:5], off
	v_subrev_u32_e32 v0, s4, v0
	s_waitcnt vmcnt(0)
	v_add_u32_e32 v0, v0, v4
	v_subrev_u32_e32 v6, s4, v5
	v_cmp_lt_i32_e32 vcc, v0, v6
	s_and_b64 exec, exec, vcc
	s_cbranch_execz .LBB38_4
; %bb.2:
	s_load_dwordx2 s[6:7], s[0:1], 0x30
	s_load_dword s5, s[0:1], 0x18
	s_load_dwordx2 s[8:9], s[0:1], 0x20
	s_load_dwordx2 s[2:3], s[0:1], 0x10
	v_ashrrev_i32_e32 v1, 31, v0
	s_mov_b64 s[0:1], 0
	s_waitcnt lgkmcnt(0)
	v_mul_lo_u32 v2, s5, v2
	v_subrev_u32_e32 v7, s4, v2
	v_lshl_add_u64 v[2:3], v[0:1], 2, s[6:7]
	v_lshl_add_u64 v[4:5], v[0:1], 3, s[8:9]
.LBB38_3:                               ; =>This Inner Loop Header: Depth=1
	global_load_dword v1, v[2:3], off
	v_add_u32_e32 v0, 4, v0
	v_cmp_ge_i32_e32 vcc, v0, v6
	v_lshl_add_u64 v[2:3], v[2:3], 0, 16
	s_or_b64 s[0:1], vcc, s[0:1]
	s_waitcnt vmcnt(0)
	v_add_u32_e32 v8, v7, v1
	v_ashrrev_i32_e32 v9, 31, v8
	v_lshl_add_u64 v[8:9], v[8:9], 3, s[2:3]
	global_load_dwordx2 v[8:9], v[8:9], off
	s_waitcnt vmcnt(0)
	global_store_dwordx2 v[4:5], v[8:9], off
	v_lshl_add_u64 v[4:5], v[4:5], 0, 32
	s_andn2_b64 exec, exec, s[0:1]
	s_cbranch_execnz .LBB38_3
.LBB38_4:
	s_endpgm
	.section	.rodata,"a",@progbits
	.p2align	6, 0x0
	.amdhsa_kernel _ZN9rocsparseL23sddmm_csx_sample_kernelILi512ELi4EL20rocsparse_direction_1EdiidEEvT4_S2_T3_PKT5_S2_PS4_PKS3_PKS2_21rocsparse_index_base_
		.amdhsa_group_segment_fixed_size 0
		.amdhsa_private_segment_fixed_size 0
		.amdhsa_kernarg_size 60
		.amdhsa_user_sgpr_count 2
		.amdhsa_user_sgpr_dispatch_ptr 0
		.amdhsa_user_sgpr_queue_ptr 0
		.amdhsa_user_sgpr_kernarg_segment_ptr 1
		.amdhsa_user_sgpr_dispatch_id 0
		.amdhsa_user_sgpr_kernarg_preload_length 0
		.amdhsa_user_sgpr_kernarg_preload_offset 0
		.amdhsa_user_sgpr_private_segment_size 0
		.amdhsa_uses_dynamic_stack 0
		.amdhsa_enable_private_segment 0
		.amdhsa_system_sgpr_workgroup_id_x 1
		.amdhsa_system_sgpr_workgroup_id_y 0
		.amdhsa_system_sgpr_workgroup_id_z 0
		.amdhsa_system_sgpr_workgroup_info 0
		.amdhsa_system_vgpr_workitem_id 0
		.amdhsa_next_free_vgpr 10
		.amdhsa_next_free_sgpr 10
		.amdhsa_accum_offset 12
		.amdhsa_reserve_vcc 1
		.amdhsa_float_round_mode_32 0
		.amdhsa_float_round_mode_16_64 0
		.amdhsa_float_denorm_mode_32 3
		.amdhsa_float_denorm_mode_16_64 3
		.amdhsa_dx10_clamp 1
		.amdhsa_ieee_mode 1
		.amdhsa_fp16_overflow 0
		.amdhsa_tg_split 0
		.amdhsa_exception_fp_ieee_invalid_op 0
		.amdhsa_exception_fp_denorm_src 0
		.amdhsa_exception_fp_ieee_div_zero 0
		.amdhsa_exception_fp_ieee_overflow 0
		.amdhsa_exception_fp_ieee_underflow 0
		.amdhsa_exception_fp_ieee_inexact 0
		.amdhsa_exception_int_div_zero 0
	.end_amdhsa_kernel
	.section	.text._ZN9rocsparseL23sddmm_csx_sample_kernelILi512ELi4EL20rocsparse_direction_1EdiidEEvT4_S2_T3_PKT5_S2_PS4_PKS3_PKS2_21rocsparse_index_base_,"axG",@progbits,_ZN9rocsparseL23sddmm_csx_sample_kernelILi512ELi4EL20rocsparse_direction_1EdiidEEvT4_S2_T3_PKT5_S2_PS4_PKS3_PKS2_21rocsparse_index_base_,comdat
.Lfunc_end38:
	.size	_ZN9rocsparseL23sddmm_csx_sample_kernelILi512ELi4EL20rocsparse_direction_1EdiidEEvT4_S2_T3_PKT5_S2_PS4_PKS3_PKS2_21rocsparse_index_base_, .Lfunc_end38-_ZN9rocsparseL23sddmm_csx_sample_kernelILi512ELi4EL20rocsparse_direction_1EdiidEEvT4_S2_T3_PKT5_S2_PS4_PKS3_PKS2_21rocsparse_index_base_
                                        ; -- End function
	.set _ZN9rocsparseL23sddmm_csx_sample_kernelILi512ELi4EL20rocsparse_direction_1EdiidEEvT4_S2_T3_PKT5_S2_PS4_PKS3_PKS2_21rocsparse_index_base_.num_vgpr, 10
	.set _ZN9rocsparseL23sddmm_csx_sample_kernelILi512ELi4EL20rocsparse_direction_1EdiidEEvT4_S2_T3_PKT5_S2_PS4_PKS3_PKS2_21rocsparse_index_base_.num_agpr, 0
	.set _ZN9rocsparseL23sddmm_csx_sample_kernelILi512ELi4EL20rocsparse_direction_1EdiidEEvT4_S2_T3_PKT5_S2_PS4_PKS3_PKS2_21rocsparse_index_base_.numbered_sgpr, 10
	.set _ZN9rocsparseL23sddmm_csx_sample_kernelILi512ELi4EL20rocsparse_direction_1EdiidEEvT4_S2_T3_PKT5_S2_PS4_PKS3_PKS2_21rocsparse_index_base_.num_named_barrier, 0
	.set _ZN9rocsparseL23sddmm_csx_sample_kernelILi512ELi4EL20rocsparse_direction_1EdiidEEvT4_S2_T3_PKT5_S2_PS4_PKS3_PKS2_21rocsparse_index_base_.private_seg_size, 0
	.set _ZN9rocsparseL23sddmm_csx_sample_kernelILi512ELi4EL20rocsparse_direction_1EdiidEEvT4_S2_T3_PKT5_S2_PS4_PKS3_PKS2_21rocsparse_index_base_.uses_vcc, 1
	.set _ZN9rocsparseL23sddmm_csx_sample_kernelILi512ELi4EL20rocsparse_direction_1EdiidEEvT4_S2_T3_PKT5_S2_PS4_PKS3_PKS2_21rocsparse_index_base_.uses_flat_scratch, 0
	.set _ZN9rocsparseL23sddmm_csx_sample_kernelILi512ELi4EL20rocsparse_direction_1EdiidEEvT4_S2_T3_PKT5_S2_PS4_PKS3_PKS2_21rocsparse_index_base_.has_dyn_sized_stack, 0
	.set _ZN9rocsparseL23sddmm_csx_sample_kernelILi512ELi4EL20rocsparse_direction_1EdiidEEvT4_S2_T3_PKT5_S2_PS4_PKS3_PKS2_21rocsparse_index_base_.has_recursion, 0
	.set _ZN9rocsparseL23sddmm_csx_sample_kernelILi512ELi4EL20rocsparse_direction_1EdiidEEvT4_S2_T3_PKT5_S2_PS4_PKS3_PKS2_21rocsparse_index_base_.has_indirect_call, 0
	.section	.AMDGPU.csdata,"",@progbits
; Kernel info:
; codeLenInByte = 268
; TotalNumSgprs: 16
; NumVgprs: 10
; NumAgprs: 0
; TotalNumVgprs: 10
; ScratchSize: 0
; MemoryBound: 0
; FloatMode: 240
; IeeeMode: 1
; LDSByteSize: 0 bytes/workgroup (compile time only)
; SGPRBlocks: 1
; VGPRBlocks: 1
; NumSGPRsForWavesPerEU: 16
; NumVGPRsForWavesPerEU: 10
; AccumOffset: 12
; Occupancy: 8
; WaveLimiterHint : 1
; COMPUTE_PGM_RSRC2:SCRATCH_EN: 0
; COMPUTE_PGM_RSRC2:USER_SGPR: 2
; COMPUTE_PGM_RSRC2:TRAP_HANDLER: 0
; COMPUTE_PGM_RSRC2:TGID_X_EN: 1
; COMPUTE_PGM_RSRC2:TGID_Y_EN: 0
; COMPUTE_PGM_RSRC2:TGID_Z_EN: 0
; COMPUTE_PGM_RSRC2:TIDIG_COMP_CNT: 0
; COMPUTE_PGM_RSRC3_GFX90A:ACCUM_OFFSET: 2
; COMPUTE_PGM_RSRC3_GFX90A:TG_SPLIT: 0
	.section	.text._ZN9rocsparseL23sddmm_csx_sample_kernelILi512ELi2EL20rocsparse_direction_1EdiidEEvT4_S2_T3_PKT5_S2_PS4_PKS3_PKS2_21rocsparse_index_base_,"axG",@progbits,_ZN9rocsparseL23sddmm_csx_sample_kernelILi512ELi2EL20rocsparse_direction_1EdiidEEvT4_S2_T3_PKT5_S2_PS4_PKS3_PKS2_21rocsparse_index_base_,comdat
	.globl	_ZN9rocsparseL23sddmm_csx_sample_kernelILi512ELi2EL20rocsparse_direction_1EdiidEEvT4_S2_T3_PKT5_S2_PS4_PKS3_PKS2_21rocsparse_index_base_ ; -- Begin function _ZN9rocsparseL23sddmm_csx_sample_kernelILi512ELi2EL20rocsparse_direction_1EdiidEEvT4_S2_T3_PKT5_S2_PS4_PKS3_PKS2_21rocsparse_index_base_
	.p2align	8
	.type	_ZN9rocsparseL23sddmm_csx_sample_kernelILi512ELi2EL20rocsparse_direction_1EdiidEEvT4_S2_T3_PKT5_S2_PS4_PKS3_PKS2_21rocsparse_index_base_,@function
_ZN9rocsparseL23sddmm_csx_sample_kernelILi512ELi2EL20rocsparse_direction_1EdiidEEvT4_S2_T3_PKT5_S2_PS4_PKS3_PKS2_21rocsparse_index_base_: ; @_ZN9rocsparseL23sddmm_csx_sample_kernelILi512ELi2EL20rocsparse_direction_1EdiidEEvT4_S2_T3_PKT5_S2_PS4_PKS3_PKS2_21rocsparse_index_base_
; %bb.0:
	s_load_dword s3, s[0:1], 0x4
	v_lshrrev_b32_e32 v1, 1, v0
	v_lshl_or_b32 v2, s2, 8, v1
	s_waitcnt lgkmcnt(0)
	v_cmp_gt_u32_e32 vcc, s3, v2
	s_and_saveexec_b64 s[2:3], vcc
	s_cbranch_execz .LBB39_4
; %bb.1:
	s_load_dwordx2 s[2:3], s[0:1], 0x28
	s_load_dword s4, s[0:1], 0x38
	v_mov_b32_e32 v3, 0
	v_and_b32_e32 v0, 1, v0
	s_waitcnt lgkmcnt(0)
	v_lshl_add_u64 v[4:5], v[2:3], 2, s[2:3]
	global_load_dwordx2 v[4:5], v[4:5], off
	v_subrev_u32_e32 v0, s4, v0
	s_waitcnt vmcnt(0)
	v_add_u32_e32 v0, v0, v4
	v_subrev_u32_e32 v6, s4, v5
	v_cmp_lt_i32_e32 vcc, v0, v6
	s_and_b64 exec, exec, vcc
	s_cbranch_execz .LBB39_4
; %bb.2:
	s_load_dwordx2 s[6:7], s[0:1], 0x30
	s_load_dword s5, s[0:1], 0x18
	s_load_dwordx2 s[8:9], s[0:1], 0x20
	s_load_dwordx2 s[2:3], s[0:1], 0x10
	v_ashrrev_i32_e32 v1, 31, v0
	s_mov_b64 s[0:1], 0
	s_waitcnt lgkmcnt(0)
	v_mul_lo_u32 v2, s5, v2
	v_subrev_u32_e32 v7, s4, v2
	v_lshl_add_u64 v[2:3], v[0:1], 2, s[6:7]
	v_lshl_add_u64 v[4:5], v[0:1], 3, s[8:9]
.LBB39_3:                               ; =>This Inner Loop Header: Depth=1
	global_load_dword v1, v[2:3], off
	v_add_u32_e32 v0, 2, v0
	v_cmp_ge_i32_e32 vcc, v0, v6
	v_lshl_add_u64 v[2:3], v[2:3], 0, 8
	s_or_b64 s[0:1], vcc, s[0:1]
	s_waitcnt vmcnt(0)
	v_add_u32_e32 v8, v7, v1
	v_ashrrev_i32_e32 v9, 31, v8
	v_lshl_add_u64 v[8:9], v[8:9], 3, s[2:3]
	global_load_dwordx2 v[8:9], v[8:9], off
	s_waitcnt vmcnt(0)
	global_store_dwordx2 v[4:5], v[8:9], off
	v_lshl_add_u64 v[4:5], v[4:5], 0, 16
	s_andn2_b64 exec, exec, s[0:1]
	s_cbranch_execnz .LBB39_3
.LBB39_4:
	s_endpgm
	.section	.rodata,"a",@progbits
	.p2align	6, 0x0
	.amdhsa_kernel _ZN9rocsparseL23sddmm_csx_sample_kernelILi512ELi2EL20rocsparse_direction_1EdiidEEvT4_S2_T3_PKT5_S2_PS4_PKS3_PKS2_21rocsparse_index_base_
		.amdhsa_group_segment_fixed_size 0
		.amdhsa_private_segment_fixed_size 0
		.amdhsa_kernarg_size 60
		.amdhsa_user_sgpr_count 2
		.amdhsa_user_sgpr_dispatch_ptr 0
		.amdhsa_user_sgpr_queue_ptr 0
		.amdhsa_user_sgpr_kernarg_segment_ptr 1
		.amdhsa_user_sgpr_dispatch_id 0
		.amdhsa_user_sgpr_kernarg_preload_length 0
		.amdhsa_user_sgpr_kernarg_preload_offset 0
		.amdhsa_user_sgpr_private_segment_size 0
		.amdhsa_uses_dynamic_stack 0
		.amdhsa_enable_private_segment 0
		.amdhsa_system_sgpr_workgroup_id_x 1
		.amdhsa_system_sgpr_workgroup_id_y 0
		.amdhsa_system_sgpr_workgroup_id_z 0
		.amdhsa_system_sgpr_workgroup_info 0
		.amdhsa_system_vgpr_workitem_id 0
		.amdhsa_next_free_vgpr 10
		.amdhsa_next_free_sgpr 10
		.amdhsa_accum_offset 12
		.amdhsa_reserve_vcc 1
		.amdhsa_float_round_mode_32 0
		.amdhsa_float_round_mode_16_64 0
		.amdhsa_float_denorm_mode_32 3
		.amdhsa_float_denorm_mode_16_64 3
		.amdhsa_dx10_clamp 1
		.amdhsa_ieee_mode 1
		.amdhsa_fp16_overflow 0
		.amdhsa_tg_split 0
		.amdhsa_exception_fp_ieee_invalid_op 0
		.amdhsa_exception_fp_denorm_src 0
		.amdhsa_exception_fp_ieee_div_zero 0
		.amdhsa_exception_fp_ieee_overflow 0
		.amdhsa_exception_fp_ieee_underflow 0
		.amdhsa_exception_fp_ieee_inexact 0
		.amdhsa_exception_int_div_zero 0
	.end_amdhsa_kernel
	.section	.text._ZN9rocsparseL23sddmm_csx_sample_kernelILi512ELi2EL20rocsparse_direction_1EdiidEEvT4_S2_T3_PKT5_S2_PS4_PKS3_PKS2_21rocsparse_index_base_,"axG",@progbits,_ZN9rocsparseL23sddmm_csx_sample_kernelILi512ELi2EL20rocsparse_direction_1EdiidEEvT4_S2_T3_PKT5_S2_PS4_PKS3_PKS2_21rocsparse_index_base_,comdat
.Lfunc_end39:
	.size	_ZN9rocsparseL23sddmm_csx_sample_kernelILi512ELi2EL20rocsparse_direction_1EdiidEEvT4_S2_T3_PKT5_S2_PS4_PKS3_PKS2_21rocsparse_index_base_, .Lfunc_end39-_ZN9rocsparseL23sddmm_csx_sample_kernelILi512ELi2EL20rocsparse_direction_1EdiidEEvT4_S2_T3_PKT5_S2_PS4_PKS3_PKS2_21rocsparse_index_base_
                                        ; -- End function
	.set _ZN9rocsparseL23sddmm_csx_sample_kernelILi512ELi2EL20rocsparse_direction_1EdiidEEvT4_S2_T3_PKT5_S2_PS4_PKS3_PKS2_21rocsparse_index_base_.num_vgpr, 10
	.set _ZN9rocsparseL23sddmm_csx_sample_kernelILi512ELi2EL20rocsparse_direction_1EdiidEEvT4_S2_T3_PKT5_S2_PS4_PKS3_PKS2_21rocsparse_index_base_.num_agpr, 0
	.set _ZN9rocsparseL23sddmm_csx_sample_kernelILi512ELi2EL20rocsparse_direction_1EdiidEEvT4_S2_T3_PKT5_S2_PS4_PKS3_PKS2_21rocsparse_index_base_.numbered_sgpr, 10
	.set _ZN9rocsparseL23sddmm_csx_sample_kernelILi512ELi2EL20rocsparse_direction_1EdiidEEvT4_S2_T3_PKT5_S2_PS4_PKS3_PKS2_21rocsparse_index_base_.num_named_barrier, 0
	.set _ZN9rocsparseL23sddmm_csx_sample_kernelILi512ELi2EL20rocsparse_direction_1EdiidEEvT4_S2_T3_PKT5_S2_PS4_PKS3_PKS2_21rocsparse_index_base_.private_seg_size, 0
	.set _ZN9rocsparseL23sddmm_csx_sample_kernelILi512ELi2EL20rocsparse_direction_1EdiidEEvT4_S2_T3_PKT5_S2_PS4_PKS3_PKS2_21rocsparse_index_base_.uses_vcc, 1
	.set _ZN9rocsparseL23sddmm_csx_sample_kernelILi512ELi2EL20rocsparse_direction_1EdiidEEvT4_S2_T3_PKT5_S2_PS4_PKS3_PKS2_21rocsparse_index_base_.uses_flat_scratch, 0
	.set _ZN9rocsparseL23sddmm_csx_sample_kernelILi512ELi2EL20rocsparse_direction_1EdiidEEvT4_S2_T3_PKT5_S2_PS4_PKS3_PKS2_21rocsparse_index_base_.has_dyn_sized_stack, 0
	.set _ZN9rocsparseL23sddmm_csx_sample_kernelILi512ELi2EL20rocsparse_direction_1EdiidEEvT4_S2_T3_PKT5_S2_PS4_PKS3_PKS2_21rocsparse_index_base_.has_recursion, 0
	.set _ZN9rocsparseL23sddmm_csx_sample_kernelILi512ELi2EL20rocsparse_direction_1EdiidEEvT4_S2_T3_PKT5_S2_PS4_PKS3_PKS2_21rocsparse_index_base_.has_indirect_call, 0
	.section	.AMDGPU.csdata,"",@progbits
; Kernel info:
; codeLenInByte = 268
; TotalNumSgprs: 16
; NumVgprs: 10
; NumAgprs: 0
; TotalNumVgprs: 10
; ScratchSize: 0
; MemoryBound: 0
; FloatMode: 240
; IeeeMode: 1
; LDSByteSize: 0 bytes/workgroup (compile time only)
; SGPRBlocks: 1
; VGPRBlocks: 1
; NumSGPRsForWavesPerEU: 16
; NumVGPRsForWavesPerEU: 10
; AccumOffset: 12
; Occupancy: 8
; WaveLimiterHint : 1
; COMPUTE_PGM_RSRC2:SCRATCH_EN: 0
; COMPUTE_PGM_RSRC2:USER_SGPR: 2
; COMPUTE_PGM_RSRC2:TRAP_HANDLER: 0
; COMPUTE_PGM_RSRC2:TGID_X_EN: 1
; COMPUTE_PGM_RSRC2:TGID_Y_EN: 0
; COMPUTE_PGM_RSRC2:TGID_Z_EN: 0
; COMPUTE_PGM_RSRC2:TIDIG_COMP_CNT: 0
; COMPUTE_PGM_RSRC3_GFX90A:ACCUM_OFFSET: 2
; COMPUTE_PGM_RSRC3_GFX90A:TG_SPLIT: 0
	.section	.text._ZN9rocsparseL23sddmm_csx_sample_kernelILi512ELi1EL20rocsparse_direction_1EdiidEEvT4_S2_T3_PKT5_S2_PS4_PKS3_PKS2_21rocsparse_index_base_,"axG",@progbits,_ZN9rocsparseL23sddmm_csx_sample_kernelILi512ELi1EL20rocsparse_direction_1EdiidEEvT4_S2_T3_PKT5_S2_PS4_PKS3_PKS2_21rocsparse_index_base_,comdat
	.globl	_ZN9rocsparseL23sddmm_csx_sample_kernelILi512ELi1EL20rocsparse_direction_1EdiidEEvT4_S2_T3_PKT5_S2_PS4_PKS3_PKS2_21rocsparse_index_base_ ; -- Begin function _ZN9rocsparseL23sddmm_csx_sample_kernelILi512ELi1EL20rocsparse_direction_1EdiidEEvT4_S2_T3_PKT5_S2_PS4_PKS3_PKS2_21rocsparse_index_base_
	.p2align	8
	.type	_ZN9rocsparseL23sddmm_csx_sample_kernelILi512ELi1EL20rocsparse_direction_1EdiidEEvT4_S2_T3_PKT5_S2_PS4_PKS3_PKS2_21rocsparse_index_base_,@function
_ZN9rocsparseL23sddmm_csx_sample_kernelILi512ELi1EL20rocsparse_direction_1EdiidEEvT4_S2_T3_PKT5_S2_PS4_PKS3_PKS2_21rocsparse_index_base_: ; @_ZN9rocsparseL23sddmm_csx_sample_kernelILi512ELi1EL20rocsparse_direction_1EdiidEEvT4_S2_T3_PKT5_S2_PS4_PKS3_PKS2_21rocsparse_index_base_
; %bb.0:
	s_load_dword s3, s[0:1], 0x4
	v_lshl_or_b32 v2, s2, 9, v0
	s_waitcnt lgkmcnt(0)
	v_cmp_gt_u32_e32 vcc, s3, v2
	s_and_saveexec_b64 s[2:3], vcc
	s_cbranch_execz .LBB40_4
; %bb.1:
	s_load_dwordx2 s[2:3], s[0:1], 0x28
	v_mov_b32_e32 v3, 0
	s_waitcnt lgkmcnt(0)
	v_lshl_add_u64 v[0:1], v[2:3], 2, s[2:3]
	global_load_dwordx2 v[0:1], v[0:1], off
	s_waitcnt vmcnt(0)
	v_cmp_lt_i32_e32 vcc, v0, v1
	s_and_b64 exec, exec, vcc
	s_cbranch_execz .LBB40_4
; %bb.2:
	s_load_dword s8, s[0:1], 0x38
	s_load_dwordx2 s[4:5], s[0:1], 0x30
	s_load_dword s9, s[0:1], 0x18
	s_load_dwordx2 s[6:7], s[0:1], 0x20
	s_load_dwordx2 s[2:3], s[0:1], 0x10
	s_waitcnt lgkmcnt(0)
	v_subrev_u32_e32 v6, s8, v1
	v_subrev_u32_e32 v0, s8, v0
	v_mul_lo_u32 v1, s9, v2
	v_subrev_u32_e32 v7, s8, v1
	v_ashrrev_i32_e32 v1, 31, v0
	v_lshl_add_u64 v[2:3], v[0:1], 2, s[4:5]
	v_lshl_add_u64 v[4:5], v[0:1], 3, s[6:7]
	s_mov_b64 s[0:1], 0
.LBB40_3:                               ; =>This Inner Loop Header: Depth=1
	global_load_dword v1, v[2:3], off
	v_add_u32_e32 v0, 1, v0
	v_cmp_ge_i32_e32 vcc, v0, v6
	v_lshl_add_u64 v[2:3], v[2:3], 0, 4
	s_or_b64 s[0:1], vcc, s[0:1]
	s_waitcnt vmcnt(0)
	v_add_u32_e32 v8, v7, v1
	v_ashrrev_i32_e32 v9, 31, v8
	v_lshl_add_u64 v[8:9], v[8:9], 3, s[2:3]
	global_load_dwordx2 v[8:9], v[8:9], off
	s_waitcnt vmcnt(0)
	global_store_dwordx2 v[4:5], v[8:9], off
	v_lshl_add_u64 v[4:5], v[4:5], 0, 8
	s_andn2_b64 exec, exec, s[0:1]
	s_cbranch_execnz .LBB40_3
.LBB40_4:
	s_endpgm
	.section	.rodata,"a",@progbits
	.p2align	6, 0x0
	.amdhsa_kernel _ZN9rocsparseL23sddmm_csx_sample_kernelILi512ELi1EL20rocsparse_direction_1EdiidEEvT4_S2_T3_PKT5_S2_PS4_PKS3_PKS2_21rocsparse_index_base_
		.amdhsa_group_segment_fixed_size 0
		.amdhsa_private_segment_fixed_size 0
		.amdhsa_kernarg_size 60
		.amdhsa_user_sgpr_count 2
		.amdhsa_user_sgpr_dispatch_ptr 0
		.amdhsa_user_sgpr_queue_ptr 0
		.amdhsa_user_sgpr_kernarg_segment_ptr 1
		.amdhsa_user_sgpr_dispatch_id 0
		.amdhsa_user_sgpr_kernarg_preload_length 0
		.amdhsa_user_sgpr_kernarg_preload_offset 0
		.amdhsa_user_sgpr_private_segment_size 0
		.amdhsa_uses_dynamic_stack 0
		.amdhsa_enable_private_segment 0
		.amdhsa_system_sgpr_workgroup_id_x 1
		.amdhsa_system_sgpr_workgroup_id_y 0
		.amdhsa_system_sgpr_workgroup_id_z 0
		.amdhsa_system_sgpr_workgroup_info 0
		.amdhsa_system_vgpr_workitem_id 0
		.amdhsa_next_free_vgpr 10
		.amdhsa_next_free_sgpr 10
		.amdhsa_accum_offset 12
		.amdhsa_reserve_vcc 1
		.amdhsa_float_round_mode_32 0
		.amdhsa_float_round_mode_16_64 0
		.amdhsa_float_denorm_mode_32 3
		.amdhsa_float_denorm_mode_16_64 3
		.amdhsa_dx10_clamp 1
		.amdhsa_ieee_mode 1
		.amdhsa_fp16_overflow 0
		.amdhsa_tg_split 0
		.amdhsa_exception_fp_ieee_invalid_op 0
		.amdhsa_exception_fp_denorm_src 0
		.amdhsa_exception_fp_ieee_div_zero 0
		.amdhsa_exception_fp_ieee_overflow 0
		.amdhsa_exception_fp_ieee_underflow 0
		.amdhsa_exception_fp_ieee_inexact 0
		.amdhsa_exception_int_div_zero 0
	.end_amdhsa_kernel
	.section	.text._ZN9rocsparseL23sddmm_csx_sample_kernelILi512ELi1EL20rocsparse_direction_1EdiidEEvT4_S2_T3_PKT5_S2_PS4_PKS3_PKS2_21rocsparse_index_base_,"axG",@progbits,_ZN9rocsparseL23sddmm_csx_sample_kernelILi512ELi1EL20rocsparse_direction_1EdiidEEvT4_S2_T3_PKT5_S2_PS4_PKS3_PKS2_21rocsparse_index_base_,comdat
.Lfunc_end40:
	.size	_ZN9rocsparseL23sddmm_csx_sample_kernelILi512ELi1EL20rocsparse_direction_1EdiidEEvT4_S2_T3_PKT5_S2_PS4_PKS3_PKS2_21rocsparse_index_base_, .Lfunc_end40-_ZN9rocsparseL23sddmm_csx_sample_kernelILi512ELi1EL20rocsparse_direction_1EdiidEEvT4_S2_T3_PKT5_S2_PS4_PKS3_PKS2_21rocsparse_index_base_
                                        ; -- End function
	.set _ZN9rocsparseL23sddmm_csx_sample_kernelILi512ELi1EL20rocsparse_direction_1EdiidEEvT4_S2_T3_PKT5_S2_PS4_PKS3_PKS2_21rocsparse_index_base_.num_vgpr, 10
	.set _ZN9rocsparseL23sddmm_csx_sample_kernelILi512ELi1EL20rocsparse_direction_1EdiidEEvT4_S2_T3_PKT5_S2_PS4_PKS3_PKS2_21rocsparse_index_base_.num_agpr, 0
	.set _ZN9rocsparseL23sddmm_csx_sample_kernelILi512ELi1EL20rocsparse_direction_1EdiidEEvT4_S2_T3_PKT5_S2_PS4_PKS3_PKS2_21rocsparse_index_base_.numbered_sgpr, 10
	.set _ZN9rocsparseL23sddmm_csx_sample_kernelILi512ELi1EL20rocsparse_direction_1EdiidEEvT4_S2_T3_PKT5_S2_PS4_PKS3_PKS2_21rocsparse_index_base_.num_named_barrier, 0
	.set _ZN9rocsparseL23sddmm_csx_sample_kernelILi512ELi1EL20rocsparse_direction_1EdiidEEvT4_S2_T3_PKT5_S2_PS4_PKS3_PKS2_21rocsparse_index_base_.private_seg_size, 0
	.set _ZN9rocsparseL23sddmm_csx_sample_kernelILi512ELi1EL20rocsparse_direction_1EdiidEEvT4_S2_T3_PKT5_S2_PS4_PKS3_PKS2_21rocsparse_index_base_.uses_vcc, 1
	.set _ZN9rocsparseL23sddmm_csx_sample_kernelILi512ELi1EL20rocsparse_direction_1EdiidEEvT4_S2_T3_PKT5_S2_PS4_PKS3_PKS2_21rocsparse_index_base_.uses_flat_scratch, 0
	.set _ZN9rocsparseL23sddmm_csx_sample_kernelILi512ELi1EL20rocsparse_direction_1EdiidEEvT4_S2_T3_PKT5_S2_PS4_PKS3_PKS2_21rocsparse_index_base_.has_dyn_sized_stack, 0
	.set _ZN9rocsparseL23sddmm_csx_sample_kernelILi512ELi1EL20rocsparse_direction_1EdiidEEvT4_S2_T3_PKT5_S2_PS4_PKS3_PKS2_21rocsparse_index_base_.has_recursion, 0
	.set _ZN9rocsparseL23sddmm_csx_sample_kernelILi512ELi1EL20rocsparse_direction_1EdiidEEvT4_S2_T3_PKT5_S2_PS4_PKS3_PKS2_21rocsparse_index_base_.has_indirect_call, 0
	.section	.AMDGPU.csdata,"",@progbits
; Kernel info:
; codeLenInByte = 256
; TotalNumSgprs: 16
; NumVgprs: 10
; NumAgprs: 0
; TotalNumVgprs: 10
; ScratchSize: 0
; MemoryBound: 0
; FloatMode: 240
; IeeeMode: 1
; LDSByteSize: 0 bytes/workgroup (compile time only)
; SGPRBlocks: 1
; VGPRBlocks: 1
; NumSGPRsForWavesPerEU: 16
; NumVGPRsForWavesPerEU: 10
; AccumOffset: 12
; Occupancy: 8
; WaveLimiterHint : 1
; COMPUTE_PGM_RSRC2:SCRATCH_EN: 0
; COMPUTE_PGM_RSRC2:USER_SGPR: 2
; COMPUTE_PGM_RSRC2:TRAP_HANDLER: 0
; COMPUTE_PGM_RSRC2:TGID_X_EN: 1
; COMPUTE_PGM_RSRC2:TGID_Y_EN: 0
; COMPUTE_PGM_RSRC2:TGID_Z_EN: 0
; COMPUTE_PGM_RSRC2:TIDIG_COMP_CNT: 0
; COMPUTE_PGM_RSRC3_GFX90A:ACCUM_OFFSET: 2
; COMPUTE_PGM_RSRC3_GFX90A:TG_SPLIT: 0
	.section	.text._ZN9rocsparseL16sddmm_csx_kernelILi512ELi8EL20rocsparse_direction_0EdiidddEEv20rocsparse_operation_S2_16rocsparse_order_S3_T4_S4_S4_T3_NS_24const_host_device_scalarIT2_EEPKT5_lPKT6_lS8_PT7_PKS5_PKS4_21rocsparse_index_base_b,"axG",@progbits,_ZN9rocsparseL16sddmm_csx_kernelILi512ELi8EL20rocsparse_direction_0EdiidddEEv20rocsparse_operation_S2_16rocsparse_order_S3_T4_S4_S4_T3_NS_24const_host_device_scalarIT2_EEPKT5_lPKT6_lS8_PT7_PKS5_PKS4_21rocsparse_index_base_b,comdat
	.globl	_ZN9rocsparseL16sddmm_csx_kernelILi512ELi8EL20rocsparse_direction_0EdiidddEEv20rocsparse_operation_S2_16rocsparse_order_S3_T4_S4_S4_T3_NS_24const_host_device_scalarIT2_EEPKT5_lPKT6_lS8_PT7_PKS5_PKS4_21rocsparse_index_base_b ; -- Begin function _ZN9rocsparseL16sddmm_csx_kernelILi512ELi8EL20rocsparse_direction_0EdiidddEEv20rocsparse_operation_S2_16rocsparse_order_S3_T4_S4_S4_T3_NS_24const_host_device_scalarIT2_EEPKT5_lPKT6_lS8_PT7_PKS5_PKS4_21rocsparse_index_base_b
	.p2align	8
	.type	_ZN9rocsparseL16sddmm_csx_kernelILi512ELi8EL20rocsparse_direction_0EdiidddEEv20rocsparse_operation_S2_16rocsparse_order_S3_T4_S4_S4_T3_NS_24const_host_device_scalarIT2_EEPKT5_lPKT6_lS8_PT7_PKS5_PKS4_21rocsparse_index_base_b,@function
_ZN9rocsparseL16sddmm_csx_kernelILi512ELi8EL20rocsparse_direction_0EdiidddEEv20rocsparse_operation_S2_16rocsparse_order_S3_T4_S4_S4_T3_NS_24const_host_device_scalarIT2_EEPKT5_lPKT6_lS8_PT7_PKS5_PKS4_21rocsparse_index_base_b: ; @_ZN9rocsparseL16sddmm_csx_kernelILi512ELi8EL20rocsparse_direction_0EdiidddEEv20rocsparse_operation_S2_16rocsparse_order_S3_T4_S4_S4_T3_NS_24const_host_device_scalarIT2_EEPKT5_lPKT6_lS8_PT7_PKS5_PKS4_21rocsparse_index_base_b
; %bb.0:
	s_load_dwordx2 s[16:17], s[0:1], 0x68
	s_load_dwordx2 s[6:7], s[0:1], 0x20
	s_load_dwordx4 s[12:15], s[0:1], 0x40
	s_waitcnt lgkmcnt(0)
	s_bitcmp1_b32 s17, 0
	s_cselect_b64 s[8:9], -1, 0
	s_xor_b64 s[4:5], s[8:9], -1
	s_and_b64 vcc, exec, s[8:9]
	v_mov_b64_e32 v[2:3], s[6:7]
	s_cbranch_vccnz .LBB41_2
; %bb.1:
	v_mov_b64_e32 v[2:3], s[6:7]
	flat_load_dwordx2 v[2:3], v[2:3]
.LBB41_2:
	s_andn2_b64 vcc, exec, s[4:5]
	v_mov_b64_e32 v[4:5], s[14:15]
	s_cbranch_vccnz .LBB41_4
; %bb.3:
	v_mov_b64_e32 v[4:5], s[14:15]
	flat_load_dwordx2 v[4:5], v[4:5]
.LBB41_4:
	s_waitcnt vmcnt(0) lgkmcnt(0)
	v_cmp_neq_f64_e32 vcc, 0, v[2:3]
	v_cmp_neq_f64_e64 s[4:5], 1.0, v[4:5]
	s_or_b64 s[4:5], vcc, s[4:5]
	s_and_saveexec_b64 s[6:7], s[4:5]
	s_cbranch_execz .LBB41_36
; %bb.5:
	s_load_dword s3, s[0:1], 0x10
	v_lshrrev_b32_e32 v1, 3, v0
	v_lshl_or_b32 v8, s2, 6, v1
	s_waitcnt lgkmcnt(0)
	v_cmp_gt_i32_e32 vcc, s3, v8
	s_and_b64 exec, exec, vcc
	s_cbranch_execz .LBB41_36
; %bb.6:
	s_load_dwordx4 s[4:7], s[0:1], 0x0
	s_load_dwordx2 s[14:15], s[0:1], 0x58
	s_load_dwordx2 s[2:3], s[0:1], 0x30
	v_ashrrev_i32_e32 v9, 31, v8
	s_waitcnt lgkmcnt(0)
	s_cmp_eq_u32 s6, 1
	s_cselect_b64 s[8:9], -1, 0
	s_cmpk_eq_i32 s4, 0x6f
	s_cselect_b64 s[10:11], -1, 0
	s_cmpk_lg_i32 s4, 0x6f
	s_cselect_b64 s[18:19], -1, 0
	s_cmp_lg_u32 s6, 1
	s_cbranch_scc0 .LBB41_10
; %bb.7:
	s_andn2_b64 vcc, exec, s[10:11]
	v_mov_b64_e32 v[6:7], v[8:9]
	s_cbranch_vccnz .LBB41_9
; %bb.8:
	v_mul_lo_u32 v10, s3, v8
	v_mul_lo_u32 v11, s2, v9
	v_mad_u64_u32 v[6:7], s[20:21], s2, v8, 0
	v_add3_u32 v7, v7, v11, v10
.LBB41_9:
	s_cbranch_execz .LBB41_11
	s_branch .LBB41_13
.LBB41_10:
                                        ; implicit-def: $vgpr6_vgpr7
.LBB41_11:
	s_andn2_b64 vcc, exec, s[18:19]
	v_mov_b64_e32 v[6:7], v[8:9]
	s_cbranch_vccnz .LBB41_13
; %bb.12:
	v_mul_lo_u32 v10, s3, v8
	v_mul_lo_u32 v11, s2, v9
	v_mad_u64_u32 v[6:7], s[18:19], s2, v8, 0
	v_add3_u32 v7, v7, v11, v10
.LBB41_13:
	v_lshl_add_u64 v[8:9], v[8:9], 2, s[14:15]
	global_load_dwordx2 v[8:9], v[8:9], off
	s_waitcnt vmcnt(0)
	v_cmp_lt_i32_e32 vcc, v8, v9
	s_and_b64 exec, exec, vcc
	s_cbranch_execz .LBB41_36
; %bb.14:
	s_xor_b64 s[8:9], s[10:11], s[8:9]
	s_and_b64 s[8:9], s[8:9], exec
	s_cselect_b32 s9, 0, s3
	s_cselect_b32 s8, 1, s2
	s_cmp_lg_u32 s7, 1
	s_cselect_b64 s[18:19], -1, 0
	s_cmp_eq_u32 s7, 1
	v_and_b32_e32 v16, 7, v0
	s_cselect_b64 s[2:3], -1, 0
	s_cmpk_eq_i32 s5, 0x6f
	v_subrev_u32_e32 v0, s16, v8
	v_subrev_u32_e32 v19, s16, v9
	v_mad_u64_u32 v[8:9], s[28:29], s8, v16, 0
	s_cselect_b64 s[6:7], -1, 0
	s_cmpk_lg_i32 s5, 0x6f
	s_load_dwordx2 s[24:25], s[0:1], 0x38
	s_load_dwordx2 s[20:21], s[0:1], 0x50
	;; [unrolled: 1-line block ×3, first 2 shown]
	s_load_dword s17, s[0:1], 0x18
	v_mov_b32_e32 v10, v9
	s_cselect_b64 s[10:11], -1, 0
	s_xor_b64 s[2:3], s[6:7], s[2:3]
	v_mad_u64_u32 v[10:11], s[28:29], s9, v16, v[10:11]
	s_and_b64 s[2:3], s[2:3], exec
	v_mov_b32_e32 v9, v10
	v_lshlrev_b64 v[6:7], 3, v[6:7]
	s_cselect_b32 s26, s12, 1
	v_lshl_add_u64 v[6:7], v[8:9], 3, v[6:7]
	s_load_dwordx2 s[14:15], s[0:1], 0x60
	s_cselect_b32 s27, s13, 0
	s_waitcnt lgkmcnt(0)
	v_lshl_add_u64 v[6:7], s[22:23], 0, v[6:7]
	s_lshl_b64 s[22:23], s[8:9], 6
	v_mad_u64_u32 v[8:9], s[8:9], s26, v16, 0
	v_mov_b32_e32 v10, v9
	v_mad_u64_u32 v[10:11], s[8:9], s27, v16, v[10:11]
	v_cndmask_b32_e64 v12, 0, 1, s[6:7]
	v_lshlrev_b32_e32 v17, 6, v1
	v_mov_b32_e32 v9, v10
	v_cndmask_b32_e64 v1, 0, 1, s[10:11]
	v_cmp_gt_i32_e64 s[0:1], s17, v16
	v_lshl_or_b32 v18, v16, 3, v17
	v_cmp_eq_u32_e64 s[2:3], 0, v16
	v_cmp_gt_u32_e64 s[4:5], 4, v16
	v_cmp_gt_u32_e64 s[6:7], 2, v16
	v_lshl_add_u64 v[8:9], v[8:9], 3, s[24:25]
	s_lshl_b64 s[24:25], s[26:27], 6
	s_mov_b64 s[26:27], 0
	v_cmp_ne_u32_e64 s[8:9], 1, v1
	v_cmp_ne_u32_e64 s[10:11], 1, v12
	s_branch .LBB41_16
.LBB41_15:                              ;   in Loop: Header=BB41_16 Depth=1
	s_or_b64 exec, exec, s[28:29]
	v_add_u32_e32 v0, 1, v0
	v_cmp_ge_i32_e32 vcc, v0, v19
	s_or_b64 s[26:27], vcc, s[26:27]
	s_andn2_b64 exec, exec, s[26:27]
	s_cbranch_execz .LBB41_36
.LBB41_16:                              ; =>This Loop Header: Depth=1
                                        ;     Child Loop BB41_26 Depth 2
	v_ashrrev_i32_e32 v1, 31, v0
	v_lshl_add_u64 v[10:11], v[0:1], 2, s[14:15]
	global_load_dword v10, v[10:11], off
	s_mov_b64 s[28:29], -1
	s_and_b64 vcc, exec, s[18:19]
                                        ; implicit-def: $vgpr12_vgpr13
	s_waitcnt vmcnt(0)
	v_subrev_u32_e32 v10, s16, v10
	v_ashrrev_i32_e32 v11, 31, v10
	s_cbranch_vccnz .LBB41_19
; %bb.17:                               ;   in Loop: Header=BB41_16 Depth=1
	s_andn2_b64 vcc, exec, s[28:29]
	s_cbranch_vccz .LBB41_22
.LBB41_18:                              ;   in Loop: Header=BB41_16 Depth=1
	v_mov_b64_e32 v[10:11], 0
	s_and_saveexec_b64 s[28:29], s[0:1]
	s_cbranch_execnz .LBB41_25
	s_branch .LBB41_28
.LBB41_19:                              ;   in Loop: Header=BB41_16 Depth=1
	s_and_b64 vcc, exec, s[8:9]
	v_mov_b64_e32 v[12:13], v[10:11]
	s_cbranch_vccnz .LBB41_21
; %bb.20:                               ;   in Loop: Header=BB41_16 Depth=1
	v_mul_lo_u32 v14, s13, v10
	v_mul_lo_u32 v15, s12, v11
	v_mad_u64_u32 v[12:13], s[28:29], s12, v10, 0
	v_add3_u32 v13, v13, v15, v14
.LBB41_21:                              ;   in Loop: Header=BB41_16 Depth=1
	s_cbranch_execnz .LBB41_18
.LBB41_22:                              ;   in Loop: Header=BB41_16 Depth=1
	s_and_b64 vcc, exec, s[10:11]
	s_cbranch_vccnz .LBB41_24
; %bb.23:                               ;   in Loop: Header=BB41_16 Depth=1
	v_mul_lo_u32 v12, s13, v10
	v_mul_lo_u32 v13, s12, v11
	v_mad_u64_u32 v[10:11], s[28:29], s12, v10, 0
	v_add3_u32 v11, v11, v13, v12
.LBB41_24:                              ;   in Loop: Header=BB41_16 Depth=1
	v_mov_b64_e32 v[12:13], v[10:11]
	v_mov_b64_e32 v[10:11], 0
	s_and_saveexec_b64 s[28:29], s[0:1]
	s_cbranch_execz .LBB41_28
.LBB41_25:                              ;   in Loop: Header=BB41_16 Depth=1
	v_lshl_add_u64 v[12:13], v[12:13], 3, v[8:9]
	v_mov_b64_e32 v[10:11], 0
	s_mov_b64 s[30:31], 0
	v_mov_b64_e32 v[14:15], v[6:7]
	v_mov_b32_e32 v20, v16
.LBB41_26:                              ;   Parent Loop BB41_16 Depth=1
                                        ; =>  This Inner Loop Header: Depth=2
	global_load_dwordx2 v[22:23], v[14:15], off
	global_load_dwordx2 v[24:25], v[12:13], off
	v_add_u32_e32 v20, 8, v20
	v_cmp_le_i32_e32 vcc, s17, v20
	v_lshl_add_u64 v[14:15], v[14:15], 0, s[22:23]
	v_lshl_add_u64 v[12:13], v[12:13], 0, s[24:25]
	s_or_b64 s[30:31], vcc, s[30:31]
	s_waitcnt vmcnt(0)
	v_fmac_f64_e32 v[10:11], v[22:23], v[24:25]
	s_andn2_b64 exec, exec, s[30:31]
	s_cbranch_execnz .LBB41_26
; %bb.27:                               ;   in Loop: Header=BB41_16 Depth=1
	s_or_b64 exec, exec, s[30:31]
.LBB41_28:                              ;   in Loop: Header=BB41_16 Depth=1
	s_or_b64 exec, exec, s[28:29]
	ds_write_b64 v18, v[10:11]
	s_waitcnt lgkmcnt(0)
	s_barrier
	s_and_saveexec_b64 s[28:29], s[4:5]
	s_cbranch_execz .LBB41_30
; %bb.29:                               ;   in Loop: Header=BB41_16 Depth=1
	ds_read2_b64 v[10:13], v18 offset1:4
	s_waitcnt lgkmcnt(0)
	v_add_f64 v[10:11], v[12:13], v[10:11]
	ds_write_b64 v18, v[10:11]
.LBB41_30:                              ;   in Loop: Header=BB41_16 Depth=1
	s_or_b64 exec, exec, s[28:29]
	s_waitcnt lgkmcnt(0)
	s_barrier
	s_and_saveexec_b64 s[28:29], s[6:7]
	s_cbranch_execz .LBB41_32
; %bb.31:                               ;   in Loop: Header=BB41_16 Depth=1
	ds_read2_b64 v[10:13], v18 offset1:2
	s_waitcnt lgkmcnt(0)
	v_add_f64 v[10:11], v[12:13], v[10:11]
	ds_write_b64 v18, v[10:11]
.LBB41_32:                              ;   in Loop: Header=BB41_16 Depth=1
	s_or_b64 exec, exec, s[28:29]
	;; [unrolled: 11-line block ×3, first 2 shown]
	s_waitcnt lgkmcnt(0)
	s_barrier
	s_and_saveexec_b64 s[28:29], s[2:3]
	s_cbranch_execz .LBB41_15
; %bb.35:                               ;   in Loop: Header=BB41_16 Depth=1
	v_lshl_add_u64 v[10:11], v[0:1], 3, s[20:21]
	global_load_dwordx2 v[12:13], v[10:11], off
	ds_read_b64 v[14:15], v17
	s_waitcnt lgkmcnt(0)
	v_mul_f64 v[14:15], v[2:3], v[14:15]
	s_waitcnt vmcnt(0)
	v_fmac_f64_e32 v[14:15], v[4:5], v[12:13]
	global_store_dwordx2 v[10:11], v[14:15], off
	s_branch .LBB41_15
.LBB41_36:
	s_endpgm
	.section	.rodata,"a",@progbits
	.p2align	6, 0x0
	.amdhsa_kernel _ZN9rocsparseL16sddmm_csx_kernelILi512ELi8EL20rocsparse_direction_0EdiidddEEv20rocsparse_operation_S2_16rocsparse_order_S3_T4_S4_S4_T3_NS_24const_host_device_scalarIT2_EEPKT5_lPKT6_lS8_PT7_PKS5_PKS4_21rocsparse_index_base_b
		.amdhsa_group_segment_fixed_size 4096
		.amdhsa_private_segment_fixed_size 0
		.amdhsa_kernarg_size 112
		.amdhsa_user_sgpr_count 2
		.amdhsa_user_sgpr_dispatch_ptr 0
		.amdhsa_user_sgpr_queue_ptr 0
		.amdhsa_user_sgpr_kernarg_segment_ptr 1
		.amdhsa_user_sgpr_dispatch_id 0
		.amdhsa_user_sgpr_kernarg_preload_length 0
		.amdhsa_user_sgpr_kernarg_preload_offset 0
		.amdhsa_user_sgpr_private_segment_size 0
		.amdhsa_uses_dynamic_stack 0
		.amdhsa_enable_private_segment 0
		.amdhsa_system_sgpr_workgroup_id_x 1
		.amdhsa_system_sgpr_workgroup_id_y 0
		.amdhsa_system_sgpr_workgroup_id_z 0
		.amdhsa_system_sgpr_workgroup_info 0
		.amdhsa_system_vgpr_workitem_id 0
		.amdhsa_next_free_vgpr 26
		.amdhsa_next_free_sgpr 32
		.amdhsa_accum_offset 28
		.amdhsa_reserve_vcc 1
		.amdhsa_float_round_mode_32 0
		.amdhsa_float_round_mode_16_64 0
		.amdhsa_float_denorm_mode_32 3
		.amdhsa_float_denorm_mode_16_64 3
		.amdhsa_dx10_clamp 1
		.amdhsa_ieee_mode 1
		.amdhsa_fp16_overflow 0
		.amdhsa_tg_split 0
		.amdhsa_exception_fp_ieee_invalid_op 0
		.amdhsa_exception_fp_denorm_src 0
		.amdhsa_exception_fp_ieee_div_zero 0
		.amdhsa_exception_fp_ieee_overflow 0
		.amdhsa_exception_fp_ieee_underflow 0
		.amdhsa_exception_fp_ieee_inexact 0
		.amdhsa_exception_int_div_zero 0
	.end_amdhsa_kernel
	.section	.text._ZN9rocsparseL16sddmm_csx_kernelILi512ELi8EL20rocsparse_direction_0EdiidddEEv20rocsparse_operation_S2_16rocsparse_order_S3_T4_S4_S4_T3_NS_24const_host_device_scalarIT2_EEPKT5_lPKT6_lS8_PT7_PKS5_PKS4_21rocsparse_index_base_b,"axG",@progbits,_ZN9rocsparseL16sddmm_csx_kernelILi512ELi8EL20rocsparse_direction_0EdiidddEEv20rocsparse_operation_S2_16rocsparse_order_S3_T4_S4_S4_T3_NS_24const_host_device_scalarIT2_EEPKT5_lPKT6_lS8_PT7_PKS5_PKS4_21rocsparse_index_base_b,comdat
.Lfunc_end41:
	.size	_ZN9rocsparseL16sddmm_csx_kernelILi512ELi8EL20rocsparse_direction_0EdiidddEEv20rocsparse_operation_S2_16rocsparse_order_S3_T4_S4_S4_T3_NS_24const_host_device_scalarIT2_EEPKT5_lPKT6_lS8_PT7_PKS5_PKS4_21rocsparse_index_base_b, .Lfunc_end41-_ZN9rocsparseL16sddmm_csx_kernelILi512ELi8EL20rocsparse_direction_0EdiidddEEv20rocsparse_operation_S2_16rocsparse_order_S3_T4_S4_S4_T3_NS_24const_host_device_scalarIT2_EEPKT5_lPKT6_lS8_PT7_PKS5_PKS4_21rocsparse_index_base_b
                                        ; -- End function
	.set _ZN9rocsparseL16sddmm_csx_kernelILi512ELi8EL20rocsparse_direction_0EdiidddEEv20rocsparse_operation_S2_16rocsparse_order_S3_T4_S4_S4_T3_NS_24const_host_device_scalarIT2_EEPKT5_lPKT6_lS8_PT7_PKS5_PKS4_21rocsparse_index_base_b.num_vgpr, 26
	.set _ZN9rocsparseL16sddmm_csx_kernelILi512ELi8EL20rocsparse_direction_0EdiidddEEv20rocsparse_operation_S2_16rocsparse_order_S3_T4_S4_S4_T3_NS_24const_host_device_scalarIT2_EEPKT5_lPKT6_lS8_PT7_PKS5_PKS4_21rocsparse_index_base_b.num_agpr, 0
	.set _ZN9rocsparseL16sddmm_csx_kernelILi512ELi8EL20rocsparse_direction_0EdiidddEEv20rocsparse_operation_S2_16rocsparse_order_S3_T4_S4_S4_T3_NS_24const_host_device_scalarIT2_EEPKT5_lPKT6_lS8_PT7_PKS5_PKS4_21rocsparse_index_base_b.numbered_sgpr, 32
	.set _ZN9rocsparseL16sddmm_csx_kernelILi512ELi8EL20rocsparse_direction_0EdiidddEEv20rocsparse_operation_S2_16rocsparse_order_S3_T4_S4_S4_T3_NS_24const_host_device_scalarIT2_EEPKT5_lPKT6_lS8_PT7_PKS5_PKS4_21rocsparse_index_base_b.num_named_barrier, 0
	.set _ZN9rocsparseL16sddmm_csx_kernelILi512ELi8EL20rocsparse_direction_0EdiidddEEv20rocsparse_operation_S2_16rocsparse_order_S3_T4_S4_S4_T3_NS_24const_host_device_scalarIT2_EEPKT5_lPKT6_lS8_PT7_PKS5_PKS4_21rocsparse_index_base_b.private_seg_size, 0
	.set _ZN9rocsparseL16sddmm_csx_kernelILi512ELi8EL20rocsparse_direction_0EdiidddEEv20rocsparse_operation_S2_16rocsparse_order_S3_T4_S4_S4_T3_NS_24const_host_device_scalarIT2_EEPKT5_lPKT6_lS8_PT7_PKS5_PKS4_21rocsparse_index_base_b.uses_vcc, 1
	.set _ZN9rocsparseL16sddmm_csx_kernelILi512ELi8EL20rocsparse_direction_0EdiidddEEv20rocsparse_operation_S2_16rocsparse_order_S3_T4_S4_S4_T3_NS_24const_host_device_scalarIT2_EEPKT5_lPKT6_lS8_PT7_PKS5_PKS4_21rocsparse_index_base_b.uses_flat_scratch, 0
	.set _ZN9rocsparseL16sddmm_csx_kernelILi512ELi8EL20rocsparse_direction_0EdiidddEEv20rocsparse_operation_S2_16rocsparse_order_S3_T4_S4_S4_T3_NS_24const_host_device_scalarIT2_EEPKT5_lPKT6_lS8_PT7_PKS5_PKS4_21rocsparse_index_base_b.has_dyn_sized_stack, 0
	.set _ZN9rocsparseL16sddmm_csx_kernelILi512ELi8EL20rocsparse_direction_0EdiidddEEv20rocsparse_operation_S2_16rocsparse_order_S3_T4_S4_S4_T3_NS_24const_host_device_scalarIT2_EEPKT5_lPKT6_lS8_PT7_PKS5_PKS4_21rocsparse_index_base_b.has_recursion, 0
	.set _ZN9rocsparseL16sddmm_csx_kernelILi512ELi8EL20rocsparse_direction_0EdiidddEEv20rocsparse_operation_S2_16rocsparse_order_S3_T4_S4_S4_T3_NS_24const_host_device_scalarIT2_EEPKT5_lPKT6_lS8_PT7_PKS5_PKS4_21rocsparse_index_base_b.has_indirect_call, 0
	.section	.AMDGPU.csdata,"",@progbits
; Kernel info:
; codeLenInByte = 1152
; TotalNumSgprs: 38
; NumVgprs: 26
; NumAgprs: 0
; TotalNumVgprs: 26
; ScratchSize: 0
; MemoryBound: 0
; FloatMode: 240
; IeeeMode: 1
; LDSByteSize: 4096 bytes/workgroup (compile time only)
; SGPRBlocks: 4
; VGPRBlocks: 3
; NumSGPRsForWavesPerEU: 38
; NumVGPRsForWavesPerEU: 26
; AccumOffset: 28
; Occupancy: 8
; WaveLimiterHint : 1
; COMPUTE_PGM_RSRC2:SCRATCH_EN: 0
; COMPUTE_PGM_RSRC2:USER_SGPR: 2
; COMPUTE_PGM_RSRC2:TRAP_HANDLER: 0
; COMPUTE_PGM_RSRC2:TGID_X_EN: 1
; COMPUTE_PGM_RSRC2:TGID_Y_EN: 0
; COMPUTE_PGM_RSRC2:TGID_Z_EN: 0
; COMPUTE_PGM_RSRC2:TIDIG_COMP_CNT: 0
; COMPUTE_PGM_RSRC3_GFX90A:ACCUM_OFFSET: 6
; COMPUTE_PGM_RSRC3_GFX90A:TG_SPLIT: 0
	.section	.text._ZN9rocsparseL16sddmm_csx_kernelILi512ELi4EL20rocsparse_direction_0EdiidddEEv20rocsparse_operation_S2_16rocsparse_order_S3_T4_S4_S4_T3_NS_24const_host_device_scalarIT2_EEPKT5_lPKT6_lS8_PT7_PKS5_PKS4_21rocsparse_index_base_b,"axG",@progbits,_ZN9rocsparseL16sddmm_csx_kernelILi512ELi4EL20rocsparse_direction_0EdiidddEEv20rocsparse_operation_S2_16rocsparse_order_S3_T4_S4_S4_T3_NS_24const_host_device_scalarIT2_EEPKT5_lPKT6_lS8_PT7_PKS5_PKS4_21rocsparse_index_base_b,comdat
	.globl	_ZN9rocsparseL16sddmm_csx_kernelILi512ELi4EL20rocsparse_direction_0EdiidddEEv20rocsparse_operation_S2_16rocsparse_order_S3_T4_S4_S4_T3_NS_24const_host_device_scalarIT2_EEPKT5_lPKT6_lS8_PT7_PKS5_PKS4_21rocsparse_index_base_b ; -- Begin function _ZN9rocsparseL16sddmm_csx_kernelILi512ELi4EL20rocsparse_direction_0EdiidddEEv20rocsparse_operation_S2_16rocsparse_order_S3_T4_S4_S4_T3_NS_24const_host_device_scalarIT2_EEPKT5_lPKT6_lS8_PT7_PKS5_PKS4_21rocsparse_index_base_b
	.p2align	8
	.type	_ZN9rocsparseL16sddmm_csx_kernelILi512ELi4EL20rocsparse_direction_0EdiidddEEv20rocsparse_operation_S2_16rocsparse_order_S3_T4_S4_S4_T3_NS_24const_host_device_scalarIT2_EEPKT5_lPKT6_lS8_PT7_PKS5_PKS4_21rocsparse_index_base_b,@function
_ZN9rocsparseL16sddmm_csx_kernelILi512ELi4EL20rocsparse_direction_0EdiidddEEv20rocsparse_operation_S2_16rocsparse_order_S3_T4_S4_S4_T3_NS_24const_host_device_scalarIT2_EEPKT5_lPKT6_lS8_PT7_PKS5_PKS4_21rocsparse_index_base_b: ; @_ZN9rocsparseL16sddmm_csx_kernelILi512ELi4EL20rocsparse_direction_0EdiidddEEv20rocsparse_operation_S2_16rocsparse_order_S3_T4_S4_S4_T3_NS_24const_host_device_scalarIT2_EEPKT5_lPKT6_lS8_PT7_PKS5_PKS4_21rocsparse_index_base_b
; %bb.0:
	s_load_dwordx2 s[10:11], s[0:1], 0x68
	s_load_dwordx2 s[6:7], s[0:1], 0x20
	s_load_dwordx4 s[12:15], s[0:1], 0x40
	s_waitcnt lgkmcnt(0)
	s_bitcmp1_b32 s11, 0
	s_cselect_b64 s[8:9], -1, 0
	s_xor_b64 s[4:5], s[8:9], -1
	s_and_b64 vcc, exec, s[8:9]
	v_mov_b64_e32 v[2:3], s[6:7]
	s_cbranch_vccnz .LBB42_2
; %bb.1:
	v_mov_b64_e32 v[2:3], s[6:7]
	flat_load_dwordx2 v[2:3], v[2:3]
.LBB42_2:
	s_andn2_b64 vcc, exec, s[4:5]
	v_mov_b64_e32 v[4:5], s[14:15]
	s_cbranch_vccnz .LBB42_4
; %bb.3:
	v_mov_b64_e32 v[4:5], s[14:15]
	flat_load_dwordx2 v[4:5], v[4:5]
.LBB42_4:
	s_waitcnt vmcnt(0) lgkmcnt(0)
	v_cmp_neq_f64_e32 vcc, 0, v[2:3]
	v_cmp_neq_f64_e64 s[4:5], 1.0, v[4:5]
	s_or_b64 s[4:5], vcc, s[4:5]
	s_and_saveexec_b64 s[6:7], s[4:5]
	s_cbranch_execz .LBB42_34
; %bb.5:
	s_load_dword s3, s[0:1], 0x10
	v_lshrrev_b32_e32 v1, 2, v0
	v_lshl_or_b32 v8, s2, 7, v1
	s_waitcnt lgkmcnt(0)
	v_cmp_gt_i32_e32 vcc, s3, v8
	s_and_b64 exec, exec, vcc
	s_cbranch_execz .LBB42_34
; %bb.6:
	s_load_dwordx4 s[4:7], s[0:1], 0x0
	s_load_dwordx2 s[14:15], s[0:1], 0x58
	s_load_dwordx2 s[2:3], s[0:1], 0x30
	v_ashrrev_i32_e32 v9, 31, v8
	s_waitcnt lgkmcnt(0)
	s_cmp_eq_u32 s6, 1
	s_cselect_b64 s[8:9], -1, 0
	s_cmpk_eq_i32 s4, 0x6f
	s_cselect_b64 s[16:17], -1, 0
	s_cmpk_lg_i32 s4, 0x6f
	s_cselect_b64 s[18:19], -1, 0
	s_cmp_lg_u32 s6, 1
	s_cbranch_scc0 .LBB42_10
; %bb.7:
	s_andn2_b64 vcc, exec, s[16:17]
	v_mov_b64_e32 v[6:7], v[8:9]
	s_cbranch_vccnz .LBB42_9
; %bb.8:
	v_mul_lo_u32 v10, s3, v8
	v_mul_lo_u32 v11, s2, v9
	v_mad_u64_u32 v[6:7], s[20:21], s2, v8, 0
	v_add3_u32 v7, v7, v11, v10
.LBB42_9:
	s_cbranch_execz .LBB42_11
	s_branch .LBB42_13
.LBB42_10:
                                        ; implicit-def: $vgpr6_vgpr7
.LBB42_11:
	s_andn2_b64 vcc, exec, s[18:19]
	v_mov_b64_e32 v[6:7], v[8:9]
	s_cbranch_vccnz .LBB42_13
; %bb.12:
	v_mul_lo_u32 v10, s3, v8
	v_mul_lo_u32 v11, s2, v9
	v_mad_u64_u32 v[6:7], s[18:19], s2, v8, 0
	v_add3_u32 v7, v7, v11, v10
.LBB42_13:
	v_lshl_add_u64 v[8:9], v[8:9], 2, s[14:15]
	global_load_dwordx2 v[8:9], v[8:9], off
	s_waitcnt vmcnt(0)
	v_cmp_lt_i32_e32 vcc, v8, v9
	s_and_b64 exec, exec, vcc
	s_cbranch_execz .LBB42_34
; %bb.14:
	s_xor_b64 s[8:9], s[16:17], s[8:9]
	s_and_b64 s[8:9], s[8:9], exec
	s_cselect_b32 s9, 0, s3
	s_cselect_b32 s8, 1, s2
	s_cmp_lg_u32 s7, 1
	s_cselect_b64 s[16:17], -1, 0
	s_cmp_eq_u32 s7, 1
	s_cselect_b64 s[2:3], -1, 0
	s_cmpk_eq_i32 s5, 0x6f
	v_and_b32_e32 v16, 3, v0
	s_cselect_b64 s[6:7], -1, 0
	s_cmpk_lg_i32 s5, 0x6f
	v_subrev_u32_e32 v0, s10, v8
	v_subrev_u32_e32 v19, s10, v9
	v_mad_u64_u32 v[8:9], s[24:25], s8, v16, 0
	s_cselect_b64 s[26:27], -1, 0
	v_cndmask_b32_e64 v12, 0, 1, s[6:7]
	s_xor_b64 s[2:3], s[6:7], s[2:3]
	s_load_dwordx2 s[6:7], s[0:1], 0x38
	s_load_dwordx2 s[18:19], s[0:1], 0x50
	;; [unrolled: 1-line block ×3, first 2 shown]
	s_load_dword s11, s[0:1], 0x18
	v_mov_b32_e32 v10, v9
	v_mad_u64_u32 v[10:11], s[24:25], s9, v16, v[10:11]
	s_and_b64 s[2:3], s[2:3], exec
	v_mov_b32_e32 v9, v10
	v_lshlrev_b64 v[6:7], 3, v[6:7]
	s_cselect_b32 s22, s12, 1
	v_lshl_add_u64 v[6:7], v[8:9], 3, v[6:7]
	s_load_dwordx2 s[14:15], s[0:1], 0x60
	s_cselect_b32 s23, s13, 0
	s_waitcnt lgkmcnt(0)
	v_lshl_add_u64 v[6:7], s[20:21], 0, v[6:7]
	s_lshl_b64 s[20:21], s[8:9], 5
	v_mad_u64_u32 v[8:9], s[8:9], s22, v16, 0
	v_mov_b32_e32 v10, v9
	v_mad_u64_u32 v[10:11], s[8:9], s23, v16, v[10:11]
	v_lshlrev_b32_e32 v17, 5, v1
	v_mov_b32_e32 v9, v10
	v_cndmask_b32_e64 v1, 0, 1, s[26:27]
	v_cmp_gt_i32_e64 s[0:1], s11, v16
	v_lshl_or_b32 v18, v16, 3, v17
	v_cmp_eq_u32_e64 s[2:3], 0, v16
	v_cmp_gt_u32_e64 s[4:5], 2, v16
	v_lshl_add_u64 v[8:9], v[8:9], 3, s[6:7]
	s_lshl_b64 s[22:23], s[22:23], 5
	s_mov_b64 s[24:25], 0
	v_cmp_ne_u32_e64 s[6:7], 1, v1
	v_cmp_ne_u32_e64 s[8:9], 1, v12
	s_branch .LBB42_16
.LBB42_15:                              ;   in Loop: Header=BB42_16 Depth=1
	s_or_b64 exec, exec, s[26:27]
	v_add_u32_e32 v0, 1, v0
	v_cmp_ge_i32_e32 vcc, v0, v19
	s_or_b64 s[24:25], vcc, s[24:25]
	s_andn2_b64 exec, exec, s[24:25]
	s_cbranch_execz .LBB42_34
.LBB42_16:                              ; =>This Loop Header: Depth=1
                                        ;     Child Loop BB42_26 Depth 2
	v_ashrrev_i32_e32 v1, 31, v0
	v_lshl_add_u64 v[10:11], v[0:1], 2, s[14:15]
	global_load_dword v10, v[10:11], off
	s_mov_b64 s[26:27], -1
	s_and_b64 vcc, exec, s[16:17]
                                        ; implicit-def: $vgpr12_vgpr13
	s_waitcnt vmcnt(0)
	v_subrev_u32_e32 v10, s10, v10
	v_ashrrev_i32_e32 v11, 31, v10
	s_cbranch_vccnz .LBB42_19
; %bb.17:                               ;   in Loop: Header=BB42_16 Depth=1
	s_andn2_b64 vcc, exec, s[26:27]
	s_cbranch_vccz .LBB42_22
.LBB42_18:                              ;   in Loop: Header=BB42_16 Depth=1
	v_mov_b64_e32 v[10:11], 0
	s_and_saveexec_b64 s[26:27], s[0:1]
	s_cbranch_execnz .LBB42_25
	s_branch .LBB42_28
.LBB42_19:                              ;   in Loop: Header=BB42_16 Depth=1
	s_and_b64 vcc, exec, s[6:7]
	v_mov_b64_e32 v[12:13], v[10:11]
	s_cbranch_vccnz .LBB42_21
; %bb.20:                               ;   in Loop: Header=BB42_16 Depth=1
	v_mul_lo_u32 v14, s13, v10
	v_mul_lo_u32 v15, s12, v11
	v_mad_u64_u32 v[12:13], s[26:27], s12, v10, 0
	v_add3_u32 v13, v13, v15, v14
.LBB42_21:                              ;   in Loop: Header=BB42_16 Depth=1
	s_cbranch_execnz .LBB42_18
.LBB42_22:                              ;   in Loop: Header=BB42_16 Depth=1
	s_and_b64 vcc, exec, s[8:9]
	s_cbranch_vccnz .LBB42_24
; %bb.23:                               ;   in Loop: Header=BB42_16 Depth=1
	v_mul_lo_u32 v12, s13, v10
	v_mul_lo_u32 v13, s12, v11
	v_mad_u64_u32 v[10:11], s[26:27], s12, v10, 0
	v_add3_u32 v11, v11, v13, v12
.LBB42_24:                              ;   in Loop: Header=BB42_16 Depth=1
	v_mov_b64_e32 v[12:13], v[10:11]
	v_mov_b64_e32 v[10:11], 0
	s_and_saveexec_b64 s[26:27], s[0:1]
	s_cbranch_execz .LBB42_28
.LBB42_25:                              ;   in Loop: Header=BB42_16 Depth=1
	v_lshl_add_u64 v[12:13], v[12:13], 3, v[8:9]
	v_mov_b64_e32 v[10:11], 0
	s_mov_b64 s[28:29], 0
	v_mov_b64_e32 v[14:15], v[6:7]
	v_mov_b32_e32 v20, v16
.LBB42_26:                              ;   Parent Loop BB42_16 Depth=1
                                        ; =>  This Inner Loop Header: Depth=2
	global_load_dwordx2 v[22:23], v[14:15], off
	global_load_dwordx2 v[24:25], v[12:13], off
	v_add_u32_e32 v20, 4, v20
	v_cmp_le_i32_e32 vcc, s11, v20
	v_lshl_add_u64 v[14:15], v[14:15], 0, s[20:21]
	v_lshl_add_u64 v[12:13], v[12:13], 0, s[22:23]
	s_or_b64 s[28:29], vcc, s[28:29]
	s_waitcnt vmcnt(0)
	v_fmac_f64_e32 v[10:11], v[22:23], v[24:25]
	s_andn2_b64 exec, exec, s[28:29]
	s_cbranch_execnz .LBB42_26
; %bb.27:                               ;   in Loop: Header=BB42_16 Depth=1
	s_or_b64 exec, exec, s[28:29]
.LBB42_28:                              ;   in Loop: Header=BB42_16 Depth=1
	s_or_b64 exec, exec, s[26:27]
	ds_write_b64 v18, v[10:11]
	s_waitcnt lgkmcnt(0)
	s_barrier
	s_and_saveexec_b64 s[26:27], s[4:5]
	s_cbranch_execz .LBB42_30
; %bb.29:                               ;   in Loop: Header=BB42_16 Depth=1
	ds_read2_b64 v[10:13], v18 offset1:2
	s_waitcnt lgkmcnt(0)
	v_add_f64 v[10:11], v[12:13], v[10:11]
	ds_write_b64 v18, v[10:11]
.LBB42_30:                              ;   in Loop: Header=BB42_16 Depth=1
	s_or_b64 exec, exec, s[26:27]
	s_waitcnt lgkmcnt(0)
	s_barrier
	s_and_saveexec_b64 s[26:27], s[2:3]
	s_cbranch_execz .LBB42_32
; %bb.31:                               ;   in Loop: Header=BB42_16 Depth=1
	ds_read2_b64 v[10:13], v18 offset1:1
	s_waitcnt lgkmcnt(0)
	v_add_f64 v[10:11], v[12:13], v[10:11]
	ds_write_b64 v18, v[10:11]
.LBB42_32:                              ;   in Loop: Header=BB42_16 Depth=1
	s_or_b64 exec, exec, s[26:27]
	s_waitcnt lgkmcnt(0)
	s_barrier
	s_and_saveexec_b64 s[26:27], s[2:3]
	s_cbranch_execz .LBB42_15
; %bb.33:                               ;   in Loop: Header=BB42_16 Depth=1
	v_lshl_add_u64 v[10:11], v[0:1], 3, s[18:19]
	global_load_dwordx2 v[12:13], v[10:11], off
	ds_read_b64 v[14:15], v17
	s_waitcnt lgkmcnt(0)
	v_mul_f64 v[14:15], v[2:3], v[14:15]
	s_waitcnt vmcnt(0)
	v_fmac_f64_e32 v[14:15], v[4:5], v[12:13]
	global_store_dwordx2 v[10:11], v[14:15], off
	s_branch .LBB42_15
.LBB42_34:
	s_endpgm
	.section	.rodata,"a",@progbits
	.p2align	6, 0x0
	.amdhsa_kernel _ZN9rocsparseL16sddmm_csx_kernelILi512ELi4EL20rocsparse_direction_0EdiidddEEv20rocsparse_operation_S2_16rocsparse_order_S3_T4_S4_S4_T3_NS_24const_host_device_scalarIT2_EEPKT5_lPKT6_lS8_PT7_PKS5_PKS4_21rocsparse_index_base_b
		.amdhsa_group_segment_fixed_size 4096
		.amdhsa_private_segment_fixed_size 0
		.amdhsa_kernarg_size 112
		.amdhsa_user_sgpr_count 2
		.amdhsa_user_sgpr_dispatch_ptr 0
		.amdhsa_user_sgpr_queue_ptr 0
		.amdhsa_user_sgpr_kernarg_segment_ptr 1
		.amdhsa_user_sgpr_dispatch_id 0
		.amdhsa_user_sgpr_kernarg_preload_length 0
		.amdhsa_user_sgpr_kernarg_preload_offset 0
		.amdhsa_user_sgpr_private_segment_size 0
		.amdhsa_uses_dynamic_stack 0
		.amdhsa_enable_private_segment 0
		.amdhsa_system_sgpr_workgroup_id_x 1
		.amdhsa_system_sgpr_workgroup_id_y 0
		.amdhsa_system_sgpr_workgroup_id_z 0
		.amdhsa_system_sgpr_workgroup_info 0
		.amdhsa_system_vgpr_workitem_id 0
		.amdhsa_next_free_vgpr 26
		.amdhsa_next_free_sgpr 30
		.amdhsa_accum_offset 28
		.amdhsa_reserve_vcc 1
		.amdhsa_float_round_mode_32 0
		.amdhsa_float_round_mode_16_64 0
		.amdhsa_float_denorm_mode_32 3
		.amdhsa_float_denorm_mode_16_64 3
		.amdhsa_dx10_clamp 1
		.amdhsa_ieee_mode 1
		.amdhsa_fp16_overflow 0
		.amdhsa_tg_split 0
		.amdhsa_exception_fp_ieee_invalid_op 0
		.amdhsa_exception_fp_denorm_src 0
		.amdhsa_exception_fp_ieee_div_zero 0
		.amdhsa_exception_fp_ieee_overflow 0
		.amdhsa_exception_fp_ieee_underflow 0
		.amdhsa_exception_fp_ieee_inexact 0
		.amdhsa_exception_int_div_zero 0
	.end_amdhsa_kernel
	.section	.text._ZN9rocsparseL16sddmm_csx_kernelILi512ELi4EL20rocsparse_direction_0EdiidddEEv20rocsparse_operation_S2_16rocsparse_order_S3_T4_S4_S4_T3_NS_24const_host_device_scalarIT2_EEPKT5_lPKT6_lS8_PT7_PKS5_PKS4_21rocsparse_index_base_b,"axG",@progbits,_ZN9rocsparseL16sddmm_csx_kernelILi512ELi4EL20rocsparse_direction_0EdiidddEEv20rocsparse_operation_S2_16rocsparse_order_S3_T4_S4_S4_T3_NS_24const_host_device_scalarIT2_EEPKT5_lPKT6_lS8_PT7_PKS5_PKS4_21rocsparse_index_base_b,comdat
.Lfunc_end42:
	.size	_ZN9rocsparseL16sddmm_csx_kernelILi512ELi4EL20rocsparse_direction_0EdiidddEEv20rocsparse_operation_S2_16rocsparse_order_S3_T4_S4_S4_T3_NS_24const_host_device_scalarIT2_EEPKT5_lPKT6_lS8_PT7_PKS5_PKS4_21rocsparse_index_base_b, .Lfunc_end42-_ZN9rocsparseL16sddmm_csx_kernelILi512ELi4EL20rocsparse_direction_0EdiidddEEv20rocsparse_operation_S2_16rocsparse_order_S3_T4_S4_S4_T3_NS_24const_host_device_scalarIT2_EEPKT5_lPKT6_lS8_PT7_PKS5_PKS4_21rocsparse_index_base_b
                                        ; -- End function
	.set _ZN9rocsparseL16sddmm_csx_kernelILi512ELi4EL20rocsparse_direction_0EdiidddEEv20rocsparse_operation_S2_16rocsparse_order_S3_T4_S4_S4_T3_NS_24const_host_device_scalarIT2_EEPKT5_lPKT6_lS8_PT7_PKS5_PKS4_21rocsparse_index_base_b.num_vgpr, 26
	.set _ZN9rocsparseL16sddmm_csx_kernelILi512ELi4EL20rocsparse_direction_0EdiidddEEv20rocsparse_operation_S2_16rocsparse_order_S3_T4_S4_S4_T3_NS_24const_host_device_scalarIT2_EEPKT5_lPKT6_lS8_PT7_PKS5_PKS4_21rocsparse_index_base_b.num_agpr, 0
	.set _ZN9rocsparseL16sddmm_csx_kernelILi512ELi4EL20rocsparse_direction_0EdiidddEEv20rocsparse_operation_S2_16rocsparse_order_S3_T4_S4_S4_T3_NS_24const_host_device_scalarIT2_EEPKT5_lPKT6_lS8_PT7_PKS5_PKS4_21rocsparse_index_base_b.numbered_sgpr, 30
	.set _ZN9rocsparseL16sddmm_csx_kernelILi512ELi4EL20rocsparse_direction_0EdiidddEEv20rocsparse_operation_S2_16rocsparse_order_S3_T4_S4_S4_T3_NS_24const_host_device_scalarIT2_EEPKT5_lPKT6_lS8_PT7_PKS5_PKS4_21rocsparse_index_base_b.num_named_barrier, 0
	.set _ZN9rocsparseL16sddmm_csx_kernelILi512ELi4EL20rocsparse_direction_0EdiidddEEv20rocsparse_operation_S2_16rocsparse_order_S3_T4_S4_S4_T3_NS_24const_host_device_scalarIT2_EEPKT5_lPKT6_lS8_PT7_PKS5_PKS4_21rocsparse_index_base_b.private_seg_size, 0
	.set _ZN9rocsparseL16sddmm_csx_kernelILi512ELi4EL20rocsparse_direction_0EdiidddEEv20rocsparse_operation_S2_16rocsparse_order_S3_T4_S4_S4_T3_NS_24const_host_device_scalarIT2_EEPKT5_lPKT6_lS8_PT7_PKS5_PKS4_21rocsparse_index_base_b.uses_vcc, 1
	.set _ZN9rocsparseL16sddmm_csx_kernelILi512ELi4EL20rocsparse_direction_0EdiidddEEv20rocsparse_operation_S2_16rocsparse_order_S3_T4_S4_S4_T3_NS_24const_host_device_scalarIT2_EEPKT5_lPKT6_lS8_PT7_PKS5_PKS4_21rocsparse_index_base_b.uses_flat_scratch, 0
	.set _ZN9rocsparseL16sddmm_csx_kernelILi512ELi4EL20rocsparse_direction_0EdiidddEEv20rocsparse_operation_S2_16rocsparse_order_S3_T4_S4_S4_T3_NS_24const_host_device_scalarIT2_EEPKT5_lPKT6_lS8_PT7_PKS5_PKS4_21rocsparse_index_base_b.has_dyn_sized_stack, 0
	.set _ZN9rocsparseL16sddmm_csx_kernelILi512ELi4EL20rocsparse_direction_0EdiidddEEv20rocsparse_operation_S2_16rocsparse_order_S3_T4_S4_S4_T3_NS_24const_host_device_scalarIT2_EEPKT5_lPKT6_lS8_PT7_PKS5_PKS4_21rocsparse_index_base_b.has_recursion, 0
	.set _ZN9rocsparseL16sddmm_csx_kernelILi512ELi4EL20rocsparse_direction_0EdiidddEEv20rocsparse_operation_S2_16rocsparse_order_S3_T4_S4_S4_T3_NS_24const_host_device_scalarIT2_EEPKT5_lPKT6_lS8_PT7_PKS5_PKS4_21rocsparse_index_base_b.has_indirect_call, 0
	.section	.AMDGPU.csdata,"",@progbits
; Kernel info:
; codeLenInByte = 1096
; TotalNumSgprs: 36
; NumVgprs: 26
; NumAgprs: 0
; TotalNumVgprs: 26
; ScratchSize: 0
; MemoryBound: 0
; FloatMode: 240
; IeeeMode: 1
; LDSByteSize: 4096 bytes/workgroup (compile time only)
; SGPRBlocks: 4
; VGPRBlocks: 3
; NumSGPRsForWavesPerEU: 36
; NumVGPRsForWavesPerEU: 26
; AccumOffset: 28
; Occupancy: 8
; WaveLimiterHint : 1
; COMPUTE_PGM_RSRC2:SCRATCH_EN: 0
; COMPUTE_PGM_RSRC2:USER_SGPR: 2
; COMPUTE_PGM_RSRC2:TRAP_HANDLER: 0
; COMPUTE_PGM_RSRC2:TGID_X_EN: 1
; COMPUTE_PGM_RSRC2:TGID_Y_EN: 0
; COMPUTE_PGM_RSRC2:TGID_Z_EN: 0
; COMPUTE_PGM_RSRC2:TIDIG_COMP_CNT: 0
; COMPUTE_PGM_RSRC3_GFX90A:ACCUM_OFFSET: 6
; COMPUTE_PGM_RSRC3_GFX90A:TG_SPLIT: 0
	.section	.text._ZN9rocsparseL16sddmm_csx_kernelILi512ELi2EL20rocsparse_direction_0EdiidddEEv20rocsparse_operation_S2_16rocsparse_order_S3_T4_S4_S4_T3_NS_24const_host_device_scalarIT2_EEPKT5_lPKT6_lS8_PT7_PKS5_PKS4_21rocsparse_index_base_b,"axG",@progbits,_ZN9rocsparseL16sddmm_csx_kernelILi512ELi2EL20rocsparse_direction_0EdiidddEEv20rocsparse_operation_S2_16rocsparse_order_S3_T4_S4_S4_T3_NS_24const_host_device_scalarIT2_EEPKT5_lPKT6_lS8_PT7_PKS5_PKS4_21rocsparse_index_base_b,comdat
	.globl	_ZN9rocsparseL16sddmm_csx_kernelILi512ELi2EL20rocsparse_direction_0EdiidddEEv20rocsparse_operation_S2_16rocsparse_order_S3_T4_S4_S4_T3_NS_24const_host_device_scalarIT2_EEPKT5_lPKT6_lS8_PT7_PKS5_PKS4_21rocsparse_index_base_b ; -- Begin function _ZN9rocsparseL16sddmm_csx_kernelILi512ELi2EL20rocsparse_direction_0EdiidddEEv20rocsparse_operation_S2_16rocsparse_order_S3_T4_S4_S4_T3_NS_24const_host_device_scalarIT2_EEPKT5_lPKT6_lS8_PT7_PKS5_PKS4_21rocsparse_index_base_b
	.p2align	8
	.type	_ZN9rocsparseL16sddmm_csx_kernelILi512ELi2EL20rocsparse_direction_0EdiidddEEv20rocsparse_operation_S2_16rocsparse_order_S3_T4_S4_S4_T3_NS_24const_host_device_scalarIT2_EEPKT5_lPKT6_lS8_PT7_PKS5_PKS4_21rocsparse_index_base_b,@function
_ZN9rocsparseL16sddmm_csx_kernelILi512ELi2EL20rocsparse_direction_0EdiidddEEv20rocsparse_operation_S2_16rocsparse_order_S3_T4_S4_S4_T3_NS_24const_host_device_scalarIT2_EEPKT5_lPKT6_lS8_PT7_PKS5_PKS4_21rocsparse_index_base_b: ; @_ZN9rocsparseL16sddmm_csx_kernelILi512ELi2EL20rocsparse_direction_0EdiidddEEv20rocsparse_operation_S2_16rocsparse_order_S3_T4_S4_S4_T3_NS_24const_host_device_scalarIT2_EEPKT5_lPKT6_lS8_PT7_PKS5_PKS4_21rocsparse_index_base_b
; %bb.0:
	s_load_dwordx2 s[12:13], s[0:1], 0x68
	s_load_dwordx2 s[6:7], s[0:1], 0x20
	s_load_dwordx4 s[8:11], s[0:1], 0x40
	s_waitcnt lgkmcnt(0)
	s_bitcmp1_b32 s13, 0
	s_cselect_b64 s[14:15], -1, 0
	s_xor_b64 s[4:5], s[14:15], -1
	s_and_b64 vcc, exec, s[14:15]
	v_mov_b64_e32 v[2:3], s[6:7]
	s_cbranch_vccnz .LBB43_2
; %bb.1:
	v_mov_b64_e32 v[2:3], s[6:7]
	flat_load_dwordx2 v[2:3], v[2:3]
.LBB43_2:
	s_andn2_b64 vcc, exec, s[4:5]
	v_mov_b64_e32 v[4:5], s[10:11]
	s_cbranch_vccnz .LBB43_4
; %bb.3:
	v_mov_b64_e32 v[4:5], s[10:11]
	flat_load_dwordx2 v[4:5], v[4:5]
.LBB43_4:
	s_waitcnt vmcnt(0) lgkmcnt(0)
	v_cmp_neq_f64_e32 vcc, 0, v[2:3]
	v_cmp_neq_f64_e64 s[4:5], 1.0, v[4:5]
	s_or_b64 s[4:5], vcc, s[4:5]
	s_and_saveexec_b64 s[6:7], s[4:5]
	s_cbranch_execz .LBB43_32
; %bb.5:
	s_load_dword s3, s[0:1], 0x10
	v_lshrrev_b32_e32 v1, 1, v0
	v_lshl_or_b32 v8, s2, 8, v1
	s_waitcnt lgkmcnt(0)
	v_cmp_gt_i32_e32 vcc, s3, v8
	s_and_b64 exec, exec, vcc
	s_cbranch_execz .LBB43_32
; %bb.6:
	s_load_dwordx4 s[4:7], s[0:1], 0x0
	s_load_dwordx2 s[10:11], s[0:1], 0x58
	s_load_dwordx2 s[2:3], s[0:1], 0x30
	v_ashrrev_i32_e32 v9, 31, v8
	s_waitcnt lgkmcnt(0)
	s_cmp_eq_u32 s6, 1
	s_cselect_b64 s[14:15], -1, 0
	s_cmpk_eq_i32 s4, 0x6f
	s_cselect_b64 s[16:17], -1, 0
	s_cmpk_lg_i32 s4, 0x6f
	s_cselect_b64 s[18:19], -1, 0
	s_cmp_lg_u32 s6, 1
	s_cbranch_scc0 .LBB43_10
; %bb.7:
	s_andn2_b64 vcc, exec, s[16:17]
	v_mov_b64_e32 v[6:7], v[8:9]
	s_cbranch_vccnz .LBB43_9
; %bb.8:
	v_mul_lo_u32 v10, s3, v8
	v_mul_lo_u32 v11, s2, v9
	v_mad_u64_u32 v[6:7], s[20:21], s2, v8, 0
	v_add3_u32 v7, v7, v11, v10
.LBB43_9:
	s_cbranch_execz .LBB43_11
	s_branch .LBB43_13
.LBB43_10:
                                        ; implicit-def: $vgpr6_vgpr7
.LBB43_11:
	s_andn2_b64 vcc, exec, s[18:19]
	v_mov_b64_e32 v[6:7], v[8:9]
	s_cbranch_vccnz .LBB43_13
; %bb.12:
	v_mul_lo_u32 v10, s3, v8
	v_mul_lo_u32 v11, s2, v9
	v_mad_u64_u32 v[6:7], s[18:19], s2, v8, 0
	v_add3_u32 v7, v7, v11, v10
.LBB43_13:
	v_lshl_add_u64 v[8:9], v[8:9], 2, s[10:11]
	global_load_dwordx2 v[8:9], v[8:9], off
	s_waitcnt vmcnt(0)
	v_cmp_lt_i32_e32 vcc, v8, v9
	s_and_b64 exec, exec, vcc
	s_cbranch_execz .LBB43_32
; %bb.14:
	s_xor_b64 s[14:15], s[16:17], s[14:15]
	s_and_b64 s[14:15], s[14:15], exec
	s_cselect_b32 s19, 0, s3
	s_cselect_b32 s18, 1, s2
	s_cmp_lg_u32 s7, 1
	s_cselect_b64 s[14:15], -1, 0
	s_cmp_eq_u32 s7, 1
	s_cselect_b64 s[2:3], -1, 0
	s_cmpk_eq_i32 s5, 0x6f
	s_cselect_b64 s[6:7], -1, 0
	s_cmpk_lg_i32 s5, 0x6f
	s_cselect_b64 s[4:5], -1, 0
	v_cndmask_b32_e64 v10, 0, 1, s[6:7]
	s_xor_b64 s[2:3], s[6:7], s[2:3]
	s_load_dwordx2 s[6:7], s[0:1], 0x38
	s_load_dwordx2 s[16:17], s[0:1], 0x50
	;; [unrolled: 1-line block ×3, first 2 shown]
	s_load_dword s13, s[0:1], 0x18
	s_load_dwordx2 s[10:11], s[0:1], 0x60
	s_and_b64 s[2:3], s[2:3], exec
	v_and_b32_e32 v16, 1, v0
	s_cselect_b32 s23, s9, 0
	s_cselect_b32 s22, s8, 1
	v_subrev_u32_e32 v0, s12, v8
	v_subrev_u32_e32 v19, s12, v9
	v_mul_lo_u32 v9, s19, v16
	v_mul_lo_u32 v8, s18, v16
	v_lshlrev_b64 v[6:7], 3, v[6:7]
	v_lshlrev_b32_e32 v17, 4, v1
	v_lshl_add_u64 v[6:7], v[8:9], 3, v[6:7]
	v_mul_lo_u32 v9, s23, v16
	v_mul_lo_u32 v8, s22, v16
	v_cndmask_b32_e64 v1, 0, 1, s[4:5]
	s_waitcnt lgkmcnt(0)
	v_cmp_gt_i32_e64 s[0:1], s13, v16
	v_lshl_or_b32 v18, v16, 3, v17
	v_cmp_eq_u32_e64 s[2:3], 0, v16
	v_lshl_add_u64 v[6:7], s[20:21], 0, v[6:7]
	s_lshl_b64 s[18:19], s[18:19], 4
	v_lshl_add_u64 v[8:9], v[8:9], 3, s[6:7]
	s_lshl_b64 s[20:21], s[22:23], 4
	s_mov_b64 s[22:23], 0
	v_cmp_ne_u32_e64 s[4:5], 1, v1
	v_cmp_ne_u32_e64 s[6:7], 1, v10
	s_branch .LBB43_16
.LBB43_15:                              ;   in Loop: Header=BB43_16 Depth=1
	s_or_b64 exec, exec, s[24:25]
	v_add_u32_e32 v0, 1, v0
	v_cmp_ge_i32_e32 vcc, v0, v19
	s_or_b64 s[22:23], vcc, s[22:23]
	s_andn2_b64 exec, exec, s[22:23]
	s_cbranch_execz .LBB43_32
.LBB43_16:                              ; =>This Loop Header: Depth=1
                                        ;     Child Loop BB43_26 Depth 2
	v_ashrrev_i32_e32 v1, 31, v0
	v_lshl_add_u64 v[10:11], v[0:1], 2, s[10:11]
	global_load_dword v10, v[10:11], off
	s_mov_b64 s[24:25], -1
	s_and_b64 vcc, exec, s[14:15]
                                        ; implicit-def: $vgpr12_vgpr13
	s_waitcnt vmcnt(0)
	v_subrev_u32_e32 v10, s12, v10
	v_ashrrev_i32_e32 v11, 31, v10
	s_cbranch_vccnz .LBB43_19
; %bb.17:                               ;   in Loop: Header=BB43_16 Depth=1
	s_andn2_b64 vcc, exec, s[24:25]
	s_cbranch_vccz .LBB43_22
.LBB43_18:                              ;   in Loop: Header=BB43_16 Depth=1
	v_mov_b64_e32 v[10:11], 0
	s_and_saveexec_b64 s[24:25], s[0:1]
	s_cbranch_execnz .LBB43_25
	s_branch .LBB43_28
.LBB43_19:                              ;   in Loop: Header=BB43_16 Depth=1
	s_and_b64 vcc, exec, s[4:5]
	v_mov_b64_e32 v[12:13], v[10:11]
	s_cbranch_vccnz .LBB43_21
; %bb.20:                               ;   in Loop: Header=BB43_16 Depth=1
	v_mul_lo_u32 v14, s9, v10
	v_mul_lo_u32 v15, s8, v11
	v_mad_u64_u32 v[12:13], s[24:25], s8, v10, 0
	v_add3_u32 v13, v13, v15, v14
.LBB43_21:                              ;   in Loop: Header=BB43_16 Depth=1
	s_cbranch_execnz .LBB43_18
.LBB43_22:                              ;   in Loop: Header=BB43_16 Depth=1
	s_and_b64 vcc, exec, s[6:7]
	s_cbranch_vccnz .LBB43_24
; %bb.23:                               ;   in Loop: Header=BB43_16 Depth=1
	v_mul_lo_u32 v12, s9, v10
	v_mul_lo_u32 v13, s8, v11
	v_mad_u64_u32 v[10:11], s[24:25], s8, v10, 0
	v_add3_u32 v11, v11, v13, v12
.LBB43_24:                              ;   in Loop: Header=BB43_16 Depth=1
	v_mov_b64_e32 v[12:13], v[10:11]
	v_mov_b64_e32 v[10:11], 0
	s_and_saveexec_b64 s[24:25], s[0:1]
	s_cbranch_execz .LBB43_28
.LBB43_25:                              ;   in Loop: Header=BB43_16 Depth=1
	v_lshl_add_u64 v[12:13], v[12:13], 3, v[8:9]
	v_mov_b64_e32 v[10:11], 0
	s_mov_b64 s[26:27], 0
	v_mov_b64_e32 v[14:15], v[6:7]
	v_mov_b32_e32 v20, v16
.LBB43_26:                              ;   Parent Loop BB43_16 Depth=1
                                        ; =>  This Inner Loop Header: Depth=2
	global_load_dwordx2 v[22:23], v[14:15], off
	global_load_dwordx2 v[24:25], v[12:13], off
	v_add_u32_e32 v20, 2, v20
	v_cmp_le_i32_e32 vcc, s13, v20
	v_lshl_add_u64 v[14:15], v[14:15], 0, s[18:19]
	v_lshl_add_u64 v[12:13], v[12:13], 0, s[20:21]
	s_or_b64 s[26:27], vcc, s[26:27]
	s_waitcnt vmcnt(0)
	v_fmac_f64_e32 v[10:11], v[22:23], v[24:25]
	s_andn2_b64 exec, exec, s[26:27]
	s_cbranch_execnz .LBB43_26
; %bb.27:                               ;   in Loop: Header=BB43_16 Depth=1
	s_or_b64 exec, exec, s[26:27]
.LBB43_28:                              ;   in Loop: Header=BB43_16 Depth=1
	s_or_b64 exec, exec, s[24:25]
	ds_write_b64 v18, v[10:11]
	s_waitcnt lgkmcnt(0)
	s_barrier
	s_and_saveexec_b64 s[24:25], s[2:3]
	s_cbranch_execz .LBB43_30
; %bb.29:                               ;   in Loop: Header=BB43_16 Depth=1
	ds_read_b64 v[10:11], v17 offset:8
	ds_read_b64 v[12:13], v18
	s_waitcnt lgkmcnt(0)
	v_add_f64 v[10:11], v[10:11], v[12:13]
	ds_write_b64 v18, v[10:11]
.LBB43_30:                              ;   in Loop: Header=BB43_16 Depth=1
	s_or_b64 exec, exec, s[24:25]
	s_waitcnt lgkmcnt(0)
	s_barrier
	s_and_saveexec_b64 s[24:25], s[2:3]
	s_cbranch_execz .LBB43_15
; %bb.31:                               ;   in Loop: Header=BB43_16 Depth=1
	v_lshl_add_u64 v[10:11], v[0:1], 3, s[16:17]
	global_load_dwordx2 v[12:13], v[10:11], off
	ds_read_b64 v[14:15], v17
	s_waitcnt lgkmcnt(0)
	v_mul_f64 v[14:15], v[2:3], v[14:15]
	s_waitcnt vmcnt(0)
	v_fmac_f64_e32 v[14:15], v[4:5], v[12:13]
	global_store_dwordx2 v[10:11], v[14:15], off
	s_branch .LBB43_15
.LBB43_32:
	s_endpgm
	.section	.rodata,"a",@progbits
	.p2align	6, 0x0
	.amdhsa_kernel _ZN9rocsparseL16sddmm_csx_kernelILi512ELi2EL20rocsparse_direction_0EdiidddEEv20rocsparse_operation_S2_16rocsparse_order_S3_T4_S4_S4_T3_NS_24const_host_device_scalarIT2_EEPKT5_lPKT6_lS8_PT7_PKS5_PKS4_21rocsparse_index_base_b
		.amdhsa_group_segment_fixed_size 4096
		.amdhsa_private_segment_fixed_size 0
		.amdhsa_kernarg_size 112
		.amdhsa_user_sgpr_count 2
		.amdhsa_user_sgpr_dispatch_ptr 0
		.amdhsa_user_sgpr_queue_ptr 0
		.amdhsa_user_sgpr_kernarg_segment_ptr 1
		.amdhsa_user_sgpr_dispatch_id 0
		.amdhsa_user_sgpr_kernarg_preload_length 0
		.amdhsa_user_sgpr_kernarg_preload_offset 0
		.amdhsa_user_sgpr_private_segment_size 0
		.amdhsa_uses_dynamic_stack 0
		.amdhsa_enable_private_segment 0
		.amdhsa_system_sgpr_workgroup_id_x 1
		.amdhsa_system_sgpr_workgroup_id_y 0
		.amdhsa_system_sgpr_workgroup_id_z 0
		.amdhsa_system_sgpr_workgroup_info 0
		.amdhsa_system_vgpr_workitem_id 0
		.amdhsa_next_free_vgpr 26
		.amdhsa_next_free_sgpr 28
		.amdhsa_accum_offset 28
		.amdhsa_reserve_vcc 1
		.amdhsa_float_round_mode_32 0
		.amdhsa_float_round_mode_16_64 0
		.amdhsa_float_denorm_mode_32 3
		.amdhsa_float_denorm_mode_16_64 3
		.amdhsa_dx10_clamp 1
		.amdhsa_ieee_mode 1
		.amdhsa_fp16_overflow 0
		.amdhsa_tg_split 0
		.amdhsa_exception_fp_ieee_invalid_op 0
		.amdhsa_exception_fp_denorm_src 0
		.amdhsa_exception_fp_ieee_div_zero 0
		.amdhsa_exception_fp_ieee_overflow 0
		.amdhsa_exception_fp_ieee_underflow 0
		.amdhsa_exception_fp_ieee_inexact 0
		.amdhsa_exception_int_div_zero 0
	.end_amdhsa_kernel
	.section	.text._ZN9rocsparseL16sddmm_csx_kernelILi512ELi2EL20rocsparse_direction_0EdiidddEEv20rocsparse_operation_S2_16rocsparse_order_S3_T4_S4_S4_T3_NS_24const_host_device_scalarIT2_EEPKT5_lPKT6_lS8_PT7_PKS5_PKS4_21rocsparse_index_base_b,"axG",@progbits,_ZN9rocsparseL16sddmm_csx_kernelILi512ELi2EL20rocsparse_direction_0EdiidddEEv20rocsparse_operation_S2_16rocsparse_order_S3_T4_S4_S4_T3_NS_24const_host_device_scalarIT2_EEPKT5_lPKT6_lS8_PT7_PKS5_PKS4_21rocsparse_index_base_b,comdat
.Lfunc_end43:
	.size	_ZN9rocsparseL16sddmm_csx_kernelILi512ELi2EL20rocsparse_direction_0EdiidddEEv20rocsparse_operation_S2_16rocsparse_order_S3_T4_S4_S4_T3_NS_24const_host_device_scalarIT2_EEPKT5_lPKT6_lS8_PT7_PKS5_PKS4_21rocsparse_index_base_b, .Lfunc_end43-_ZN9rocsparseL16sddmm_csx_kernelILi512ELi2EL20rocsparse_direction_0EdiidddEEv20rocsparse_operation_S2_16rocsparse_order_S3_T4_S4_S4_T3_NS_24const_host_device_scalarIT2_EEPKT5_lPKT6_lS8_PT7_PKS5_PKS4_21rocsparse_index_base_b
                                        ; -- End function
	.set _ZN9rocsparseL16sddmm_csx_kernelILi512ELi2EL20rocsparse_direction_0EdiidddEEv20rocsparse_operation_S2_16rocsparse_order_S3_T4_S4_S4_T3_NS_24const_host_device_scalarIT2_EEPKT5_lPKT6_lS8_PT7_PKS5_PKS4_21rocsparse_index_base_b.num_vgpr, 26
	.set _ZN9rocsparseL16sddmm_csx_kernelILi512ELi2EL20rocsparse_direction_0EdiidddEEv20rocsparse_operation_S2_16rocsparse_order_S3_T4_S4_S4_T3_NS_24const_host_device_scalarIT2_EEPKT5_lPKT6_lS8_PT7_PKS5_PKS4_21rocsparse_index_base_b.num_agpr, 0
	.set _ZN9rocsparseL16sddmm_csx_kernelILi512ELi2EL20rocsparse_direction_0EdiidddEEv20rocsparse_operation_S2_16rocsparse_order_S3_T4_S4_S4_T3_NS_24const_host_device_scalarIT2_EEPKT5_lPKT6_lS8_PT7_PKS5_PKS4_21rocsparse_index_base_b.numbered_sgpr, 28
	.set _ZN9rocsparseL16sddmm_csx_kernelILi512ELi2EL20rocsparse_direction_0EdiidddEEv20rocsparse_operation_S2_16rocsparse_order_S3_T4_S4_S4_T3_NS_24const_host_device_scalarIT2_EEPKT5_lPKT6_lS8_PT7_PKS5_PKS4_21rocsparse_index_base_b.num_named_barrier, 0
	.set _ZN9rocsparseL16sddmm_csx_kernelILi512ELi2EL20rocsparse_direction_0EdiidddEEv20rocsparse_operation_S2_16rocsparse_order_S3_T4_S4_S4_T3_NS_24const_host_device_scalarIT2_EEPKT5_lPKT6_lS8_PT7_PKS5_PKS4_21rocsparse_index_base_b.private_seg_size, 0
	.set _ZN9rocsparseL16sddmm_csx_kernelILi512ELi2EL20rocsparse_direction_0EdiidddEEv20rocsparse_operation_S2_16rocsparse_order_S3_T4_S4_S4_T3_NS_24const_host_device_scalarIT2_EEPKT5_lPKT6_lS8_PT7_PKS5_PKS4_21rocsparse_index_base_b.uses_vcc, 1
	.set _ZN9rocsparseL16sddmm_csx_kernelILi512ELi2EL20rocsparse_direction_0EdiidddEEv20rocsparse_operation_S2_16rocsparse_order_S3_T4_S4_S4_T3_NS_24const_host_device_scalarIT2_EEPKT5_lPKT6_lS8_PT7_PKS5_PKS4_21rocsparse_index_base_b.uses_flat_scratch, 0
	.set _ZN9rocsparseL16sddmm_csx_kernelILi512ELi2EL20rocsparse_direction_0EdiidddEEv20rocsparse_operation_S2_16rocsparse_order_S3_T4_S4_S4_T3_NS_24const_host_device_scalarIT2_EEPKT5_lPKT6_lS8_PT7_PKS5_PKS4_21rocsparse_index_base_b.has_dyn_sized_stack, 0
	.set _ZN9rocsparseL16sddmm_csx_kernelILi512ELi2EL20rocsparse_direction_0EdiidddEEv20rocsparse_operation_S2_16rocsparse_order_S3_T4_S4_S4_T3_NS_24const_host_device_scalarIT2_EEPKT5_lPKT6_lS8_PT7_PKS5_PKS4_21rocsparse_index_base_b.has_recursion, 0
	.set _ZN9rocsparseL16sddmm_csx_kernelILi512ELi2EL20rocsparse_direction_0EdiidddEEv20rocsparse_operation_S2_16rocsparse_order_S3_T4_S4_S4_T3_NS_24const_host_device_scalarIT2_EEPKT5_lPKT6_lS8_PT7_PKS5_PKS4_21rocsparse_index_base_b.has_indirect_call, 0
	.section	.AMDGPU.csdata,"",@progbits
; Kernel info:
; codeLenInByte = 1032
; TotalNumSgprs: 34
; NumVgprs: 26
; NumAgprs: 0
; TotalNumVgprs: 26
; ScratchSize: 0
; MemoryBound: 0
; FloatMode: 240
; IeeeMode: 1
; LDSByteSize: 4096 bytes/workgroup (compile time only)
; SGPRBlocks: 4
; VGPRBlocks: 3
; NumSGPRsForWavesPerEU: 34
; NumVGPRsForWavesPerEU: 26
; AccumOffset: 28
; Occupancy: 8
; WaveLimiterHint : 1
; COMPUTE_PGM_RSRC2:SCRATCH_EN: 0
; COMPUTE_PGM_RSRC2:USER_SGPR: 2
; COMPUTE_PGM_RSRC2:TRAP_HANDLER: 0
; COMPUTE_PGM_RSRC2:TGID_X_EN: 1
; COMPUTE_PGM_RSRC2:TGID_Y_EN: 0
; COMPUTE_PGM_RSRC2:TGID_Z_EN: 0
; COMPUTE_PGM_RSRC2:TIDIG_COMP_CNT: 0
; COMPUTE_PGM_RSRC3_GFX90A:ACCUM_OFFSET: 6
; COMPUTE_PGM_RSRC3_GFX90A:TG_SPLIT: 0
	.section	.text._ZN9rocsparseL16sddmm_csx_kernelILi512ELi1EL20rocsparse_direction_0EdiidddEEv20rocsparse_operation_S2_16rocsparse_order_S3_T4_S4_S4_T3_NS_24const_host_device_scalarIT2_EEPKT5_lPKT6_lS8_PT7_PKS5_PKS4_21rocsparse_index_base_b,"axG",@progbits,_ZN9rocsparseL16sddmm_csx_kernelILi512ELi1EL20rocsparse_direction_0EdiidddEEv20rocsparse_operation_S2_16rocsparse_order_S3_T4_S4_S4_T3_NS_24const_host_device_scalarIT2_EEPKT5_lPKT6_lS8_PT7_PKS5_PKS4_21rocsparse_index_base_b,comdat
	.globl	_ZN9rocsparseL16sddmm_csx_kernelILi512ELi1EL20rocsparse_direction_0EdiidddEEv20rocsparse_operation_S2_16rocsparse_order_S3_T4_S4_S4_T3_NS_24const_host_device_scalarIT2_EEPKT5_lPKT6_lS8_PT7_PKS5_PKS4_21rocsparse_index_base_b ; -- Begin function _ZN9rocsparseL16sddmm_csx_kernelILi512ELi1EL20rocsparse_direction_0EdiidddEEv20rocsparse_operation_S2_16rocsparse_order_S3_T4_S4_S4_T3_NS_24const_host_device_scalarIT2_EEPKT5_lPKT6_lS8_PT7_PKS5_PKS4_21rocsparse_index_base_b
	.p2align	8
	.type	_ZN9rocsparseL16sddmm_csx_kernelILi512ELi1EL20rocsparse_direction_0EdiidddEEv20rocsparse_operation_S2_16rocsparse_order_S3_T4_S4_S4_T3_NS_24const_host_device_scalarIT2_EEPKT5_lPKT6_lS8_PT7_PKS5_PKS4_21rocsparse_index_base_b,@function
_ZN9rocsparseL16sddmm_csx_kernelILi512ELi1EL20rocsparse_direction_0EdiidddEEv20rocsparse_operation_S2_16rocsparse_order_S3_T4_S4_S4_T3_NS_24const_host_device_scalarIT2_EEPKT5_lPKT6_lS8_PT7_PKS5_PKS4_21rocsparse_index_base_b: ; @_ZN9rocsparseL16sddmm_csx_kernelILi512ELi1EL20rocsparse_direction_0EdiidddEEv20rocsparse_operation_S2_16rocsparse_order_S3_T4_S4_S4_T3_NS_24const_host_device_scalarIT2_EEPKT5_lPKT6_lS8_PT7_PKS5_PKS4_21rocsparse_index_base_b
; %bb.0:
	s_load_dwordx2 s[12:13], s[0:1], 0x68
	s_load_dwordx2 s[6:7], s[0:1], 0x20
	s_load_dwordx4 s[8:11], s[0:1], 0x40
	s_waitcnt lgkmcnt(0)
	s_bitcmp1_b32 s13, 0
	s_cselect_b64 s[14:15], -1, 0
	s_xor_b64 s[4:5], s[14:15], -1
	s_and_b64 vcc, exec, s[14:15]
	v_mov_b64_e32 v[2:3], s[6:7]
	s_cbranch_vccnz .LBB44_2
; %bb.1:
	v_mov_b64_e32 v[2:3], s[6:7]
	flat_load_dwordx2 v[2:3], v[2:3]
.LBB44_2:
	s_andn2_b64 vcc, exec, s[4:5]
	v_mov_b64_e32 v[4:5], s[10:11]
	s_cbranch_vccnz .LBB44_4
; %bb.3:
	v_mov_b64_e32 v[4:5], s[10:11]
	flat_load_dwordx2 v[4:5], v[4:5]
.LBB44_4:
	s_waitcnt vmcnt(0) lgkmcnt(0)
	v_cmp_neq_f64_e32 vcc, 0, v[2:3]
	v_cmp_neq_f64_e64 s[4:5], 1.0, v[4:5]
	s_or_b64 s[4:5], vcc, s[4:5]
	s_and_saveexec_b64 s[6:7], s[4:5]
	s_cbranch_execz .LBB44_28
; %bb.5:
	s_load_dword s3, s[0:1], 0x10
	v_lshl_or_b32 v6, s2, 9, v0
	s_waitcnt lgkmcnt(0)
	v_cmp_gt_i32_e32 vcc, s3, v6
	s_and_b64 exec, exec, vcc
	s_cbranch_execz .LBB44_28
; %bb.6:
	s_load_dwordx4 s[4:7], s[0:1], 0x0
	s_load_dwordx2 s[10:11], s[0:1], 0x58
	s_load_dwordx2 s[2:3], s[0:1], 0x30
	v_ashrrev_i32_e32 v7, 31, v6
	s_waitcnt lgkmcnt(0)
	s_cmp_eq_u32 s6, 1
	s_cselect_b64 s[18:19], -1, 0
	s_cmpk_eq_i32 s4, 0x6f
	s_cselect_b64 s[20:21], -1, 0
	s_cmpk_lg_i32 s4, 0x6f
	s_cselect_b64 s[14:15], -1, 0
	s_cmp_lg_u32 s6, 1
	s_cbranch_scc0 .LBB44_10
; %bb.7:
	s_andn2_b64 vcc, exec, s[20:21]
	v_mov_b64_e32 v[8:9], v[6:7]
	s_cbranch_vccnz .LBB44_9
; %bb.8:
	v_mul_lo_u32 v1, s3, v6
	v_mul_lo_u32 v10, s2, v7
	v_mad_u64_u32 v[8:9], s[16:17], s2, v6, 0
	v_add3_u32 v9, v9, v10, v1
.LBB44_9:
	s_cbranch_execz .LBB44_11
	s_branch .LBB44_13
.LBB44_10:
                                        ; implicit-def: $vgpr8_vgpr9
.LBB44_11:
	s_andn2_b64 vcc, exec, s[14:15]
	v_mov_b64_e32 v[8:9], v[6:7]
	s_cbranch_vccnz .LBB44_13
; %bb.12:
	v_mul_lo_u32 v1, s3, v6
	v_mul_lo_u32 v10, s2, v7
	v_mad_u64_u32 v[8:9], s[14:15], s2, v6, 0
	v_add3_u32 v9, v9, v10, v1
.LBB44_13:
	v_lshl_add_u64 v[6:7], v[6:7], 2, s[10:11]
	global_load_dwordx2 v[10:11], v[6:7], off
	s_waitcnt vmcnt(0)
	v_cmp_lt_i32_e32 vcc, v10, v11
	s_and_b64 exec, exec, vcc
	s_cbranch_execz .LBB44_28
; %bb.14:
	s_load_dwordx2 s[22:23], s[0:1], 0x28
	s_load_dwordx2 s[10:11], s[0:1], 0x60
	;; [unrolled: 1-line block ×4, first 2 shown]
	s_load_dword s13, s[0:1], 0x18
	s_xor_b64 s[0:1], s[20:21], s[18:19]
	s_and_b64 s[0:1], s[0:1], exec
	s_cselect_b32 s1, 0, s3
	s_cselect_b32 s0, 1, s2
	s_cmp_lg_u32 s7, 1
	s_cselect_b64 s[18:19], -1, 0
	s_cmp_eq_u32 s7, 1
	s_cselect_b64 s[2:3], -1, 0
	s_cmpk_eq_i32 s5, 0x6f
	s_cselect_b64 s[6:7], -1, 0
	s_cmpk_lg_i32 s5, 0x6f
	s_cselect_b64 s[4:5], -1, 0
	s_xor_b64 s[2:3], s[6:7], s[2:3]
	s_and_b64 s[2:3], s[2:3], exec
	s_cselect_b32 s3, s9, 0
	s_cselect_b32 s2, s8, 1
	s_waitcnt lgkmcnt(0)
	s_cmp_gt_i32 s13, 0
	s_cselect_b64 s[24:25], -1, 0
	v_lshlrev_b32_e32 v14, 3, v0
	v_cndmask_b32_e64 v0, 0, 1, s[4:5]
	v_cndmask_b32_e64 v1, 0, 1, s[6:7]
	s_lshl_b64 s[6:7], s[0:1], 3
	v_cmp_ne_u32_e64 s[0:1], 1, v0
	v_cndmask_b32_e64 v0, 0, 1, s[24:25]
	v_lshl_add_u64 v[6:7], v[8:9], 3, s[22:23]
	v_subrev_u32_e32 v8, s12, v10
	v_subrev_u32_e32 v15, s12, v11
	s_lshl_b64 s[20:21], s[2:3], 3
	s_mov_b64 s[22:23], 0
	v_cmp_ne_u32_e64 s[2:3], 1, v1
	v_cmp_ne_u32_e64 s[4:5], 1, v0
	s_branch .LBB44_17
.LBB44_15:                              ;   in Loop: Header=BB44_17 Depth=1
	v_mov_b64_e32 v[0:1], 0
.LBB44_16:                              ;   in Loop: Header=BB44_17 Depth=1
	ds_write_b64 v14, v[0:1]
	v_lshl_add_u64 v[0:1], v[8:9], 3, s[16:17]
	s_waitcnt lgkmcnt(0)
	s_barrier
	global_load_dwordx2 v[10:11], v[0:1], off
	ds_read_b64 v[12:13], v14
	v_add_u32_e32 v8, 1, v8
	v_cmp_ge_i32_e32 vcc, v8, v15
	s_or_b64 s[22:23], vcc, s[22:23]
	s_waitcnt lgkmcnt(0)
	v_mul_f64 v[12:13], v[2:3], v[12:13]
	s_waitcnt vmcnt(0)
	v_fmac_f64_e32 v[12:13], v[4:5], v[10:11]
	global_store_dwordx2 v[0:1], v[12:13], off
	s_andn2_b64 exec, exec, s[22:23]
	s_cbranch_execz .LBB44_28
.LBB44_17:                              ; =>This Loop Header: Depth=1
                                        ;     Child Loop BB44_27 Depth 2
	v_ashrrev_i32_e32 v9, 31, v8
	v_lshl_add_u64 v[0:1], v[8:9], 2, s[10:11]
	global_load_dword v0, v[0:1], off
	s_mov_b64 s[24:25], -1
	s_and_b64 vcc, exec, s[18:19]
                                        ; implicit-def: $vgpr10_vgpr11
	s_waitcnt vmcnt(0)
	v_subrev_u32_e32 v0, s12, v0
	v_ashrrev_i32_e32 v1, 31, v0
	s_cbranch_vccnz .LBB44_20
; %bb.18:                               ;   in Loop: Header=BB44_17 Depth=1
	s_andn2_b64 vcc, exec, s[24:25]
	s_cbranch_vccz .LBB44_23
.LBB44_19:                              ;   in Loop: Header=BB44_17 Depth=1
	s_and_b64 vcc, exec, s[4:5]
	s_cbranch_vccz .LBB44_26
	s_branch .LBB44_15
.LBB44_20:                              ;   in Loop: Header=BB44_17 Depth=1
	s_and_b64 vcc, exec, s[0:1]
	v_mov_b64_e32 v[10:11], v[0:1]
	s_cbranch_vccnz .LBB44_22
; %bb.21:                               ;   in Loop: Header=BB44_17 Depth=1
	v_mul_lo_u32 v12, s9, v0
	v_mul_lo_u32 v13, s8, v1
	v_mad_u64_u32 v[10:11], s[24:25], s8, v0, 0
	v_add3_u32 v11, v11, v13, v12
.LBB44_22:                              ;   in Loop: Header=BB44_17 Depth=1
	s_cbranch_execnz .LBB44_19
.LBB44_23:                              ;   in Loop: Header=BB44_17 Depth=1
	s_and_b64 vcc, exec, s[2:3]
	s_cbranch_vccnz .LBB44_25
; %bb.24:                               ;   in Loop: Header=BB44_17 Depth=1
	v_mul_lo_u32 v10, s9, v0
	v_mul_lo_u32 v11, s8, v1
	v_mad_u64_u32 v[0:1], s[24:25], s8, v0, 0
	v_add3_u32 v1, v1, v11, v10
.LBB44_25:                              ;   in Loop: Header=BB44_17 Depth=1
	v_mov_b64_e32 v[10:11], v[0:1]
	s_and_b64 vcc, exec, s[4:5]
	s_cbranch_vccnz .LBB44_15
.LBB44_26:                              ;   in Loop: Header=BB44_17 Depth=1
	v_lshl_add_u64 v[10:11], v[10:11], 3, s[14:15]
	v_mov_b64_e32 v[0:1], 0
	v_mov_b64_e32 v[12:13], v[6:7]
	s_mov_b32 s24, s13
.LBB44_27:                              ;   Parent Loop BB44_17 Depth=1
                                        ; =>  This Inner Loop Header: Depth=2
	global_load_dwordx2 v[16:17], v[12:13], off
	global_load_dwordx2 v[18:19], v[10:11], off
	s_add_i32 s24, s24, -1
	v_lshl_add_u64 v[12:13], v[12:13], 0, s[6:7]
	v_lshl_add_u64 v[10:11], v[10:11], 0, s[20:21]
	s_cmp_eq_u32 s24, 0
	s_waitcnt vmcnt(0)
	v_fmac_f64_e32 v[0:1], v[16:17], v[18:19]
	s_cbranch_scc0 .LBB44_27
	s_branch .LBB44_16
.LBB44_28:
	s_endpgm
	.section	.rodata,"a",@progbits
	.p2align	6, 0x0
	.amdhsa_kernel _ZN9rocsparseL16sddmm_csx_kernelILi512ELi1EL20rocsparse_direction_0EdiidddEEv20rocsparse_operation_S2_16rocsparse_order_S3_T4_S4_S4_T3_NS_24const_host_device_scalarIT2_EEPKT5_lPKT6_lS8_PT7_PKS5_PKS4_21rocsparse_index_base_b
		.amdhsa_group_segment_fixed_size 4096
		.amdhsa_private_segment_fixed_size 0
		.amdhsa_kernarg_size 112
		.amdhsa_user_sgpr_count 2
		.amdhsa_user_sgpr_dispatch_ptr 0
		.amdhsa_user_sgpr_queue_ptr 0
		.amdhsa_user_sgpr_kernarg_segment_ptr 1
		.amdhsa_user_sgpr_dispatch_id 0
		.amdhsa_user_sgpr_kernarg_preload_length 0
		.amdhsa_user_sgpr_kernarg_preload_offset 0
		.amdhsa_user_sgpr_private_segment_size 0
		.amdhsa_uses_dynamic_stack 0
		.amdhsa_enable_private_segment 0
		.amdhsa_system_sgpr_workgroup_id_x 1
		.amdhsa_system_sgpr_workgroup_id_y 0
		.amdhsa_system_sgpr_workgroup_id_z 0
		.amdhsa_system_sgpr_workgroup_info 0
		.amdhsa_system_vgpr_workitem_id 0
		.amdhsa_next_free_vgpr 20
		.amdhsa_next_free_sgpr 26
		.amdhsa_accum_offset 20
		.amdhsa_reserve_vcc 1
		.amdhsa_float_round_mode_32 0
		.amdhsa_float_round_mode_16_64 0
		.amdhsa_float_denorm_mode_32 3
		.amdhsa_float_denorm_mode_16_64 3
		.amdhsa_dx10_clamp 1
		.amdhsa_ieee_mode 1
		.amdhsa_fp16_overflow 0
		.amdhsa_tg_split 0
		.amdhsa_exception_fp_ieee_invalid_op 0
		.amdhsa_exception_fp_denorm_src 0
		.amdhsa_exception_fp_ieee_div_zero 0
		.amdhsa_exception_fp_ieee_overflow 0
		.amdhsa_exception_fp_ieee_underflow 0
		.amdhsa_exception_fp_ieee_inexact 0
		.amdhsa_exception_int_div_zero 0
	.end_amdhsa_kernel
	.section	.text._ZN9rocsparseL16sddmm_csx_kernelILi512ELi1EL20rocsparse_direction_0EdiidddEEv20rocsparse_operation_S2_16rocsparse_order_S3_T4_S4_S4_T3_NS_24const_host_device_scalarIT2_EEPKT5_lPKT6_lS8_PT7_PKS5_PKS4_21rocsparse_index_base_b,"axG",@progbits,_ZN9rocsparseL16sddmm_csx_kernelILi512ELi1EL20rocsparse_direction_0EdiidddEEv20rocsparse_operation_S2_16rocsparse_order_S3_T4_S4_S4_T3_NS_24const_host_device_scalarIT2_EEPKT5_lPKT6_lS8_PT7_PKS5_PKS4_21rocsparse_index_base_b,comdat
.Lfunc_end44:
	.size	_ZN9rocsparseL16sddmm_csx_kernelILi512ELi1EL20rocsparse_direction_0EdiidddEEv20rocsparse_operation_S2_16rocsparse_order_S3_T4_S4_S4_T3_NS_24const_host_device_scalarIT2_EEPKT5_lPKT6_lS8_PT7_PKS5_PKS4_21rocsparse_index_base_b, .Lfunc_end44-_ZN9rocsparseL16sddmm_csx_kernelILi512ELi1EL20rocsparse_direction_0EdiidddEEv20rocsparse_operation_S2_16rocsparse_order_S3_T4_S4_S4_T3_NS_24const_host_device_scalarIT2_EEPKT5_lPKT6_lS8_PT7_PKS5_PKS4_21rocsparse_index_base_b
                                        ; -- End function
	.set _ZN9rocsparseL16sddmm_csx_kernelILi512ELi1EL20rocsparse_direction_0EdiidddEEv20rocsparse_operation_S2_16rocsparse_order_S3_T4_S4_S4_T3_NS_24const_host_device_scalarIT2_EEPKT5_lPKT6_lS8_PT7_PKS5_PKS4_21rocsparse_index_base_b.num_vgpr, 20
	.set _ZN9rocsparseL16sddmm_csx_kernelILi512ELi1EL20rocsparse_direction_0EdiidddEEv20rocsparse_operation_S2_16rocsparse_order_S3_T4_S4_S4_T3_NS_24const_host_device_scalarIT2_EEPKT5_lPKT6_lS8_PT7_PKS5_PKS4_21rocsparse_index_base_b.num_agpr, 0
	.set _ZN9rocsparseL16sddmm_csx_kernelILi512ELi1EL20rocsparse_direction_0EdiidddEEv20rocsparse_operation_S2_16rocsparse_order_S3_T4_S4_S4_T3_NS_24const_host_device_scalarIT2_EEPKT5_lPKT6_lS8_PT7_PKS5_PKS4_21rocsparse_index_base_b.numbered_sgpr, 26
	.set _ZN9rocsparseL16sddmm_csx_kernelILi512ELi1EL20rocsparse_direction_0EdiidddEEv20rocsparse_operation_S2_16rocsparse_order_S3_T4_S4_S4_T3_NS_24const_host_device_scalarIT2_EEPKT5_lPKT6_lS8_PT7_PKS5_PKS4_21rocsparse_index_base_b.num_named_barrier, 0
	.set _ZN9rocsparseL16sddmm_csx_kernelILi512ELi1EL20rocsparse_direction_0EdiidddEEv20rocsparse_operation_S2_16rocsparse_order_S3_T4_S4_S4_T3_NS_24const_host_device_scalarIT2_EEPKT5_lPKT6_lS8_PT7_PKS5_PKS4_21rocsparse_index_base_b.private_seg_size, 0
	.set _ZN9rocsparseL16sddmm_csx_kernelILi512ELi1EL20rocsparse_direction_0EdiidddEEv20rocsparse_operation_S2_16rocsparse_order_S3_T4_S4_S4_T3_NS_24const_host_device_scalarIT2_EEPKT5_lPKT6_lS8_PT7_PKS5_PKS4_21rocsparse_index_base_b.uses_vcc, 1
	.set _ZN9rocsparseL16sddmm_csx_kernelILi512ELi1EL20rocsparse_direction_0EdiidddEEv20rocsparse_operation_S2_16rocsparse_order_S3_T4_S4_S4_T3_NS_24const_host_device_scalarIT2_EEPKT5_lPKT6_lS8_PT7_PKS5_PKS4_21rocsparse_index_base_b.uses_flat_scratch, 0
	.set _ZN9rocsparseL16sddmm_csx_kernelILi512ELi1EL20rocsparse_direction_0EdiidddEEv20rocsparse_operation_S2_16rocsparse_order_S3_T4_S4_S4_T3_NS_24const_host_device_scalarIT2_EEPKT5_lPKT6_lS8_PT7_PKS5_PKS4_21rocsparse_index_base_b.has_dyn_sized_stack, 0
	.set _ZN9rocsparseL16sddmm_csx_kernelILi512ELi1EL20rocsparse_direction_0EdiidddEEv20rocsparse_operation_S2_16rocsparse_order_S3_T4_S4_S4_T3_NS_24const_host_device_scalarIT2_EEPKT5_lPKT6_lS8_PT7_PKS5_PKS4_21rocsparse_index_base_b.has_recursion, 0
	.set _ZN9rocsparseL16sddmm_csx_kernelILi512ELi1EL20rocsparse_direction_0EdiidddEEv20rocsparse_operation_S2_16rocsparse_order_S3_T4_S4_S4_T3_NS_24const_host_device_scalarIT2_EEPKT5_lPKT6_lS8_PT7_PKS5_PKS4_21rocsparse_index_base_b.has_indirect_call, 0
	.section	.AMDGPU.csdata,"",@progbits
; Kernel info:
; codeLenInByte = 876
; TotalNumSgprs: 32
; NumVgprs: 20
; NumAgprs: 0
; TotalNumVgprs: 20
; ScratchSize: 0
; MemoryBound: 0
; FloatMode: 240
; IeeeMode: 1
; LDSByteSize: 4096 bytes/workgroup (compile time only)
; SGPRBlocks: 3
; VGPRBlocks: 2
; NumSGPRsForWavesPerEU: 32
; NumVGPRsForWavesPerEU: 20
; AccumOffset: 20
; Occupancy: 8
; WaveLimiterHint : 1
; COMPUTE_PGM_RSRC2:SCRATCH_EN: 0
; COMPUTE_PGM_RSRC2:USER_SGPR: 2
; COMPUTE_PGM_RSRC2:TRAP_HANDLER: 0
; COMPUTE_PGM_RSRC2:TGID_X_EN: 1
; COMPUTE_PGM_RSRC2:TGID_Y_EN: 0
; COMPUTE_PGM_RSRC2:TGID_Z_EN: 0
; COMPUTE_PGM_RSRC2:TIDIG_COMP_CNT: 0
; COMPUTE_PGM_RSRC3_GFX90A:ACCUM_OFFSET: 4
; COMPUTE_PGM_RSRC3_GFX90A:TG_SPLIT: 0
	.section	.text._ZN9rocsparseL16csr2dense_kernelILi16ELi32Eii21rocsparse_complex_numIfEEEviT2_S3_PKT3_PKT1_PKS3_PS4_l16rocsparse_order_,"axG",@progbits,_ZN9rocsparseL16csr2dense_kernelILi16ELi32Eii21rocsparse_complex_numIfEEEviT2_S3_PKT3_PKT1_PKS3_PS4_l16rocsparse_order_,comdat
	.globl	_ZN9rocsparseL16csr2dense_kernelILi16ELi32Eii21rocsparse_complex_numIfEEEviT2_S3_PKT3_PKT1_PKS3_PS4_l16rocsparse_order_ ; -- Begin function _ZN9rocsparseL16csr2dense_kernelILi16ELi32Eii21rocsparse_complex_numIfEEEviT2_S3_PKT3_PKT1_PKS3_PS4_l16rocsparse_order_
	.p2align	8
	.type	_ZN9rocsparseL16csr2dense_kernelILi16ELi32Eii21rocsparse_complex_numIfEEEviT2_S3_PKT3_PKT1_PKS3_PS4_l16rocsparse_order_,@function
_ZN9rocsparseL16csr2dense_kernelILi16ELi32Eii21rocsparse_complex_numIfEEEviT2_S3_PKT3_PKT1_PKS3_PS4_l16rocsparse_order_: ; @_ZN9rocsparseL16csr2dense_kernelILi16ELi32Eii21rocsparse_complex_numIfEEEviT2_S3_PKT3_PKT1_PKS3_PS4_l16rocsparse_order_
; %bb.0:
	s_load_dwordx2 s[8:9], s[0:1], 0x0
	v_lshrrev_b32_e32 v1, 5, v0
	v_lshl_or_b32 v2, s2, 4, v1
	s_waitcnt lgkmcnt(0)
	v_cmp_gt_i32_e32 vcc, s9, v2
	s_and_saveexec_b64 s[2:3], vcc
	s_cbranch_execz .LBB45_8
; %bb.1:
	s_load_dwordx2 s[2:3], s[0:1], 0x18
	v_ashrrev_i32_e32 v3, 31, v2
	v_and_b32_e32 v8, 31, v0
	s_waitcnt lgkmcnt(0)
	v_lshl_add_u64 v[4:5], v[2:3], 2, s[2:3]
	global_load_dwordx2 v[4:5], v[4:5], off
	s_waitcnt vmcnt(0)
	v_sub_u32_e32 v9, v5, v4
	v_cmp_lt_i32_e32 vcc, v8, v9
	s_and_b64 exec, exec, vcc
	s_cbranch_execz .LBB45_8
; %bb.2:
	s_load_dwordx4 s[4:7], s[0:1], 0x20
	s_load_dword s9, s[0:1], 0x38
	s_load_dwordx2 s[2:3], s[0:1], 0x10
	s_load_dwordx2 s[10:11], s[0:1], 0x30
	v_subrev_u32_e32 v10, s8, v4
	s_waitcnt lgkmcnt(0)
	v_lshl_add_u64 v[0:1], v[2:3], 3, s[6:7]
	s_cmp_lg_u32 s9, 1
	s_cselect_b64 s[0:1], -1, 0
	v_mul_lo_u32 v4, s11, v2
	v_mul_lo_u32 v5, s10, v3
	v_mad_u64_u32 v[2:3], s[12:13], s10, v2, 0
	v_add3_u32 v3, v3, v5, v4
	v_lshl_add_u64 v[2:3], v[2:3], 3, s[6:7]
	s_mov_b64 s[6:7], 0
	s_branch .LBB45_4
.LBB45_3:                               ;   in Loop: Header=BB45_4 Depth=1
	v_add_u32_e32 v8, 32, v8
	v_cmp_ge_i32_e32 vcc, v8, v9
	s_or_b64 s[6:7], vcc, s[6:7]
	s_andn2_b64 exec, exec, s[6:7]
	s_cbranch_execz .LBB45_8
.LBB45_4:                               ; =>This Inner Loop Header: Depth=1
	v_add_u32_e32 v4, v10, v8
	v_ashrrev_i32_e32 v5, 31, v4
	v_lshl_add_u64 v[6:7], v[4:5], 2, s[4:5]
	s_barrier
	global_load_dword v11, v[6:7], off
	v_lshl_add_u64 v[6:7], v[4:5], 3, s[2:3]
	s_mov_b64 s[12:13], -1
	s_and_b64 vcc, exec, s[0:1]
	s_waitcnt vmcnt(0)
	v_subrev_u32_e32 v4, s8, v11
	v_ashrrev_i32_e32 v5, 31, v4
	s_cbranch_vccz .LBB45_6
; %bb.5:                                ;   in Loop: Header=BB45_4 Depth=1
	global_load_dwordx2 v[12:13], v[6:7], off
	v_lshl_add_u64 v[14:15], v[4:5], 3, v[2:3]
	s_mov_b64 s[12:13], 0
	s_waitcnt vmcnt(0)
	global_store_dwordx2 v[14:15], v[12:13], off
.LBB45_6:                               ;   in Loop: Header=BB45_4 Depth=1
	s_andn2_b64 vcc, exec, s[12:13]
	s_cbranch_vccnz .LBB45_3
; %bb.7:                                ;   in Loop: Header=BB45_4 Depth=1
	global_load_dwordx2 v[6:7], v[6:7], off
	v_mul_lo_u32 v11, s11, v4
	v_mul_lo_u32 v12, s10, v5
	v_mad_u64_u32 v[4:5], s[12:13], s10, v4, 0
	v_add3_u32 v5, v5, v12, v11
	v_lshl_add_u64 v[4:5], v[4:5], 3, v[0:1]
	s_waitcnt vmcnt(0)
	global_store_dwordx2 v[4:5], v[6:7], off
	s_branch .LBB45_3
.LBB45_8:
	s_endpgm
	.section	.rodata,"a",@progbits
	.p2align	6, 0x0
	.amdhsa_kernel _ZN9rocsparseL16csr2dense_kernelILi16ELi32Eii21rocsparse_complex_numIfEEEviT2_S3_PKT3_PKT1_PKS3_PS4_l16rocsparse_order_
		.amdhsa_group_segment_fixed_size 0
		.amdhsa_private_segment_fixed_size 0
		.amdhsa_kernarg_size 60
		.amdhsa_user_sgpr_count 2
		.amdhsa_user_sgpr_dispatch_ptr 0
		.amdhsa_user_sgpr_queue_ptr 0
		.amdhsa_user_sgpr_kernarg_segment_ptr 1
		.amdhsa_user_sgpr_dispatch_id 0
		.amdhsa_user_sgpr_kernarg_preload_length 0
		.amdhsa_user_sgpr_kernarg_preload_offset 0
		.amdhsa_user_sgpr_private_segment_size 0
		.amdhsa_uses_dynamic_stack 0
		.amdhsa_enable_private_segment 0
		.amdhsa_system_sgpr_workgroup_id_x 1
		.amdhsa_system_sgpr_workgroup_id_y 0
		.amdhsa_system_sgpr_workgroup_id_z 0
		.amdhsa_system_sgpr_workgroup_info 0
		.amdhsa_system_vgpr_workitem_id 0
		.amdhsa_next_free_vgpr 16
		.amdhsa_next_free_sgpr 14
		.amdhsa_accum_offset 16
		.amdhsa_reserve_vcc 1
		.amdhsa_float_round_mode_32 0
		.amdhsa_float_round_mode_16_64 0
		.amdhsa_float_denorm_mode_32 3
		.amdhsa_float_denorm_mode_16_64 3
		.amdhsa_dx10_clamp 1
		.amdhsa_ieee_mode 1
		.amdhsa_fp16_overflow 0
		.amdhsa_tg_split 0
		.amdhsa_exception_fp_ieee_invalid_op 0
		.amdhsa_exception_fp_denorm_src 0
		.amdhsa_exception_fp_ieee_div_zero 0
		.amdhsa_exception_fp_ieee_overflow 0
		.amdhsa_exception_fp_ieee_underflow 0
		.amdhsa_exception_fp_ieee_inexact 0
		.amdhsa_exception_int_div_zero 0
	.end_amdhsa_kernel
	.section	.text._ZN9rocsparseL16csr2dense_kernelILi16ELi32Eii21rocsparse_complex_numIfEEEviT2_S3_PKT3_PKT1_PKS3_PS4_l16rocsparse_order_,"axG",@progbits,_ZN9rocsparseL16csr2dense_kernelILi16ELi32Eii21rocsparse_complex_numIfEEEviT2_S3_PKT3_PKT1_PKS3_PS4_l16rocsparse_order_,comdat
.Lfunc_end45:
	.size	_ZN9rocsparseL16csr2dense_kernelILi16ELi32Eii21rocsparse_complex_numIfEEEviT2_S3_PKT3_PKT1_PKS3_PS4_l16rocsparse_order_, .Lfunc_end45-_ZN9rocsparseL16csr2dense_kernelILi16ELi32Eii21rocsparse_complex_numIfEEEviT2_S3_PKT3_PKT1_PKS3_PS4_l16rocsparse_order_
                                        ; -- End function
	.set _ZN9rocsparseL16csr2dense_kernelILi16ELi32Eii21rocsparse_complex_numIfEEEviT2_S3_PKT3_PKT1_PKS3_PS4_l16rocsparse_order_.num_vgpr, 16
	.set _ZN9rocsparseL16csr2dense_kernelILi16ELi32Eii21rocsparse_complex_numIfEEEviT2_S3_PKT3_PKT1_PKS3_PS4_l16rocsparse_order_.num_agpr, 0
	.set _ZN9rocsparseL16csr2dense_kernelILi16ELi32Eii21rocsparse_complex_numIfEEEviT2_S3_PKT3_PKT1_PKS3_PS4_l16rocsparse_order_.numbered_sgpr, 14
	.set _ZN9rocsparseL16csr2dense_kernelILi16ELi32Eii21rocsparse_complex_numIfEEEviT2_S3_PKT3_PKT1_PKS3_PS4_l16rocsparse_order_.num_named_barrier, 0
	.set _ZN9rocsparseL16csr2dense_kernelILi16ELi32Eii21rocsparse_complex_numIfEEEviT2_S3_PKT3_PKT1_PKS3_PS4_l16rocsparse_order_.private_seg_size, 0
	.set _ZN9rocsparseL16csr2dense_kernelILi16ELi32Eii21rocsparse_complex_numIfEEEviT2_S3_PKT3_PKT1_PKS3_PS4_l16rocsparse_order_.uses_vcc, 1
	.set _ZN9rocsparseL16csr2dense_kernelILi16ELi32Eii21rocsparse_complex_numIfEEEviT2_S3_PKT3_PKT1_PKS3_PS4_l16rocsparse_order_.uses_flat_scratch, 0
	.set _ZN9rocsparseL16csr2dense_kernelILi16ELi32Eii21rocsparse_complex_numIfEEEviT2_S3_PKT3_PKT1_PKS3_PS4_l16rocsparse_order_.has_dyn_sized_stack, 0
	.set _ZN9rocsparseL16csr2dense_kernelILi16ELi32Eii21rocsparse_complex_numIfEEEviT2_S3_PKT3_PKT1_PKS3_PS4_l16rocsparse_order_.has_recursion, 0
	.set _ZN9rocsparseL16csr2dense_kernelILi16ELi32Eii21rocsparse_complex_numIfEEEviT2_S3_PKT3_PKT1_PKS3_PS4_l16rocsparse_order_.has_indirect_call, 0
	.section	.AMDGPU.csdata,"",@progbits
; Kernel info:
; codeLenInByte = 384
; TotalNumSgprs: 20
; NumVgprs: 16
; NumAgprs: 0
; TotalNumVgprs: 16
; ScratchSize: 0
; MemoryBound: 0
; FloatMode: 240
; IeeeMode: 1
; LDSByteSize: 0 bytes/workgroup (compile time only)
; SGPRBlocks: 2
; VGPRBlocks: 1
; NumSGPRsForWavesPerEU: 20
; NumVGPRsForWavesPerEU: 16
; AccumOffset: 16
; Occupancy: 8
; WaveLimiterHint : 1
; COMPUTE_PGM_RSRC2:SCRATCH_EN: 0
; COMPUTE_PGM_RSRC2:USER_SGPR: 2
; COMPUTE_PGM_RSRC2:TRAP_HANDLER: 0
; COMPUTE_PGM_RSRC2:TGID_X_EN: 1
; COMPUTE_PGM_RSRC2:TGID_Y_EN: 0
; COMPUTE_PGM_RSRC2:TGID_Z_EN: 0
; COMPUTE_PGM_RSRC2:TIDIG_COMP_CNT: 0
; COMPUTE_PGM_RSRC3_GFX90A:ACCUM_OFFSET: 3
; COMPUTE_PGM_RSRC3_GFX90A:TG_SPLIT: 0
	.section	.text._ZN9rocsparseL16csr2dense_kernelILi16ELi64Eii21rocsparse_complex_numIfEEEviT2_S3_PKT3_PKT1_PKS3_PS4_l16rocsparse_order_,"axG",@progbits,_ZN9rocsparseL16csr2dense_kernelILi16ELi64Eii21rocsparse_complex_numIfEEEviT2_S3_PKT3_PKT1_PKS3_PS4_l16rocsparse_order_,comdat
	.globl	_ZN9rocsparseL16csr2dense_kernelILi16ELi64Eii21rocsparse_complex_numIfEEEviT2_S3_PKT3_PKT1_PKS3_PS4_l16rocsparse_order_ ; -- Begin function _ZN9rocsparseL16csr2dense_kernelILi16ELi64Eii21rocsparse_complex_numIfEEEviT2_S3_PKT3_PKT1_PKS3_PS4_l16rocsparse_order_
	.p2align	8
	.type	_ZN9rocsparseL16csr2dense_kernelILi16ELi64Eii21rocsparse_complex_numIfEEEviT2_S3_PKT3_PKT1_PKS3_PS4_l16rocsparse_order_,@function
_ZN9rocsparseL16csr2dense_kernelILi16ELi64Eii21rocsparse_complex_numIfEEEviT2_S3_PKT3_PKT1_PKS3_PS4_l16rocsparse_order_: ; @_ZN9rocsparseL16csr2dense_kernelILi16ELi64Eii21rocsparse_complex_numIfEEEviT2_S3_PKT3_PKT1_PKS3_PS4_l16rocsparse_order_
; %bb.0:
	s_load_dwordx2 s[8:9], s[0:1], 0x0
	v_lshrrev_b32_e32 v1, 6, v0
	v_lshl_or_b32 v2, s2, 4, v1
	s_waitcnt lgkmcnt(0)
	v_cmp_gt_i32_e32 vcc, s9, v2
	s_and_saveexec_b64 s[2:3], vcc
	s_cbranch_execz .LBB46_8
; %bb.1:
	s_load_dwordx2 s[2:3], s[0:1], 0x18
	v_ashrrev_i32_e32 v3, 31, v2
	v_and_b32_e32 v8, 63, v0
	s_waitcnt lgkmcnt(0)
	v_lshl_add_u64 v[4:5], v[2:3], 2, s[2:3]
	global_load_dwordx2 v[4:5], v[4:5], off
	s_waitcnt vmcnt(0)
	v_sub_u32_e32 v9, v5, v4
	v_cmp_lt_i32_e32 vcc, v8, v9
	s_and_b64 exec, exec, vcc
	s_cbranch_execz .LBB46_8
; %bb.2:
	s_load_dwordx4 s[4:7], s[0:1], 0x20
	s_load_dword s9, s[0:1], 0x38
	s_load_dwordx2 s[2:3], s[0:1], 0x10
	s_load_dwordx2 s[10:11], s[0:1], 0x30
	v_subrev_u32_e32 v10, s8, v4
	s_waitcnt lgkmcnt(0)
	v_lshl_add_u64 v[0:1], v[2:3], 3, s[6:7]
	s_cmp_lg_u32 s9, 1
	s_cselect_b64 s[0:1], -1, 0
	v_mul_lo_u32 v4, s11, v2
	v_mul_lo_u32 v5, s10, v3
	v_mad_u64_u32 v[2:3], s[12:13], s10, v2, 0
	v_add3_u32 v3, v3, v5, v4
	v_lshl_add_u64 v[2:3], v[2:3], 3, s[6:7]
	s_mov_b64 s[6:7], 0
	s_branch .LBB46_4
.LBB46_3:                               ;   in Loop: Header=BB46_4 Depth=1
	v_add_u32_e32 v8, 64, v8
	v_cmp_ge_i32_e32 vcc, v8, v9
	s_or_b64 s[6:7], vcc, s[6:7]
	s_andn2_b64 exec, exec, s[6:7]
	s_cbranch_execz .LBB46_8
.LBB46_4:                               ; =>This Inner Loop Header: Depth=1
	v_add_u32_e32 v4, v10, v8
	v_ashrrev_i32_e32 v5, 31, v4
	v_lshl_add_u64 v[6:7], v[4:5], 2, s[4:5]
	s_barrier
	global_load_dword v11, v[6:7], off
	v_lshl_add_u64 v[6:7], v[4:5], 3, s[2:3]
	s_mov_b64 s[12:13], -1
	s_and_b64 vcc, exec, s[0:1]
	s_waitcnt vmcnt(0)
	v_subrev_u32_e32 v4, s8, v11
	v_ashrrev_i32_e32 v5, 31, v4
	s_cbranch_vccz .LBB46_6
; %bb.5:                                ;   in Loop: Header=BB46_4 Depth=1
	global_load_dwordx2 v[12:13], v[6:7], off
	v_lshl_add_u64 v[14:15], v[4:5], 3, v[2:3]
	s_mov_b64 s[12:13], 0
	s_waitcnt vmcnt(0)
	global_store_dwordx2 v[14:15], v[12:13], off
.LBB46_6:                               ;   in Loop: Header=BB46_4 Depth=1
	s_andn2_b64 vcc, exec, s[12:13]
	s_cbranch_vccnz .LBB46_3
; %bb.7:                                ;   in Loop: Header=BB46_4 Depth=1
	global_load_dwordx2 v[6:7], v[6:7], off
	v_mul_lo_u32 v11, s11, v4
	v_mul_lo_u32 v12, s10, v5
	v_mad_u64_u32 v[4:5], s[12:13], s10, v4, 0
	v_add3_u32 v5, v5, v12, v11
	v_lshl_add_u64 v[4:5], v[4:5], 3, v[0:1]
	s_waitcnt vmcnt(0)
	global_store_dwordx2 v[4:5], v[6:7], off
	s_branch .LBB46_3
.LBB46_8:
	s_endpgm
	.section	.rodata,"a",@progbits
	.p2align	6, 0x0
	.amdhsa_kernel _ZN9rocsparseL16csr2dense_kernelILi16ELi64Eii21rocsparse_complex_numIfEEEviT2_S3_PKT3_PKT1_PKS3_PS4_l16rocsparse_order_
		.amdhsa_group_segment_fixed_size 0
		.amdhsa_private_segment_fixed_size 0
		.amdhsa_kernarg_size 60
		.amdhsa_user_sgpr_count 2
		.amdhsa_user_sgpr_dispatch_ptr 0
		.amdhsa_user_sgpr_queue_ptr 0
		.amdhsa_user_sgpr_kernarg_segment_ptr 1
		.amdhsa_user_sgpr_dispatch_id 0
		.amdhsa_user_sgpr_kernarg_preload_length 0
		.amdhsa_user_sgpr_kernarg_preload_offset 0
		.amdhsa_user_sgpr_private_segment_size 0
		.amdhsa_uses_dynamic_stack 0
		.amdhsa_enable_private_segment 0
		.amdhsa_system_sgpr_workgroup_id_x 1
		.amdhsa_system_sgpr_workgroup_id_y 0
		.amdhsa_system_sgpr_workgroup_id_z 0
		.amdhsa_system_sgpr_workgroup_info 0
		.amdhsa_system_vgpr_workitem_id 0
		.amdhsa_next_free_vgpr 16
		.amdhsa_next_free_sgpr 14
		.amdhsa_accum_offset 16
		.amdhsa_reserve_vcc 1
		.amdhsa_float_round_mode_32 0
		.amdhsa_float_round_mode_16_64 0
		.amdhsa_float_denorm_mode_32 3
		.amdhsa_float_denorm_mode_16_64 3
		.amdhsa_dx10_clamp 1
		.amdhsa_ieee_mode 1
		.amdhsa_fp16_overflow 0
		.amdhsa_tg_split 0
		.amdhsa_exception_fp_ieee_invalid_op 0
		.amdhsa_exception_fp_denorm_src 0
		.amdhsa_exception_fp_ieee_div_zero 0
		.amdhsa_exception_fp_ieee_overflow 0
		.amdhsa_exception_fp_ieee_underflow 0
		.amdhsa_exception_fp_ieee_inexact 0
		.amdhsa_exception_int_div_zero 0
	.end_amdhsa_kernel
	.section	.text._ZN9rocsparseL16csr2dense_kernelILi16ELi64Eii21rocsparse_complex_numIfEEEviT2_S3_PKT3_PKT1_PKS3_PS4_l16rocsparse_order_,"axG",@progbits,_ZN9rocsparseL16csr2dense_kernelILi16ELi64Eii21rocsparse_complex_numIfEEEviT2_S3_PKT3_PKT1_PKS3_PS4_l16rocsparse_order_,comdat
.Lfunc_end46:
	.size	_ZN9rocsparseL16csr2dense_kernelILi16ELi64Eii21rocsparse_complex_numIfEEEviT2_S3_PKT3_PKT1_PKS3_PS4_l16rocsparse_order_, .Lfunc_end46-_ZN9rocsparseL16csr2dense_kernelILi16ELi64Eii21rocsparse_complex_numIfEEEviT2_S3_PKT3_PKT1_PKS3_PS4_l16rocsparse_order_
                                        ; -- End function
	.set _ZN9rocsparseL16csr2dense_kernelILi16ELi64Eii21rocsparse_complex_numIfEEEviT2_S3_PKT3_PKT1_PKS3_PS4_l16rocsparse_order_.num_vgpr, 16
	.set _ZN9rocsparseL16csr2dense_kernelILi16ELi64Eii21rocsparse_complex_numIfEEEviT2_S3_PKT3_PKT1_PKS3_PS4_l16rocsparse_order_.num_agpr, 0
	.set _ZN9rocsparseL16csr2dense_kernelILi16ELi64Eii21rocsparse_complex_numIfEEEviT2_S3_PKT3_PKT1_PKS3_PS4_l16rocsparse_order_.numbered_sgpr, 14
	.set _ZN9rocsparseL16csr2dense_kernelILi16ELi64Eii21rocsparse_complex_numIfEEEviT2_S3_PKT3_PKT1_PKS3_PS4_l16rocsparse_order_.num_named_barrier, 0
	.set _ZN9rocsparseL16csr2dense_kernelILi16ELi64Eii21rocsparse_complex_numIfEEEviT2_S3_PKT3_PKT1_PKS3_PS4_l16rocsparse_order_.private_seg_size, 0
	.set _ZN9rocsparseL16csr2dense_kernelILi16ELi64Eii21rocsparse_complex_numIfEEEviT2_S3_PKT3_PKT1_PKS3_PS4_l16rocsparse_order_.uses_vcc, 1
	.set _ZN9rocsparseL16csr2dense_kernelILi16ELi64Eii21rocsparse_complex_numIfEEEviT2_S3_PKT3_PKT1_PKS3_PS4_l16rocsparse_order_.uses_flat_scratch, 0
	.set _ZN9rocsparseL16csr2dense_kernelILi16ELi64Eii21rocsparse_complex_numIfEEEviT2_S3_PKT3_PKT1_PKS3_PS4_l16rocsparse_order_.has_dyn_sized_stack, 0
	.set _ZN9rocsparseL16csr2dense_kernelILi16ELi64Eii21rocsparse_complex_numIfEEEviT2_S3_PKT3_PKT1_PKS3_PS4_l16rocsparse_order_.has_recursion, 0
	.set _ZN9rocsparseL16csr2dense_kernelILi16ELi64Eii21rocsparse_complex_numIfEEEviT2_S3_PKT3_PKT1_PKS3_PS4_l16rocsparse_order_.has_indirect_call, 0
	.section	.AMDGPU.csdata,"",@progbits
; Kernel info:
; codeLenInByte = 384
; TotalNumSgprs: 20
; NumVgprs: 16
; NumAgprs: 0
; TotalNumVgprs: 16
; ScratchSize: 0
; MemoryBound: 0
; FloatMode: 240
; IeeeMode: 1
; LDSByteSize: 0 bytes/workgroup (compile time only)
; SGPRBlocks: 2
; VGPRBlocks: 1
; NumSGPRsForWavesPerEU: 20
; NumVGPRsForWavesPerEU: 16
; AccumOffset: 16
; Occupancy: 8
; WaveLimiterHint : 1
; COMPUTE_PGM_RSRC2:SCRATCH_EN: 0
; COMPUTE_PGM_RSRC2:USER_SGPR: 2
; COMPUTE_PGM_RSRC2:TRAP_HANDLER: 0
; COMPUTE_PGM_RSRC2:TGID_X_EN: 1
; COMPUTE_PGM_RSRC2:TGID_Y_EN: 0
; COMPUTE_PGM_RSRC2:TGID_Z_EN: 0
; COMPUTE_PGM_RSRC2:TIDIG_COMP_CNT: 0
; COMPUTE_PGM_RSRC3_GFX90A:ACCUM_OFFSET: 3
; COMPUTE_PGM_RSRC3_GFX90A:TG_SPLIT: 0
	.section	.text._ZN9rocsparseL16csc2dense_kernelILi16ELi32Eii21rocsparse_complex_numIfEEEviT2_S3_PKT3_PKT1_PKS3_PS4_l16rocsparse_order_,"axG",@progbits,_ZN9rocsparseL16csc2dense_kernelILi16ELi32Eii21rocsparse_complex_numIfEEEviT2_S3_PKT3_PKT1_PKS3_PS4_l16rocsparse_order_,comdat
	.globl	_ZN9rocsparseL16csc2dense_kernelILi16ELi32Eii21rocsparse_complex_numIfEEEviT2_S3_PKT3_PKT1_PKS3_PS4_l16rocsparse_order_ ; -- Begin function _ZN9rocsparseL16csc2dense_kernelILi16ELi32Eii21rocsparse_complex_numIfEEEviT2_S3_PKT3_PKT1_PKS3_PS4_l16rocsparse_order_
	.p2align	8
	.type	_ZN9rocsparseL16csc2dense_kernelILi16ELi32Eii21rocsparse_complex_numIfEEEviT2_S3_PKT3_PKT1_PKS3_PS4_l16rocsparse_order_,@function
_ZN9rocsparseL16csc2dense_kernelILi16ELi32Eii21rocsparse_complex_numIfEEEviT2_S3_PKT3_PKT1_PKS3_PS4_l16rocsparse_order_: ; @_ZN9rocsparseL16csc2dense_kernelILi16ELi32Eii21rocsparse_complex_numIfEEEviT2_S3_PKT3_PKT1_PKS3_PS4_l16rocsparse_order_
; %bb.0:
	s_load_dword s3, s[0:1], 0x8
	v_lshrrev_b32_e32 v1, 5, v0
	v_lshl_or_b32 v2, s2, 4, v1
	s_waitcnt lgkmcnt(0)
	v_cmp_gt_i32_e32 vcc, s3, v2
	s_and_saveexec_b64 s[2:3], vcc
	s_cbranch_execz .LBB47_8
; %bb.1:
	s_load_dwordx2 s[2:3], s[0:1], 0x18
	v_ashrrev_i32_e32 v3, 31, v2
	v_and_b32_e32 v8, 31, v0
	s_waitcnt lgkmcnt(0)
	v_lshl_add_u64 v[4:5], v[2:3], 2, s[2:3]
	global_load_dwordx2 v[4:5], v[4:5], off
	s_waitcnt vmcnt(0)
	v_sub_u32_e32 v9, v5, v4
	v_cmp_lt_i32_e32 vcc, v8, v9
	s_and_b64 exec, exec, vcc
	s_cbranch_execz .LBB47_8
; %bb.2:
	s_load_dword s12, s[0:1], 0x0
	s_load_dwordx4 s[4:7], s[0:1], 0x20
	s_load_dword s10, s[0:1], 0x38
	s_load_dwordx2 s[2:3], s[0:1], 0x10
	s_load_dwordx2 s[8:9], s[0:1], 0x30
	s_waitcnt lgkmcnt(0)
	v_subrev_u32_e32 v10, s12, v4
	v_lshl_add_u64 v[0:1], v[2:3], 3, s[6:7]
	s_cmp_lg_u32 s10, 1
	s_cselect_b64 s[0:1], -1, 0
	v_mul_lo_u32 v4, s9, v2
	v_mul_lo_u32 v5, s8, v3
	v_mad_u64_u32 v[2:3], s[10:11], s8, v2, 0
	v_add3_u32 v3, v3, v5, v4
	v_lshl_add_u64 v[2:3], v[2:3], 3, s[6:7]
	s_mov_b64 s[6:7], 0
	s_branch .LBB47_4
.LBB47_3:                               ;   in Loop: Header=BB47_4 Depth=1
	v_add_u32_e32 v8, 32, v8
	v_cmp_ge_i32_e32 vcc, v8, v9
	s_or_b64 s[6:7], vcc, s[6:7]
	s_andn2_b64 exec, exec, s[6:7]
	s_cbranch_execz .LBB47_8
.LBB47_4:                               ; =>This Inner Loop Header: Depth=1
	v_add_u32_e32 v4, v10, v8
	v_ashrrev_i32_e32 v5, 31, v4
	v_lshl_add_u64 v[6:7], v[4:5], 2, s[4:5]
	global_load_dword v6, v[6:7], off
	s_mov_b64 s[10:11], -1
	s_and_b64 vcc, exec, s[0:1]
	v_lshl_add_u64 v[4:5], v[4:5], 3, s[2:3]
	s_waitcnt vmcnt(0)
	v_subrev_u32_e32 v6, s12, v6
	v_ashrrev_i32_e32 v7, 31, v6
	s_cbranch_vccz .LBB47_6
; %bb.5:                                ;   in Loop: Header=BB47_4 Depth=1
	global_load_dwordx2 v[12:13], v[4:5], off
	v_mul_lo_u32 v11, s9, v6
	v_mul_lo_u32 v16, s8, v7
	v_mad_u64_u32 v[14:15], s[10:11], s8, v6, 0
	v_add3_u32 v15, v15, v16, v11
	v_lshl_add_u64 v[14:15], v[14:15], 3, v[0:1]
	s_mov_b64 s[10:11], 0
	s_waitcnt vmcnt(0)
	global_store_dwordx2 v[14:15], v[12:13], off
.LBB47_6:                               ;   in Loop: Header=BB47_4 Depth=1
	s_andn2_b64 vcc, exec, s[10:11]
	s_cbranch_vccnz .LBB47_3
; %bb.7:                                ;   in Loop: Header=BB47_4 Depth=1
	global_load_dwordx2 v[4:5], v[4:5], off
	v_lshl_add_u64 v[6:7], v[6:7], 3, v[2:3]
	s_waitcnt vmcnt(0)
	global_store_dwordx2 v[6:7], v[4:5], off
	s_branch .LBB47_3
.LBB47_8:
	s_endpgm
	.section	.rodata,"a",@progbits
	.p2align	6, 0x0
	.amdhsa_kernel _ZN9rocsparseL16csc2dense_kernelILi16ELi32Eii21rocsparse_complex_numIfEEEviT2_S3_PKT3_PKT1_PKS3_PS4_l16rocsparse_order_
		.amdhsa_group_segment_fixed_size 0
		.amdhsa_private_segment_fixed_size 0
		.amdhsa_kernarg_size 60
		.amdhsa_user_sgpr_count 2
		.amdhsa_user_sgpr_dispatch_ptr 0
		.amdhsa_user_sgpr_queue_ptr 0
		.amdhsa_user_sgpr_kernarg_segment_ptr 1
		.amdhsa_user_sgpr_dispatch_id 0
		.amdhsa_user_sgpr_kernarg_preload_length 0
		.amdhsa_user_sgpr_kernarg_preload_offset 0
		.amdhsa_user_sgpr_private_segment_size 0
		.amdhsa_uses_dynamic_stack 0
		.amdhsa_enable_private_segment 0
		.amdhsa_system_sgpr_workgroup_id_x 1
		.amdhsa_system_sgpr_workgroup_id_y 0
		.amdhsa_system_sgpr_workgroup_id_z 0
		.amdhsa_system_sgpr_workgroup_info 0
		.amdhsa_system_vgpr_workitem_id 0
		.amdhsa_next_free_vgpr 17
		.amdhsa_next_free_sgpr 13
		.amdhsa_accum_offset 20
		.amdhsa_reserve_vcc 1
		.amdhsa_float_round_mode_32 0
		.amdhsa_float_round_mode_16_64 0
		.amdhsa_float_denorm_mode_32 3
		.amdhsa_float_denorm_mode_16_64 3
		.amdhsa_dx10_clamp 1
		.amdhsa_ieee_mode 1
		.amdhsa_fp16_overflow 0
		.amdhsa_tg_split 0
		.amdhsa_exception_fp_ieee_invalid_op 0
		.amdhsa_exception_fp_denorm_src 0
		.amdhsa_exception_fp_ieee_div_zero 0
		.amdhsa_exception_fp_ieee_overflow 0
		.amdhsa_exception_fp_ieee_underflow 0
		.amdhsa_exception_fp_ieee_inexact 0
		.amdhsa_exception_int_div_zero 0
	.end_amdhsa_kernel
	.section	.text._ZN9rocsparseL16csc2dense_kernelILi16ELi32Eii21rocsparse_complex_numIfEEEviT2_S3_PKT3_PKT1_PKS3_PS4_l16rocsparse_order_,"axG",@progbits,_ZN9rocsparseL16csc2dense_kernelILi16ELi32Eii21rocsparse_complex_numIfEEEviT2_S3_PKT3_PKT1_PKS3_PS4_l16rocsparse_order_,comdat
.Lfunc_end47:
	.size	_ZN9rocsparseL16csc2dense_kernelILi16ELi32Eii21rocsparse_complex_numIfEEEviT2_S3_PKT3_PKT1_PKS3_PS4_l16rocsparse_order_, .Lfunc_end47-_ZN9rocsparseL16csc2dense_kernelILi16ELi32Eii21rocsparse_complex_numIfEEEviT2_S3_PKT3_PKT1_PKS3_PS4_l16rocsparse_order_
                                        ; -- End function
	.set _ZN9rocsparseL16csc2dense_kernelILi16ELi32Eii21rocsparse_complex_numIfEEEviT2_S3_PKT3_PKT1_PKS3_PS4_l16rocsparse_order_.num_vgpr, 17
	.set _ZN9rocsparseL16csc2dense_kernelILi16ELi32Eii21rocsparse_complex_numIfEEEviT2_S3_PKT3_PKT1_PKS3_PS4_l16rocsparse_order_.num_agpr, 0
	.set _ZN9rocsparseL16csc2dense_kernelILi16ELi32Eii21rocsparse_complex_numIfEEEviT2_S3_PKT3_PKT1_PKS3_PS4_l16rocsparse_order_.numbered_sgpr, 13
	.set _ZN9rocsparseL16csc2dense_kernelILi16ELi32Eii21rocsparse_complex_numIfEEEviT2_S3_PKT3_PKT1_PKS3_PS4_l16rocsparse_order_.num_named_barrier, 0
	.set _ZN9rocsparseL16csc2dense_kernelILi16ELi32Eii21rocsparse_complex_numIfEEEviT2_S3_PKT3_PKT1_PKS3_PS4_l16rocsparse_order_.private_seg_size, 0
	.set _ZN9rocsparseL16csc2dense_kernelILi16ELi32Eii21rocsparse_complex_numIfEEEviT2_S3_PKT3_PKT1_PKS3_PS4_l16rocsparse_order_.uses_vcc, 1
	.set _ZN9rocsparseL16csc2dense_kernelILi16ELi32Eii21rocsparse_complex_numIfEEEviT2_S3_PKT3_PKT1_PKS3_PS4_l16rocsparse_order_.uses_flat_scratch, 0
	.set _ZN9rocsparseL16csc2dense_kernelILi16ELi32Eii21rocsparse_complex_numIfEEEviT2_S3_PKT3_PKT1_PKS3_PS4_l16rocsparse_order_.has_dyn_sized_stack, 0
	.set _ZN9rocsparseL16csc2dense_kernelILi16ELi32Eii21rocsparse_complex_numIfEEEviT2_S3_PKT3_PKT1_PKS3_PS4_l16rocsparse_order_.has_recursion, 0
	.set _ZN9rocsparseL16csc2dense_kernelILi16ELi32Eii21rocsparse_complex_numIfEEEviT2_S3_PKT3_PKT1_PKS3_PS4_l16rocsparse_order_.has_indirect_call, 0
	.section	.AMDGPU.csdata,"",@progbits
; Kernel info:
; codeLenInByte = 388
; TotalNumSgprs: 19
; NumVgprs: 17
; NumAgprs: 0
; TotalNumVgprs: 17
; ScratchSize: 0
; MemoryBound: 0
; FloatMode: 240
; IeeeMode: 1
; LDSByteSize: 0 bytes/workgroup (compile time only)
; SGPRBlocks: 2
; VGPRBlocks: 2
; NumSGPRsForWavesPerEU: 19
; NumVGPRsForWavesPerEU: 17
; AccumOffset: 20
; Occupancy: 8
; WaveLimiterHint : 1
; COMPUTE_PGM_RSRC2:SCRATCH_EN: 0
; COMPUTE_PGM_RSRC2:USER_SGPR: 2
; COMPUTE_PGM_RSRC2:TRAP_HANDLER: 0
; COMPUTE_PGM_RSRC2:TGID_X_EN: 1
; COMPUTE_PGM_RSRC2:TGID_Y_EN: 0
; COMPUTE_PGM_RSRC2:TGID_Z_EN: 0
; COMPUTE_PGM_RSRC2:TIDIG_COMP_CNT: 0
; COMPUTE_PGM_RSRC3_GFX90A:ACCUM_OFFSET: 4
; COMPUTE_PGM_RSRC3_GFX90A:TG_SPLIT: 0
	.section	.text._ZN9rocsparseL16csc2dense_kernelILi16ELi64Eii21rocsparse_complex_numIfEEEviT2_S3_PKT3_PKT1_PKS3_PS4_l16rocsparse_order_,"axG",@progbits,_ZN9rocsparseL16csc2dense_kernelILi16ELi64Eii21rocsparse_complex_numIfEEEviT2_S3_PKT3_PKT1_PKS3_PS4_l16rocsparse_order_,comdat
	.globl	_ZN9rocsparseL16csc2dense_kernelILi16ELi64Eii21rocsparse_complex_numIfEEEviT2_S3_PKT3_PKT1_PKS3_PS4_l16rocsparse_order_ ; -- Begin function _ZN9rocsparseL16csc2dense_kernelILi16ELi64Eii21rocsparse_complex_numIfEEEviT2_S3_PKT3_PKT1_PKS3_PS4_l16rocsparse_order_
	.p2align	8
	.type	_ZN9rocsparseL16csc2dense_kernelILi16ELi64Eii21rocsparse_complex_numIfEEEviT2_S3_PKT3_PKT1_PKS3_PS4_l16rocsparse_order_,@function
_ZN9rocsparseL16csc2dense_kernelILi16ELi64Eii21rocsparse_complex_numIfEEEviT2_S3_PKT3_PKT1_PKS3_PS4_l16rocsparse_order_: ; @_ZN9rocsparseL16csc2dense_kernelILi16ELi64Eii21rocsparse_complex_numIfEEEviT2_S3_PKT3_PKT1_PKS3_PS4_l16rocsparse_order_
; %bb.0:
	s_load_dword s3, s[0:1], 0x8
	v_lshrrev_b32_e32 v1, 6, v0
	v_lshl_or_b32 v2, s2, 4, v1
	s_waitcnt lgkmcnt(0)
	v_cmp_gt_i32_e32 vcc, s3, v2
	s_and_saveexec_b64 s[2:3], vcc
	s_cbranch_execz .LBB48_8
; %bb.1:
	s_load_dwordx2 s[2:3], s[0:1], 0x18
	v_ashrrev_i32_e32 v3, 31, v2
	v_and_b32_e32 v8, 63, v0
	s_waitcnt lgkmcnt(0)
	v_lshl_add_u64 v[4:5], v[2:3], 2, s[2:3]
	global_load_dwordx2 v[4:5], v[4:5], off
	s_waitcnt vmcnt(0)
	v_sub_u32_e32 v9, v5, v4
	v_cmp_lt_i32_e32 vcc, v8, v9
	s_and_b64 exec, exec, vcc
	s_cbranch_execz .LBB48_8
; %bb.2:
	s_load_dword s12, s[0:1], 0x0
	s_load_dwordx4 s[4:7], s[0:1], 0x20
	s_load_dword s10, s[0:1], 0x38
	s_load_dwordx2 s[2:3], s[0:1], 0x10
	s_load_dwordx2 s[8:9], s[0:1], 0x30
	s_waitcnt lgkmcnt(0)
	v_subrev_u32_e32 v10, s12, v4
	v_lshl_add_u64 v[0:1], v[2:3], 3, s[6:7]
	s_cmp_lg_u32 s10, 1
	s_cselect_b64 s[0:1], -1, 0
	v_mul_lo_u32 v4, s9, v2
	v_mul_lo_u32 v5, s8, v3
	v_mad_u64_u32 v[2:3], s[10:11], s8, v2, 0
	v_add3_u32 v3, v3, v5, v4
	v_lshl_add_u64 v[2:3], v[2:3], 3, s[6:7]
	s_mov_b64 s[6:7], 0
	s_branch .LBB48_4
.LBB48_3:                               ;   in Loop: Header=BB48_4 Depth=1
	v_add_u32_e32 v8, 64, v8
	v_cmp_ge_i32_e32 vcc, v8, v9
	s_or_b64 s[6:7], vcc, s[6:7]
	s_andn2_b64 exec, exec, s[6:7]
	s_cbranch_execz .LBB48_8
.LBB48_4:                               ; =>This Inner Loop Header: Depth=1
	v_add_u32_e32 v4, v10, v8
	v_ashrrev_i32_e32 v5, 31, v4
	v_lshl_add_u64 v[6:7], v[4:5], 2, s[4:5]
	global_load_dword v6, v[6:7], off
	s_mov_b64 s[10:11], -1
	s_and_b64 vcc, exec, s[0:1]
	v_lshl_add_u64 v[4:5], v[4:5], 3, s[2:3]
	s_waitcnt vmcnt(0)
	v_subrev_u32_e32 v6, s12, v6
	v_ashrrev_i32_e32 v7, 31, v6
	s_cbranch_vccz .LBB48_6
; %bb.5:                                ;   in Loop: Header=BB48_4 Depth=1
	global_load_dwordx2 v[12:13], v[4:5], off
	v_mul_lo_u32 v11, s9, v6
	v_mul_lo_u32 v16, s8, v7
	v_mad_u64_u32 v[14:15], s[10:11], s8, v6, 0
	v_add3_u32 v15, v15, v16, v11
	v_lshl_add_u64 v[14:15], v[14:15], 3, v[0:1]
	s_mov_b64 s[10:11], 0
	s_waitcnt vmcnt(0)
	global_store_dwordx2 v[14:15], v[12:13], off
.LBB48_6:                               ;   in Loop: Header=BB48_4 Depth=1
	s_andn2_b64 vcc, exec, s[10:11]
	s_cbranch_vccnz .LBB48_3
; %bb.7:                                ;   in Loop: Header=BB48_4 Depth=1
	global_load_dwordx2 v[4:5], v[4:5], off
	v_lshl_add_u64 v[6:7], v[6:7], 3, v[2:3]
	s_waitcnt vmcnt(0)
	global_store_dwordx2 v[6:7], v[4:5], off
	s_branch .LBB48_3
.LBB48_8:
	s_endpgm
	.section	.rodata,"a",@progbits
	.p2align	6, 0x0
	.amdhsa_kernel _ZN9rocsparseL16csc2dense_kernelILi16ELi64Eii21rocsparse_complex_numIfEEEviT2_S3_PKT3_PKT1_PKS3_PS4_l16rocsparse_order_
		.amdhsa_group_segment_fixed_size 0
		.amdhsa_private_segment_fixed_size 0
		.amdhsa_kernarg_size 60
		.amdhsa_user_sgpr_count 2
		.amdhsa_user_sgpr_dispatch_ptr 0
		.amdhsa_user_sgpr_queue_ptr 0
		.amdhsa_user_sgpr_kernarg_segment_ptr 1
		.amdhsa_user_sgpr_dispatch_id 0
		.amdhsa_user_sgpr_kernarg_preload_length 0
		.amdhsa_user_sgpr_kernarg_preload_offset 0
		.amdhsa_user_sgpr_private_segment_size 0
		.amdhsa_uses_dynamic_stack 0
		.amdhsa_enable_private_segment 0
		.amdhsa_system_sgpr_workgroup_id_x 1
		.amdhsa_system_sgpr_workgroup_id_y 0
		.amdhsa_system_sgpr_workgroup_id_z 0
		.amdhsa_system_sgpr_workgroup_info 0
		.amdhsa_system_vgpr_workitem_id 0
		.amdhsa_next_free_vgpr 17
		.amdhsa_next_free_sgpr 13
		.amdhsa_accum_offset 20
		.amdhsa_reserve_vcc 1
		.amdhsa_float_round_mode_32 0
		.amdhsa_float_round_mode_16_64 0
		.amdhsa_float_denorm_mode_32 3
		.amdhsa_float_denorm_mode_16_64 3
		.amdhsa_dx10_clamp 1
		.amdhsa_ieee_mode 1
		.amdhsa_fp16_overflow 0
		.amdhsa_tg_split 0
		.amdhsa_exception_fp_ieee_invalid_op 0
		.amdhsa_exception_fp_denorm_src 0
		.amdhsa_exception_fp_ieee_div_zero 0
		.amdhsa_exception_fp_ieee_overflow 0
		.amdhsa_exception_fp_ieee_underflow 0
		.amdhsa_exception_fp_ieee_inexact 0
		.amdhsa_exception_int_div_zero 0
	.end_amdhsa_kernel
	.section	.text._ZN9rocsparseL16csc2dense_kernelILi16ELi64Eii21rocsparse_complex_numIfEEEviT2_S3_PKT3_PKT1_PKS3_PS4_l16rocsparse_order_,"axG",@progbits,_ZN9rocsparseL16csc2dense_kernelILi16ELi64Eii21rocsparse_complex_numIfEEEviT2_S3_PKT3_PKT1_PKS3_PS4_l16rocsparse_order_,comdat
.Lfunc_end48:
	.size	_ZN9rocsparseL16csc2dense_kernelILi16ELi64Eii21rocsparse_complex_numIfEEEviT2_S3_PKT3_PKT1_PKS3_PS4_l16rocsparse_order_, .Lfunc_end48-_ZN9rocsparseL16csc2dense_kernelILi16ELi64Eii21rocsparse_complex_numIfEEEviT2_S3_PKT3_PKT1_PKS3_PS4_l16rocsparse_order_
                                        ; -- End function
	.set _ZN9rocsparseL16csc2dense_kernelILi16ELi64Eii21rocsparse_complex_numIfEEEviT2_S3_PKT3_PKT1_PKS3_PS4_l16rocsparse_order_.num_vgpr, 17
	.set _ZN9rocsparseL16csc2dense_kernelILi16ELi64Eii21rocsparse_complex_numIfEEEviT2_S3_PKT3_PKT1_PKS3_PS4_l16rocsparse_order_.num_agpr, 0
	.set _ZN9rocsparseL16csc2dense_kernelILi16ELi64Eii21rocsparse_complex_numIfEEEviT2_S3_PKT3_PKT1_PKS3_PS4_l16rocsparse_order_.numbered_sgpr, 13
	.set _ZN9rocsparseL16csc2dense_kernelILi16ELi64Eii21rocsparse_complex_numIfEEEviT2_S3_PKT3_PKT1_PKS3_PS4_l16rocsparse_order_.num_named_barrier, 0
	.set _ZN9rocsparseL16csc2dense_kernelILi16ELi64Eii21rocsparse_complex_numIfEEEviT2_S3_PKT3_PKT1_PKS3_PS4_l16rocsparse_order_.private_seg_size, 0
	.set _ZN9rocsparseL16csc2dense_kernelILi16ELi64Eii21rocsparse_complex_numIfEEEviT2_S3_PKT3_PKT1_PKS3_PS4_l16rocsparse_order_.uses_vcc, 1
	.set _ZN9rocsparseL16csc2dense_kernelILi16ELi64Eii21rocsparse_complex_numIfEEEviT2_S3_PKT3_PKT1_PKS3_PS4_l16rocsparse_order_.uses_flat_scratch, 0
	.set _ZN9rocsparseL16csc2dense_kernelILi16ELi64Eii21rocsparse_complex_numIfEEEviT2_S3_PKT3_PKT1_PKS3_PS4_l16rocsparse_order_.has_dyn_sized_stack, 0
	.set _ZN9rocsparseL16csc2dense_kernelILi16ELi64Eii21rocsparse_complex_numIfEEEviT2_S3_PKT3_PKT1_PKS3_PS4_l16rocsparse_order_.has_recursion, 0
	.set _ZN9rocsparseL16csc2dense_kernelILi16ELi64Eii21rocsparse_complex_numIfEEEviT2_S3_PKT3_PKT1_PKS3_PS4_l16rocsparse_order_.has_indirect_call, 0
	.section	.AMDGPU.csdata,"",@progbits
; Kernel info:
; codeLenInByte = 388
; TotalNumSgprs: 19
; NumVgprs: 17
; NumAgprs: 0
; TotalNumVgprs: 17
; ScratchSize: 0
; MemoryBound: 0
; FloatMode: 240
; IeeeMode: 1
; LDSByteSize: 0 bytes/workgroup (compile time only)
; SGPRBlocks: 2
; VGPRBlocks: 2
; NumSGPRsForWavesPerEU: 19
; NumVGPRsForWavesPerEU: 17
; AccumOffset: 20
; Occupancy: 8
; WaveLimiterHint : 1
; COMPUTE_PGM_RSRC2:SCRATCH_EN: 0
; COMPUTE_PGM_RSRC2:USER_SGPR: 2
; COMPUTE_PGM_RSRC2:TRAP_HANDLER: 0
; COMPUTE_PGM_RSRC2:TGID_X_EN: 1
; COMPUTE_PGM_RSRC2:TGID_Y_EN: 0
; COMPUTE_PGM_RSRC2:TGID_Z_EN: 0
; COMPUTE_PGM_RSRC2:TIDIG_COMP_CNT: 0
; COMPUTE_PGM_RSRC3_GFX90A:ACCUM_OFFSET: 4
; COMPUTE_PGM_RSRC3_GFX90A:TG_SPLIT: 0
	.section	.text._ZN9rocsparseL23sddmm_csx_sample_kernelILi512ELi64EL20rocsparse_direction_1E21rocsparse_complex_numIfEiiS3_EEvT4_S4_T3_PKT5_S4_PS6_PKS5_PKS4_21rocsparse_index_base_,"axG",@progbits,_ZN9rocsparseL23sddmm_csx_sample_kernelILi512ELi64EL20rocsparse_direction_1E21rocsparse_complex_numIfEiiS3_EEvT4_S4_T3_PKT5_S4_PS6_PKS5_PKS4_21rocsparse_index_base_,comdat
	.globl	_ZN9rocsparseL23sddmm_csx_sample_kernelILi512ELi64EL20rocsparse_direction_1E21rocsparse_complex_numIfEiiS3_EEvT4_S4_T3_PKT5_S4_PS6_PKS5_PKS4_21rocsparse_index_base_ ; -- Begin function _ZN9rocsparseL23sddmm_csx_sample_kernelILi512ELi64EL20rocsparse_direction_1E21rocsparse_complex_numIfEiiS3_EEvT4_S4_T3_PKT5_S4_PS6_PKS5_PKS4_21rocsparse_index_base_
	.p2align	8
	.type	_ZN9rocsparseL23sddmm_csx_sample_kernelILi512ELi64EL20rocsparse_direction_1E21rocsparse_complex_numIfEiiS3_EEvT4_S4_T3_PKT5_S4_PS6_PKS5_PKS4_21rocsparse_index_base_,@function
_ZN9rocsparseL23sddmm_csx_sample_kernelILi512ELi64EL20rocsparse_direction_1E21rocsparse_complex_numIfEiiS3_EEvT4_S4_T3_PKT5_S4_PS6_PKS5_PKS4_21rocsparse_index_base_: ; @_ZN9rocsparseL23sddmm_csx_sample_kernelILi512ELi64EL20rocsparse_direction_1E21rocsparse_complex_numIfEiiS3_EEvT4_S4_T3_PKT5_S4_PS6_PKS5_PKS4_21rocsparse_index_base_
; %bb.0:
	s_load_dword s3, s[0:1], 0x4
	v_lshrrev_b32_e32 v1, 6, v0
	v_lshl_or_b32 v2, s2, 3, v1
	s_waitcnt lgkmcnt(0)
	v_cmp_gt_u32_e32 vcc, s3, v2
	s_and_saveexec_b64 s[2:3], vcc
	s_cbranch_execz .LBB49_4
; %bb.1:
	s_load_dwordx2 s[2:3], s[0:1], 0x28
	s_load_dword s4, s[0:1], 0x38
	v_mov_b32_e32 v3, 0
	v_and_b32_e32 v0, 63, v0
	s_waitcnt lgkmcnt(0)
	v_lshl_add_u64 v[4:5], v[2:3], 2, s[2:3]
	global_load_dwordx2 v[4:5], v[4:5], off
	v_subrev_u32_e32 v0, s4, v0
	s_waitcnt vmcnt(0)
	v_add_u32_e32 v0, v0, v4
	v_subrev_u32_e32 v6, s4, v5
	v_cmp_lt_i32_e32 vcc, v0, v6
	s_and_b64 exec, exec, vcc
	s_cbranch_execz .LBB49_4
; %bb.2:
	s_load_dwordx2 s[6:7], s[0:1], 0x30
	s_load_dword s5, s[0:1], 0x18
	s_load_dwordx2 s[8:9], s[0:1], 0x20
	s_load_dwordx2 s[2:3], s[0:1], 0x10
	v_ashrrev_i32_e32 v1, 31, v0
	s_mov_b64 s[0:1], 0
	s_waitcnt lgkmcnt(0)
	v_mul_lo_u32 v2, s5, v2
	v_subrev_u32_e32 v7, s4, v2
	v_lshl_add_u64 v[2:3], v[0:1], 2, s[6:7]
	v_lshl_add_u64 v[4:5], v[0:1], 3, s[8:9]
	s_mov_b64 s[4:5], 0x100
	s_mov_b64 s[6:7], 0x200
.LBB49_3:                               ; =>This Inner Loop Header: Depth=1
	global_load_dword v1, v[2:3], off
	v_add_u32_e32 v0, 64, v0
	v_cmp_ge_i32_e32 vcc, v0, v6
	v_lshl_add_u64 v[2:3], v[2:3], 0, s[4:5]
	s_or_b64 s[0:1], vcc, s[0:1]
	s_waitcnt vmcnt(0)
	v_add_u32_e32 v8, v7, v1
	v_ashrrev_i32_e32 v9, 31, v8
	v_lshl_add_u64 v[8:9], v[8:9], 3, s[2:3]
	global_load_dwordx2 v[8:9], v[8:9], off
	s_waitcnt vmcnt(0)
	global_store_dwordx2 v[4:5], v[8:9], off
	v_lshl_add_u64 v[4:5], v[4:5], 0, s[6:7]
	s_andn2_b64 exec, exec, s[0:1]
	s_cbranch_execnz .LBB49_3
.LBB49_4:
	s_endpgm
	.section	.rodata,"a",@progbits
	.p2align	6, 0x0
	.amdhsa_kernel _ZN9rocsparseL23sddmm_csx_sample_kernelILi512ELi64EL20rocsparse_direction_1E21rocsparse_complex_numIfEiiS3_EEvT4_S4_T3_PKT5_S4_PS6_PKS5_PKS4_21rocsparse_index_base_
		.amdhsa_group_segment_fixed_size 0
		.amdhsa_private_segment_fixed_size 0
		.amdhsa_kernarg_size 60
		.amdhsa_user_sgpr_count 2
		.amdhsa_user_sgpr_dispatch_ptr 0
		.amdhsa_user_sgpr_queue_ptr 0
		.amdhsa_user_sgpr_kernarg_segment_ptr 1
		.amdhsa_user_sgpr_dispatch_id 0
		.amdhsa_user_sgpr_kernarg_preload_length 0
		.amdhsa_user_sgpr_kernarg_preload_offset 0
		.amdhsa_user_sgpr_private_segment_size 0
		.amdhsa_uses_dynamic_stack 0
		.amdhsa_enable_private_segment 0
		.amdhsa_system_sgpr_workgroup_id_x 1
		.amdhsa_system_sgpr_workgroup_id_y 0
		.amdhsa_system_sgpr_workgroup_id_z 0
		.amdhsa_system_sgpr_workgroup_info 0
		.amdhsa_system_vgpr_workitem_id 0
		.amdhsa_next_free_vgpr 10
		.amdhsa_next_free_sgpr 10
		.amdhsa_accum_offset 12
		.amdhsa_reserve_vcc 1
		.amdhsa_float_round_mode_32 0
		.amdhsa_float_round_mode_16_64 0
		.amdhsa_float_denorm_mode_32 3
		.amdhsa_float_denorm_mode_16_64 3
		.amdhsa_dx10_clamp 1
		.amdhsa_ieee_mode 1
		.amdhsa_fp16_overflow 0
		.amdhsa_tg_split 0
		.amdhsa_exception_fp_ieee_invalid_op 0
		.amdhsa_exception_fp_denorm_src 0
		.amdhsa_exception_fp_ieee_div_zero 0
		.amdhsa_exception_fp_ieee_overflow 0
		.amdhsa_exception_fp_ieee_underflow 0
		.amdhsa_exception_fp_ieee_inexact 0
		.amdhsa_exception_int_div_zero 0
	.end_amdhsa_kernel
	.section	.text._ZN9rocsparseL23sddmm_csx_sample_kernelILi512ELi64EL20rocsparse_direction_1E21rocsparse_complex_numIfEiiS3_EEvT4_S4_T3_PKT5_S4_PS6_PKS5_PKS4_21rocsparse_index_base_,"axG",@progbits,_ZN9rocsparseL23sddmm_csx_sample_kernelILi512ELi64EL20rocsparse_direction_1E21rocsparse_complex_numIfEiiS3_EEvT4_S4_T3_PKT5_S4_PS6_PKS5_PKS4_21rocsparse_index_base_,comdat
.Lfunc_end49:
	.size	_ZN9rocsparseL23sddmm_csx_sample_kernelILi512ELi64EL20rocsparse_direction_1E21rocsparse_complex_numIfEiiS3_EEvT4_S4_T3_PKT5_S4_PS6_PKS5_PKS4_21rocsparse_index_base_, .Lfunc_end49-_ZN9rocsparseL23sddmm_csx_sample_kernelILi512ELi64EL20rocsparse_direction_1E21rocsparse_complex_numIfEiiS3_EEvT4_S4_T3_PKT5_S4_PS6_PKS5_PKS4_21rocsparse_index_base_
                                        ; -- End function
	.set _ZN9rocsparseL23sddmm_csx_sample_kernelILi512ELi64EL20rocsparse_direction_1E21rocsparse_complex_numIfEiiS3_EEvT4_S4_T3_PKT5_S4_PS6_PKS5_PKS4_21rocsparse_index_base_.num_vgpr, 10
	.set _ZN9rocsparseL23sddmm_csx_sample_kernelILi512ELi64EL20rocsparse_direction_1E21rocsparse_complex_numIfEiiS3_EEvT4_S4_T3_PKT5_S4_PS6_PKS5_PKS4_21rocsparse_index_base_.num_agpr, 0
	.set _ZN9rocsparseL23sddmm_csx_sample_kernelILi512ELi64EL20rocsparse_direction_1E21rocsparse_complex_numIfEiiS3_EEvT4_S4_T3_PKT5_S4_PS6_PKS5_PKS4_21rocsparse_index_base_.numbered_sgpr, 10
	.set _ZN9rocsparseL23sddmm_csx_sample_kernelILi512ELi64EL20rocsparse_direction_1E21rocsparse_complex_numIfEiiS3_EEvT4_S4_T3_PKT5_S4_PS6_PKS5_PKS4_21rocsparse_index_base_.num_named_barrier, 0
	.set _ZN9rocsparseL23sddmm_csx_sample_kernelILi512ELi64EL20rocsparse_direction_1E21rocsparse_complex_numIfEiiS3_EEvT4_S4_T3_PKT5_S4_PS6_PKS5_PKS4_21rocsparse_index_base_.private_seg_size, 0
	.set _ZN9rocsparseL23sddmm_csx_sample_kernelILi512ELi64EL20rocsparse_direction_1E21rocsparse_complex_numIfEiiS3_EEvT4_S4_T3_PKT5_S4_PS6_PKS5_PKS4_21rocsparse_index_base_.uses_vcc, 1
	.set _ZN9rocsparseL23sddmm_csx_sample_kernelILi512ELi64EL20rocsparse_direction_1E21rocsparse_complex_numIfEiiS3_EEvT4_S4_T3_PKT5_S4_PS6_PKS5_PKS4_21rocsparse_index_base_.uses_flat_scratch, 0
	.set _ZN9rocsparseL23sddmm_csx_sample_kernelILi512ELi64EL20rocsparse_direction_1E21rocsparse_complex_numIfEiiS3_EEvT4_S4_T3_PKT5_S4_PS6_PKS5_PKS4_21rocsparse_index_base_.has_dyn_sized_stack, 0
	.set _ZN9rocsparseL23sddmm_csx_sample_kernelILi512ELi64EL20rocsparse_direction_1E21rocsparse_complex_numIfEiiS3_EEvT4_S4_T3_PKT5_S4_PS6_PKS5_PKS4_21rocsparse_index_base_.has_recursion, 0
	.set _ZN9rocsparseL23sddmm_csx_sample_kernelILi512ELi64EL20rocsparse_direction_1E21rocsparse_complex_numIfEiiS3_EEvT4_S4_T3_PKT5_S4_PS6_PKS5_PKS4_21rocsparse_index_base_.has_indirect_call, 0
	.section	.AMDGPU.csdata,"",@progbits
; Kernel info:
; codeLenInByte = 284
; TotalNumSgprs: 16
; NumVgprs: 10
; NumAgprs: 0
; TotalNumVgprs: 10
; ScratchSize: 0
; MemoryBound: 0
; FloatMode: 240
; IeeeMode: 1
; LDSByteSize: 0 bytes/workgroup (compile time only)
; SGPRBlocks: 1
; VGPRBlocks: 1
; NumSGPRsForWavesPerEU: 16
; NumVGPRsForWavesPerEU: 10
; AccumOffset: 12
; Occupancy: 8
; WaveLimiterHint : 1
; COMPUTE_PGM_RSRC2:SCRATCH_EN: 0
; COMPUTE_PGM_RSRC2:USER_SGPR: 2
; COMPUTE_PGM_RSRC2:TRAP_HANDLER: 0
; COMPUTE_PGM_RSRC2:TGID_X_EN: 1
; COMPUTE_PGM_RSRC2:TGID_Y_EN: 0
; COMPUTE_PGM_RSRC2:TGID_Z_EN: 0
; COMPUTE_PGM_RSRC2:TIDIG_COMP_CNT: 0
; COMPUTE_PGM_RSRC3_GFX90A:ACCUM_OFFSET: 2
; COMPUTE_PGM_RSRC3_GFX90A:TG_SPLIT: 0
	.section	.text._ZN9rocsparseL23sddmm_csx_sample_kernelILi512ELi32EL20rocsparse_direction_1E21rocsparse_complex_numIfEiiS3_EEvT4_S4_T3_PKT5_S4_PS6_PKS5_PKS4_21rocsparse_index_base_,"axG",@progbits,_ZN9rocsparseL23sddmm_csx_sample_kernelILi512ELi32EL20rocsparse_direction_1E21rocsparse_complex_numIfEiiS3_EEvT4_S4_T3_PKT5_S4_PS6_PKS5_PKS4_21rocsparse_index_base_,comdat
	.globl	_ZN9rocsparseL23sddmm_csx_sample_kernelILi512ELi32EL20rocsparse_direction_1E21rocsparse_complex_numIfEiiS3_EEvT4_S4_T3_PKT5_S4_PS6_PKS5_PKS4_21rocsparse_index_base_ ; -- Begin function _ZN9rocsparseL23sddmm_csx_sample_kernelILi512ELi32EL20rocsparse_direction_1E21rocsparse_complex_numIfEiiS3_EEvT4_S4_T3_PKT5_S4_PS6_PKS5_PKS4_21rocsparse_index_base_
	.p2align	8
	.type	_ZN9rocsparseL23sddmm_csx_sample_kernelILi512ELi32EL20rocsparse_direction_1E21rocsparse_complex_numIfEiiS3_EEvT4_S4_T3_PKT5_S4_PS6_PKS5_PKS4_21rocsparse_index_base_,@function
_ZN9rocsparseL23sddmm_csx_sample_kernelILi512ELi32EL20rocsparse_direction_1E21rocsparse_complex_numIfEiiS3_EEvT4_S4_T3_PKT5_S4_PS6_PKS5_PKS4_21rocsparse_index_base_: ; @_ZN9rocsparseL23sddmm_csx_sample_kernelILi512ELi32EL20rocsparse_direction_1E21rocsparse_complex_numIfEiiS3_EEvT4_S4_T3_PKT5_S4_PS6_PKS5_PKS4_21rocsparse_index_base_
; %bb.0:
	s_load_dword s3, s[0:1], 0x4
	v_lshrrev_b32_e32 v1, 5, v0
	v_lshl_or_b32 v2, s2, 4, v1
	s_waitcnt lgkmcnt(0)
	v_cmp_gt_u32_e32 vcc, s3, v2
	s_and_saveexec_b64 s[2:3], vcc
	s_cbranch_execz .LBB50_4
; %bb.1:
	s_load_dwordx2 s[2:3], s[0:1], 0x28
	s_load_dword s4, s[0:1], 0x38
	v_mov_b32_e32 v3, 0
	v_and_b32_e32 v0, 31, v0
	s_waitcnt lgkmcnt(0)
	v_lshl_add_u64 v[4:5], v[2:3], 2, s[2:3]
	global_load_dwordx2 v[4:5], v[4:5], off
	v_subrev_u32_e32 v0, s4, v0
	s_waitcnt vmcnt(0)
	v_add_u32_e32 v0, v0, v4
	v_subrev_u32_e32 v6, s4, v5
	v_cmp_lt_i32_e32 vcc, v0, v6
	s_and_b64 exec, exec, vcc
	s_cbranch_execz .LBB50_4
; %bb.2:
	s_load_dwordx2 s[6:7], s[0:1], 0x30
	s_load_dword s5, s[0:1], 0x18
	s_load_dwordx2 s[8:9], s[0:1], 0x20
	s_load_dwordx2 s[2:3], s[0:1], 0x10
	v_ashrrev_i32_e32 v1, 31, v0
	s_mov_b64 s[0:1], 0
	s_waitcnt lgkmcnt(0)
	v_mul_lo_u32 v2, s5, v2
	v_subrev_u32_e32 v7, s4, v2
	v_lshl_add_u64 v[2:3], v[0:1], 2, s[6:7]
	v_lshl_add_u64 v[4:5], v[0:1], 3, s[8:9]
	s_mov_b64 s[4:5], 0x80
	s_mov_b64 s[6:7], 0x100
.LBB50_3:                               ; =>This Inner Loop Header: Depth=1
	global_load_dword v1, v[2:3], off
	v_add_u32_e32 v0, 32, v0
	v_cmp_ge_i32_e32 vcc, v0, v6
	v_lshl_add_u64 v[2:3], v[2:3], 0, s[4:5]
	s_or_b64 s[0:1], vcc, s[0:1]
	s_waitcnt vmcnt(0)
	v_add_u32_e32 v8, v7, v1
	v_ashrrev_i32_e32 v9, 31, v8
	v_lshl_add_u64 v[8:9], v[8:9], 3, s[2:3]
	global_load_dwordx2 v[8:9], v[8:9], off
	s_waitcnt vmcnt(0)
	global_store_dwordx2 v[4:5], v[8:9], off
	v_lshl_add_u64 v[4:5], v[4:5], 0, s[6:7]
	s_andn2_b64 exec, exec, s[0:1]
	s_cbranch_execnz .LBB50_3
.LBB50_4:
	s_endpgm
	.section	.rodata,"a",@progbits
	.p2align	6, 0x0
	.amdhsa_kernel _ZN9rocsparseL23sddmm_csx_sample_kernelILi512ELi32EL20rocsparse_direction_1E21rocsparse_complex_numIfEiiS3_EEvT4_S4_T3_PKT5_S4_PS6_PKS5_PKS4_21rocsparse_index_base_
		.amdhsa_group_segment_fixed_size 0
		.amdhsa_private_segment_fixed_size 0
		.amdhsa_kernarg_size 60
		.amdhsa_user_sgpr_count 2
		.amdhsa_user_sgpr_dispatch_ptr 0
		.amdhsa_user_sgpr_queue_ptr 0
		.amdhsa_user_sgpr_kernarg_segment_ptr 1
		.amdhsa_user_sgpr_dispatch_id 0
		.amdhsa_user_sgpr_kernarg_preload_length 0
		.amdhsa_user_sgpr_kernarg_preload_offset 0
		.amdhsa_user_sgpr_private_segment_size 0
		.amdhsa_uses_dynamic_stack 0
		.amdhsa_enable_private_segment 0
		.amdhsa_system_sgpr_workgroup_id_x 1
		.amdhsa_system_sgpr_workgroup_id_y 0
		.amdhsa_system_sgpr_workgroup_id_z 0
		.amdhsa_system_sgpr_workgroup_info 0
		.amdhsa_system_vgpr_workitem_id 0
		.amdhsa_next_free_vgpr 10
		.amdhsa_next_free_sgpr 10
		.amdhsa_accum_offset 12
		.amdhsa_reserve_vcc 1
		.amdhsa_float_round_mode_32 0
		.amdhsa_float_round_mode_16_64 0
		.amdhsa_float_denorm_mode_32 3
		.amdhsa_float_denorm_mode_16_64 3
		.amdhsa_dx10_clamp 1
		.amdhsa_ieee_mode 1
		.amdhsa_fp16_overflow 0
		.amdhsa_tg_split 0
		.amdhsa_exception_fp_ieee_invalid_op 0
		.amdhsa_exception_fp_denorm_src 0
		.amdhsa_exception_fp_ieee_div_zero 0
		.amdhsa_exception_fp_ieee_overflow 0
		.amdhsa_exception_fp_ieee_underflow 0
		.amdhsa_exception_fp_ieee_inexact 0
		.amdhsa_exception_int_div_zero 0
	.end_amdhsa_kernel
	.section	.text._ZN9rocsparseL23sddmm_csx_sample_kernelILi512ELi32EL20rocsparse_direction_1E21rocsparse_complex_numIfEiiS3_EEvT4_S4_T3_PKT5_S4_PS6_PKS5_PKS4_21rocsparse_index_base_,"axG",@progbits,_ZN9rocsparseL23sddmm_csx_sample_kernelILi512ELi32EL20rocsparse_direction_1E21rocsparse_complex_numIfEiiS3_EEvT4_S4_T3_PKT5_S4_PS6_PKS5_PKS4_21rocsparse_index_base_,comdat
.Lfunc_end50:
	.size	_ZN9rocsparseL23sddmm_csx_sample_kernelILi512ELi32EL20rocsparse_direction_1E21rocsparse_complex_numIfEiiS3_EEvT4_S4_T3_PKT5_S4_PS6_PKS5_PKS4_21rocsparse_index_base_, .Lfunc_end50-_ZN9rocsparseL23sddmm_csx_sample_kernelILi512ELi32EL20rocsparse_direction_1E21rocsparse_complex_numIfEiiS3_EEvT4_S4_T3_PKT5_S4_PS6_PKS5_PKS4_21rocsparse_index_base_
                                        ; -- End function
	.set _ZN9rocsparseL23sddmm_csx_sample_kernelILi512ELi32EL20rocsparse_direction_1E21rocsparse_complex_numIfEiiS3_EEvT4_S4_T3_PKT5_S4_PS6_PKS5_PKS4_21rocsparse_index_base_.num_vgpr, 10
	.set _ZN9rocsparseL23sddmm_csx_sample_kernelILi512ELi32EL20rocsparse_direction_1E21rocsparse_complex_numIfEiiS3_EEvT4_S4_T3_PKT5_S4_PS6_PKS5_PKS4_21rocsparse_index_base_.num_agpr, 0
	.set _ZN9rocsparseL23sddmm_csx_sample_kernelILi512ELi32EL20rocsparse_direction_1E21rocsparse_complex_numIfEiiS3_EEvT4_S4_T3_PKT5_S4_PS6_PKS5_PKS4_21rocsparse_index_base_.numbered_sgpr, 10
	.set _ZN9rocsparseL23sddmm_csx_sample_kernelILi512ELi32EL20rocsparse_direction_1E21rocsparse_complex_numIfEiiS3_EEvT4_S4_T3_PKT5_S4_PS6_PKS5_PKS4_21rocsparse_index_base_.num_named_barrier, 0
	.set _ZN9rocsparseL23sddmm_csx_sample_kernelILi512ELi32EL20rocsparse_direction_1E21rocsparse_complex_numIfEiiS3_EEvT4_S4_T3_PKT5_S4_PS6_PKS5_PKS4_21rocsparse_index_base_.private_seg_size, 0
	.set _ZN9rocsparseL23sddmm_csx_sample_kernelILi512ELi32EL20rocsparse_direction_1E21rocsparse_complex_numIfEiiS3_EEvT4_S4_T3_PKT5_S4_PS6_PKS5_PKS4_21rocsparse_index_base_.uses_vcc, 1
	.set _ZN9rocsparseL23sddmm_csx_sample_kernelILi512ELi32EL20rocsparse_direction_1E21rocsparse_complex_numIfEiiS3_EEvT4_S4_T3_PKT5_S4_PS6_PKS5_PKS4_21rocsparse_index_base_.uses_flat_scratch, 0
	.set _ZN9rocsparseL23sddmm_csx_sample_kernelILi512ELi32EL20rocsparse_direction_1E21rocsparse_complex_numIfEiiS3_EEvT4_S4_T3_PKT5_S4_PS6_PKS5_PKS4_21rocsparse_index_base_.has_dyn_sized_stack, 0
	.set _ZN9rocsparseL23sddmm_csx_sample_kernelILi512ELi32EL20rocsparse_direction_1E21rocsparse_complex_numIfEiiS3_EEvT4_S4_T3_PKT5_S4_PS6_PKS5_PKS4_21rocsparse_index_base_.has_recursion, 0
	.set _ZN9rocsparseL23sddmm_csx_sample_kernelILi512ELi32EL20rocsparse_direction_1E21rocsparse_complex_numIfEiiS3_EEvT4_S4_T3_PKT5_S4_PS6_PKS5_PKS4_21rocsparse_index_base_.has_indirect_call, 0
	.section	.AMDGPU.csdata,"",@progbits
; Kernel info:
; codeLenInByte = 284
; TotalNumSgprs: 16
; NumVgprs: 10
; NumAgprs: 0
; TotalNumVgprs: 10
; ScratchSize: 0
; MemoryBound: 0
; FloatMode: 240
; IeeeMode: 1
; LDSByteSize: 0 bytes/workgroup (compile time only)
; SGPRBlocks: 1
; VGPRBlocks: 1
; NumSGPRsForWavesPerEU: 16
; NumVGPRsForWavesPerEU: 10
; AccumOffset: 12
; Occupancy: 8
; WaveLimiterHint : 1
; COMPUTE_PGM_RSRC2:SCRATCH_EN: 0
; COMPUTE_PGM_RSRC2:USER_SGPR: 2
; COMPUTE_PGM_RSRC2:TRAP_HANDLER: 0
; COMPUTE_PGM_RSRC2:TGID_X_EN: 1
; COMPUTE_PGM_RSRC2:TGID_Y_EN: 0
; COMPUTE_PGM_RSRC2:TGID_Z_EN: 0
; COMPUTE_PGM_RSRC2:TIDIG_COMP_CNT: 0
; COMPUTE_PGM_RSRC3_GFX90A:ACCUM_OFFSET: 2
; COMPUTE_PGM_RSRC3_GFX90A:TG_SPLIT: 0
	.section	.text._ZN9rocsparseL23sddmm_csx_sample_kernelILi512ELi16EL20rocsparse_direction_1E21rocsparse_complex_numIfEiiS3_EEvT4_S4_T3_PKT5_S4_PS6_PKS5_PKS4_21rocsparse_index_base_,"axG",@progbits,_ZN9rocsparseL23sddmm_csx_sample_kernelILi512ELi16EL20rocsparse_direction_1E21rocsparse_complex_numIfEiiS3_EEvT4_S4_T3_PKT5_S4_PS6_PKS5_PKS4_21rocsparse_index_base_,comdat
	.globl	_ZN9rocsparseL23sddmm_csx_sample_kernelILi512ELi16EL20rocsparse_direction_1E21rocsparse_complex_numIfEiiS3_EEvT4_S4_T3_PKT5_S4_PS6_PKS5_PKS4_21rocsparse_index_base_ ; -- Begin function _ZN9rocsparseL23sddmm_csx_sample_kernelILi512ELi16EL20rocsparse_direction_1E21rocsparse_complex_numIfEiiS3_EEvT4_S4_T3_PKT5_S4_PS6_PKS5_PKS4_21rocsparse_index_base_
	.p2align	8
	.type	_ZN9rocsparseL23sddmm_csx_sample_kernelILi512ELi16EL20rocsparse_direction_1E21rocsparse_complex_numIfEiiS3_EEvT4_S4_T3_PKT5_S4_PS6_PKS5_PKS4_21rocsparse_index_base_,@function
_ZN9rocsparseL23sddmm_csx_sample_kernelILi512ELi16EL20rocsparse_direction_1E21rocsparse_complex_numIfEiiS3_EEvT4_S4_T3_PKT5_S4_PS6_PKS5_PKS4_21rocsparse_index_base_: ; @_ZN9rocsparseL23sddmm_csx_sample_kernelILi512ELi16EL20rocsparse_direction_1E21rocsparse_complex_numIfEiiS3_EEvT4_S4_T3_PKT5_S4_PS6_PKS5_PKS4_21rocsparse_index_base_
; %bb.0:
	s_load_dword s3, s[0:1], 0x4
	v_lshrrev_b32_e32 v1, 4, v0
	v_lshl_or_b32 v2, s2, 5, v1
	s_waitcnt lgkmcnt(0)
	v_cmp_gt_u32_e32 vcc, s3, v2
	s_and_saveexec_b64 s[2:3], vcc
	s_cbranch_execz .LBB51_4
; %bb.1:
	s_load_dwordx2 s[2:3], s[0:1], 0x28
	s_load_dword s4, s[0:1], 0x38
	v_mov_b32_e32 v3, 0
	v_and_b32_e32 v0, 15, v0
	s_waitcnt lgkmcnt(0)
	v_lshl_add_u64 v[4:5], v[2:3], 2, s[2:3]
	global_load_dwordx2 v[4:5], v[4:5], off
	v_subrev_u32_e32 v0, s4, v0
	s_waitcnt vmcnt(0)
	v_add_u32_e32 v0, v0, v4
	v_subrev_u32_e32 v6, s4, v5
	v_cmp_lt_i32_e32 vcc, v0, v6
	s_and_b64 exec, exec, vcc
	s_cbranch_execz .LBB51_4
; %bb.2:
	s_load_dwordx2 s[6:7], s[0:1], 0x30
	s_load_dword s5, s[0:1], 0x18
	s_load_dwordx2 s[8:9], s[0:1], 0x20
	s_load_dwordx2 s[2:3], s[0:1], 0x10
	v_ashrrev_i32_e32 v1, 31, v0
	s_mov_b64 s[0:1], 0
	s_waitcnt lgkmcnt(0)
	v_mul_lo_u32 v2, s5, v2
	v_subrev_u32_e32 v7, s4, v2
	v_lshl_add_u64 v[2:3], v[0:1], 2, s[6:7]
	v_lshl_add_u64 v[4:5], v[0:1], 3, s[8:9]
	s_mov_b64 s[4:5], 0x80
.LBB51_3:                               ; =>This Inner Loop Header: Depth=1
	global_load_dword v1, v[2:3], off
	v_add_u32_e32 v0, 16, v0
	v_cmp_ge_i32_e32 vcc, v0, v6
	v_lshl_add_u64 v[2:3], v[2:3], 0, 64
	s_or_b64 s[0:1], vcc, s[0:1]
	s_waitcnt vmcnt(0)
	v_add_u32_e32 v8, v7, v1
	v_ashrrev_i32_e32 v9, 31, v8
	v_lshl_add_u64 v[8:9], v[8:9], 3, s[2:3]
	global_load_dwordx2 v[8:9], v[8:9], off
	s_waitcnt vmcnt(0)
	global_store_dwordx2 v[4:5], v[8:9], off
	v_lshl_add_u64 v[4:5], v[4:5], 0, s[4:5]
	s_andn2_b64 exec, exec, s[0:1]
	s_cbranch_execnz .LBB51_3
.LBB51_4:
	s_endpgm
	.section	.rodata,"a",@progbits
	.p2align	6, 0x0
	.amdhsa_kernel _ZN9rocsparseL23sddmm_csx_sample_kernelILi512ELi16EL20rocsparse_direction_1E21rocsparse_complex_numIfEiiS3_EEvT4_S4_T3_PKT5_S4_PS6_PKS5_PKS4_21rocsparse_index_base_
		.amdhsa_group_segment_fixed_size 0
		.amdhsa_private_segment_fixed_size 0
		.amdhsa_kernarg_size 60
		.amdhsa_user_sgpr_count 2
		.amdhsa_user_sgpr_dispatch_ptr 0
		.amdhsa_user_sgpr_queue_ptr 0
		.amdhsa_user_sgpr_kernarg_segment_ptr 1
		.amdhsa_user_sgpr_dispatch_id 0
		.amdhsa_user_sgpr_kernarg_preload_length 0
		.amdhsa_user_sgpr_kernarg_preload_offset 0
		.amdhsa_user_sgpr_private_segment_size 0
		.amdhsa_uses_dynamic_stack 0
		.amdhsa_enable_private_segment 0
		.amdhsa_system_sgpr_workgroup_id_x 1
		.amdhsa_system_sgpr_workgroup_id_y 0
		.amdhsa_system_sgpr_workgroup_id_z 0
		.amdhsa_system_sgpr_workgroup_info 0
		.amdhsa_system_vgpr_workitem_id 0
		.amdhsa_next_free_vgpr 10
		.amdhsa_next_free_sgpr 10
		.amdhsa_accum_offset 12
		.amdhsa_reserve_vcc 1
		.amdhsa_float_round_mode_32 0
		.amdhsa_float_round_mode_16_64 0
		.amdhsa_float_denorm_mode_32 3
		.amdhsa_float_denorm_mode_16_64 3
		.amdhsa_dx10_clamp 1
		.amdhsa_ieee_mode 1
		.amdhsa_fp16_overflow 0
		.amdhsa_tg_split 0
		.amdhsa_exception_fp_ieee_invalid_op 0
		.amdhsa_exception_fp_denorm_src 0
		.amdhsa_exception_fp_ieee_div_zero 0
		.amdhsa_exception_fp_ieee_overflow 0
		.amdhsa_exception_fp_ieee_underflow 0
		.amdhsa_exception_fp_ieee_inexact 0
		.amdhsa_exception_int_div_zero 0
	.end_amdhsa_kernel
	.section	.text._ZN9rocsparseL23sddmm_csx_sample_kernelILi512ELi16EL20rocsparse_direction_1E21rocsparse_complex_numIfEiiS3_EEvT4_S4_T3_PKT5_S4_PS6_PKS5_PKS4_21rocsparse_index_base_,"axG",@progbits,_ZN9rocsparseL23sddmm_csx_sample_kernelILi512ELi16EL20rocsparse_direction_1E21rocsparse_complex_numIfEiiS3_EEvT4_S4_T3_PKT5_S4_PS6_PKS5_PKS4_21rocsparse_index_base_,comdat
.Lfunc_end51:
	.size	_ZN9rocsparseL23sddmm_csx_sample_kernelILi512ELi16EL20rocsparse_direction_1E21rocsparse_complex_numIfEiiS3_EEvT4_S4_T3_PKT5_S4_PS6_PKS5_PKS4_21rocsparse_index_base_, .Lfunc_end51-_ZN9rocsparseL23sddmm_csx_sample_kernelILi512ELi16EL20rocsparse_direction_1E21rocsparse_complex_numIfEiiS3_EEvT4_S4_T3_PKT5_S4_PS6_PKS5_PKS4_21rocsparse_index_base_
                                        ; -- End function
	.set _ZN9rocsparseL23sddmm_csx_sample_kernelILi512ELi16EL20rocsparse_direction_1E21rocsparse_complex_numIfEiiS3_EEvT4_S4_T3_PKT5_S4_PS6_PKS5_PKS4_21rocsparse_index_base_.num_vgpr, 10
	.set _ZN9rocsparseL23sddmm_csx_sample_kernelILi512ELi16EL20rocsparse_direction_1E21rocsparse_complex_numIfEiiS3_EEvT4_S4_T3_PKT5_S4_PS6_PKS5_PKS4_21rocsparse_index_base_.num_agpr, 0
	.set _ZN9rocsparseL23sddmm_csx_sample_kernelILi512ELi16EL20rocsparse_direction_1E21rocsparse_complex_numIfEiiS3_EEvT4_S4_T3_PKT5_S4_PS6_PKS5_PKS4_21rocsparse_index_base_.numbered_sgpr, 10
	.set _ZN9rocsparseL23sddmm_csx_sample_kernelILi512ELi16EL20rocsparse_direction_1E21rocsparse_complex_numIfEiiS3_EEvT4_S4_T3_PKT5_S4_PS6_PKS5_PKS4_21rocsparse_index_base_.num_named_barrier, 0
	.set _ZN9rocsparseL23sddmm_csx_sample_kernelILi512ELi16EL20rocsparse_direction_1E21rocsparse_complex_numIfEiiS3_EEvT4_S4_T3_PKT5_S4_PS6_PKS5_PKS4_21rocsparse_index_base_.private_seg_size, 0
	.set _ZN9rocsparseL23sddmm_csx_sample_kernelILi512ELi16EL20rocsparse_direction_1E21rocsparse_complex_numIfEiiS3_EEvT4_S4_T3_PKT5_S4_PS6_PKS5_PKS4_21rocsparse_index_base_.uses_vcc, 1
	.set _ZN9rocsparseL23sddmm_csx_sample_kernelILi512ELi16EL20rocsparse_direction_1E21rocsparse_complex_numIfEiiS3_EEvT4_S4_T3_PKT5_S4_PS6_PKS5_PKS4_21rocsparse_index_base_.uses_flat_scratch, 0
	.set _ZN9rocsparseL23sddmm_csx_sample_kernelILi512ELi16EL20rocsparse_direction_1E21rocsparse_complex_numIfEiiS3_EEvT4_S4_T3_PKT5_S4_PS6_PKS5_PKS4_21rocsparse_index_base_.has_dyn_sized_stack, 0
	.set _ZN9rocsparseL23sddmm_csx_sample_kernelILi512ELi16EL20rocsparse_direction_1E21rocsparse_complex_numIfEiiS3_EEvT4_S4_T3_PKT5_S4_PS6_PKS5_PKS4_21rocsparse_index_base_.has_recursion, 0
	.set _ZN9rocsparseL23sddmm_csx_sample_kernelILi512ELi16EL20rocsparse_direction_1E21rocsparse_complex_numIfEiiS3_EEvT4_S4_T3_PKT5_S4_PS6_PKS5_PKS4_21rocsparse_index_base_.has_indirect_call, 0
	.section	.AMDGPU.csdata,"",@progbits
; Kernel info:
; codeLenInByte = 276
; TotalNumSgprs: 16
; NumVgprs: 10
; NumAgprs: 0
; TotalNumVgprs: 10
; ScratchSize: 0
; MemoryBound: 0
; FloatMode: 240
; IeeeMode: 1
; LDSByteSize: 0 bytes/workgroup (compile time only)
; SGPRBlocks: 1
; VGPRBlocks: 1
; NumSGPRsForWavesPerEU: 16
; NumVGPRsForWavesPerEU: 10
; AccumOffset: 12
; Occupancy: 8
; WaveLimiterHint : 1
; COMPUTE_PGM_RSRC2:SCRATCH_EN: 0
; COMPUTE_PGM_RSRC2:USER_SGPR: 2
; COMPUTE_PGM_RSRC2:TRAP_HANDLER: 0
; COMPUTE_PGM_RSRC2:TGID_X_EN: 1
; COMPUTE_PGM_RSRC2:TGID_Y_EN: 0
; COMPUTE_PGM_RSRC2:TGID_Z_EN: 0
; COMPUTE_PGM_RSRC2:TIDIG_COMP_CNT: 0
; COMPUTE_PGM_RSRC3_GFX90A:ACCUM_OFFSET: 2
; COMPUTE_PGM_RSRC3_GFX90A:TG_SPLIT: 0
	.section	.text._ZN9rocsparseL23sddmm_csx_sample_kernelILi512ELi8EL20rocsparse_direction_1E21rocsparse_complex_numIfEiiS3_EEvT4_S4_T3_PKT5_S4_PS6_PKS5_PKS4_21rocsparse_index_base_,"axG",@progbits,_ZN9rocsparseL23sddmm_csx_sample_kernelILi512ELi8EL20rocsparse_direction_1E21rocsparse_complex_numIfEiiS3_EEvT4_S4_T3_PKT5_S4_PS6_PKS5_PKS4_21rocsparse_index_base_,comdat
	.globl	_ZN9rocsparseL23sddmm_csx_sample_kernelILi512ELi8EL20rocsparse_direction_1E21rocsparse_complex_numIfEiiS3_EEvT4_S4_T3_PKT5_S4_PS6_PKS5_PKS4_21rocsparse_index_base_ ; -- Begin function _ZN9rocsparseL23sddmm_csx_sample_kernelILi512ELi8EL20rocsparse_direction_1E21rocsparse_complex_numIfEiiS3_EEvT4_S4_T3_PKT5_S4_PS6_PKS5_PKS4_21rocsparse_index_base_
	.p2align	8
	.type	_ZN9rocsparseL23sddmm_csx_sample_kernelILi512ELi8EL20rocsparse_direction_1E21rocsparse_complex_numIfEiiS3_EEvT4_S4_T3_PKT5_S4_PS6_PKS5_PKS4_21rocsparse_index_base_,@function
_ZN9rocsparseL23sddmm_csx_sample_kernelILi512ELi8EL20rocsparse_direction_1E21rocsparse_complex_numIfEiiS3_EEvT4_S4_T3_PKT5_S4_PS6_PKS5_PKS4_21rocsparse_index_base_: ; @_ZN9rocsparseL23sddmm_csx_sample_kernelILi512ELi8EL20rocsparse_direction_1E21rocsparse_complex_numIfEiiS3_EEvT4_S4_T3_PKT5_S4_PS6_PKS5_PKS4_21rocsparse_index_base_
; %bb.0:
	s_load_dword s3, s[0:1], 0x4
	v_lshrrev_b32_e32 v1, 3, v0
	v_lshl_or_b32 v2, s2, 6, v1
	s_waitcnt lgkmcnt(0)
	v_cmp_gt_u32_e32 vcc, s3, v2
	s_and_saveexec_b64 s[2:3], vcc
	s_cbranch_execz .LBB52_4
; %bb.1:
	s_load_dwordx2 s[2:3], s[0:1], 0x28
	s_load_dword s4, s[0:1], 0x38
	v_mov_b32_e32 v3, 0
	v_and_b32_e32 v0, 7, v0
	s_waitcnt lgkmcnt(0)
	v_lshl_add_u64 v[4:5], v[2:3], 2, s[2:3]
	global_load_dwordx2 v[4:5], v[4:5], off
	v_subrev_u32_e32 v0, s4, v0
	s_waitcnt vmcnt(0)
	v_add_u32_e32 v0, v0, v4
	v_subrev_u32_e32 v6, s4, v5
	v_cmp_lt_i32_e32 vcc, v0, v6
	s_and_b64 exec, exec, vcc
	s_cbranch_execz .LBB52_4
; %bb.2:
	s_load_dwordx2 s[6:7], s[0:1], 0x30
	s_load_dword s5, s[0:1], 0x18
	s_load_dwordx2 s[8:9], s[0:1], 0x20
	s_load_dwordx2 s[2:3], s[0:1], 0x10
	v_ashrrev_i32_e32 v1, 31, v0
	s_mov_b64 s[0:1], 0
	s_waitcnt lgkmcnt(0)
	v_mul_lo_u32 v2, s5, v2
	v_subrev_u32_e32 v7, s4, v2
	v_lshl_add_u64 v[2:3], v[0:1], 2, s[6:7]
	v_lshl_add_u64 v[4:5], v[0:1], 3, s[8:9]
.LBB52_3:                               ; =>This Inner Loop Header: Depth=1
	global_load_dword v1, v[2:3], off
	v_add_u32_e32 v0, 8, v0
	v_cmp_ge_i32_e32 vcc, v0, v6
	v_lshl_add_u64 v[2:3], v[2:3], 0, 32
	s_or_b64 s[0:1], vcc, s[0:1]
	s_waitcnt vmcnt(0)
	v_add_u32_e32 v8, v7, v1
	v_ashrrev_i32_e32 v9, 31, v8
	v_lshl_add_u64 v[8:9], v[8:9], 3, s[2:3]
	global_load_dwordx2 v[8:9], v[8:9], off
	s_waitcnt vmcnt(0)
	global_store_dwordx2 v[4:5], v[8:9], off
	v_lshl_add_u64 v[4:5], v[4:5], 0, 64
	s_andn2_b64 exec, exec, s[0:1]
	s_cbranch_execnz .LBB52_3
.LBB52_4:
	s_endpgm
	.section	.rodata,"a",@progbits
	.p2align	6, 0x0
	.amdhsa_kernel _ZN9rocsparseL23sddmm_csx_sample_kernelILi512ELi8EL20rocsparse_direction_1E21rocsparse_complex_numIfEiiS3_EEvT4_S4_T3_PKT5_S4_PS6_PKS5_PKS4_21rocsparse_index_base_
		.amdhsa_group_segment_fixed_size 0
		.amdhsa_private_segment_fixed_size 0
		.amdhsa_kernarg_size 60
		.amdhsa_user_sgpr_count 2
		.amdhsa_user_sgpr_dispatch_ptr 0
		.amdhsa_user_sgpr_queue_ptr 0
		.amdhsa_user_sgpr_kernarg_segment_ptr 1
		.amdhsa_user_sgpr_dispatch_id 0
		.amdhsa_user_sgpr_kernarg_preload_length 0
		.amdhsa_user_sgpr_kernarg_preload_offset 0
		.amdhsa_user_sgpr_private_segment_size 0
		.amdhsa_uses_dynamic_stack 0
		.amdhsa_enable_private_segment 0
		.amdhsa_system_sgpr_workgroup_id_x 1
		.amdhsa_system_sgpr_workgroup_id_y 0
		.amdhsa_system_sgpr_workgroup_id_z 0
		.amdhsa_system_sgpr_workgroup_info 0
		.amdhsa_system_vgpr_workitem_id 0
		.amdhsa_next_free_vgpr 10
		.amdhsa_next_free_sgpr 10
		.amdhsa_accum_offset 12
		.amdhsa_reserve_vcc 1
		.amdhsa_float_round_mode_32 0
		.amdhsa_float_round_mode_16_64 0
		.amdhsa_float_denorm_mode_32 3
		.amdhsa_float_denorm_mode_16_64 3
		.amdhsa_dx10_clamp 1
		.amdhsa_ieee_mode 1
		.amdhsa_fp16_overflow 0
		.amdhsa_tg_split 0
		.amdhsa_exception_fp_ieee_invalid_op 0
		.amdhsa_exception_fp_denorm_src 0
		.amdhsa_exception_fp_ieee_div_zero 0
		.amdhsa_exception_fp_ieee_overflow 0
		.amdhsa_exception_fp_ieee_underflow 0
		.amdhsa_exception_fp_ieee_inexact 0
		.amdhsa_exception_int_div_zero 0
	.end_amdhsa_kernel
	.section	.text._ZN9rocsparseL23sddmm_csx_sample_kernelILi512ELi8EL20rocsparse_direction_1E21rocsparse_complex_numIfEiiS3_EEvT4_S4_T3_PKT5_S4_PS6_PKS5_PKS4_21rocsparse_index_base_,"axG",@progbits,_ZN9rocsparseL23sddmm_csx_sample_kernelILi512ELi8EL20rocsparse_direction_1E21rocsparse_complex_numIfEiiS3_EEvT4_S4_T3_PKT5_S4_PS6_PKS5_PKS4_21rocsparse_index_base_,comdat
.Lfunc_end52:
	.size	_ZN9rocsparseL23sddmm_csx_sample_kernelILi512ELi8EL20rocsparse_direction_1E21rocsparse_complex_numIfEiiS3_EEvT4_S4_T3_PKT5_S4_PS6_PKS5_PKS4_21rocsparse_index_base_, .Lfunc_end52-_ZN9rocsparseL23sddmm_csx_sample_kernelILi512ELi8EL20rocsparse_direction_1E21rocsparse_complex_numIfEiiS3_EEvT4_S4_T3_PKT5_S4_PS6_PKS5_PKS4_21rocsparse_index_base_
                                        ; -- End function
	.set _ZN9rocsparseL23sddmm_csx_sample_kernelILi512ELi8EL20rocsparse_direction_1E21rocsparse_complex_numIfEiiS3_EEvT4_S4_T3_PKT5_S4_PS6_PKS5_PKS4_21rocsparse_index_base_.num_vgpr, 10
	.set _ZN9rocsparseL23sddmm_csx_sample_kernelILi512ELi8EL20rocsparse_direction_1E21rocsparse_complex_numIfEiiS3_EEvT4_S4_T3_PKT5_S4_PS6_PKS5_PKS4_21rocsparse_index_base_.num_agpr, 0
	.set _ZN9rocsparseL23sddmm_csx_sample_kernelILi512ELi8EL20rocsparse_direction_1E21rocsparse_complex_numIfEiiS3_EEvT4_S4_T3_PKT5_S4_PS6_PKS5_PKS4_21rocsparse_index_base_.numbered_sgpr, 10
	.set _ZN9rocsparseL23sddmm_csx_sample_kernelILi512ELi8EL20rocsparse_direction_1E21rocsparse_complex_numIfEiiS3_EEvT4_S4_T3_PKT5_S4_PS6_PKS5_PKS4_21rocsparse_index_base_.num_named_barrier, 0
	.set _ZN9rocsparseL23sddmm_csx_sample_kernelILi512ELi8EL20rocsparse_direction_1E21rocsparse_complex_numIfEiiS3_EEvT4_S4_T3_PKT5_S4_PS6_PKS5_PKS4_21rocsparse_index_base_.private_seg_size, 0
	.set _ZN9rocsparseL23sddmm_csx_sample_kernelILi512ELi8EL20rocsparse_direction_1E21rocsparse_complex_numIfEiiS3_EEvT4_S4_T3_PKT5_S4_PS6_PKS5_PKS4_21rocsparse_index_base_.uses_vcc, 1
	.set _ZN9rocsparseL23sddmm_csx_sample_kernelILi512ELi8EL20rocsparse_direction_1E21rocsparse_complex_numIfEiiS3_EEvT4_S4_T3_PKT5_S4_PS6_PKS5_PKS4_21rocsparse_index_base_.uses_flat_scratch, 0
	.set _ZN9rocsparseL23sddmm_csx_sample_kernelILi512ELi8EL20rocsparse_direction_1E21rocsparse_complex_numIfEiiS3_EEvT4_S4_T3_PKT5_S4_PS6_PKS5_PKS4_21rocsparse_index_base_.has_dyn_sized_stack, 0
	.set _ZN9rocsparseL23sddmm_csx_sample_kernelILi512ELi8EL20rocsparse_direction_1E21rocsparse_complex_numIfEiiS3_EEvT4_S4_T3_PKT5_S4_PS6_PKS5_PKS4_21rocsparse_index_base_.has_recursion, 0
	.set _ZN9rocsparseL23sddmm_csx_sample_kernelILi512ELi8EL20rocsparse_direction_1E21rocsparse_complex_numIfEiiS3_EEvT4_S4_T3_PKT5_S4_PS6_PKS5_PKS4_21rocsparse_index_base_.has_indirect_call, 0
	.section	.AMDGPU.csdata,"",@progbits
; Kernel info:
; codeLenInByte = 268
; TotalNumSgprs: 16
; NumVgprs: 10
; NumAgprs: 0
; TotalNumVgprs: 10
; ScratchSize: 0
; MemoryBound: 0
; FloatMode: 240
; IeeeMode: 1
; LDSByteSize: 0 bytes/workgroup (compile time only)
; SGPRBlocks: 1
; VGPRBlocks: 1
; NumSGPRsForWavesPerEU: 16
; NumVGPRsForWavesPerEU: 10
; AccumOffset: 12
; Occupancy: 8
; WaveLimiterHint : 1
; COMPUTE_PGM_RSRC2:SCRATCH_EN: 0
; COMPUTE_PGM_RSRC2:USER_SGPR: 2
; COMPUTE_PGM_RSRC2:TRAP_HANDLER: 0
; COMPUTE_PGM_RSRC2:TGID_X_EN: 1
; COMPUTE_PGM_RSRC2:TGID_Y_EN: 0
; COMPUTE_PGM_RSRC2:TGID_Z_EN: 0
; COMPUTE_PGM_RSRC2:TIDIG_COMP_CNT: 0
; COMPUTE_PGM_RSRC3_GFX90A:ACCUM_OFFSET: 2
; COMPUTE_PGM_RSRC3_GFX90A:TG_SPLIT: 0
	.section	.text._ZN9rocsparseL23sddmm_csx_sample_kernelILi512ELi4EL20rocsparse_direction_1E21rocsparse_complex_numIfEiiS3_EEvT4_S4_T3_PKT5_S4_PS6_PKS5_PKS4_21rocsparse_index_base_,"axG",@progbits,_ZN9rocsparseL23sddmm_csx_sample_kernelILi512ELi4EL20rocsparse_direction_1E21rocsparse_complex_numIfEiiS3_EEvT4_S4_T3_PKT5_S4_PS6_PKS5_PKS4_21rocsparse_index_base_,comdat
	.globl	_ZN9rocsparseL23sddmm_csx_sample_kernelILi512ELi4EL20rocsparse_direction_1E21rocsparse_complex_numIfEiiS3_EEvT4_S4_T3_PKT5_S4_PS6_PKS5_PKS4_21rocsparse_index_base_ ; -- Begin function _ZN9rocsparseL23sddmm_csx_sample_kernelILi512ELi4EL20rocsparse_direction_1E21rocsparse_complex_numIfEiiS3_EEvT4_S4_T3_PKT5_S4_PS6_PKS5_PKS4_21rocsparse_index_base_
	.p2align	8
	.type	_ZN9rocsparseL23sddmm_csx_sample_kernelILi512ELi4EL20rocsparse_direction_1E21rocsparse_complex_numIfEiiS3_EEvT4_S4_T3_PKT5_S4_PS6_PKS5_PKS4_21rocsparse_index_base_,@function
_ZN9rocsparseL23sddmm_csx_sample_kernelILi512ELi4EL20rocsparse_direction_1E21rocsparse_complex_numIfEiiS3_EEvT4_S4_T3_PKT5_S4_PS6_PKS5_PKS4_21rocsparse_index_base_: ; @_ZN9rocsparseL23sddmm_csx_sample_kernelILi512ELi4EL20rocsparse_direction_1E21rocsparse_complex_numIfEiiS3_EEvT4_S4_T3_PKT5_S4_PS6_PKS5_PKS4_21rocsparse_index_base_
; %bb.0:
	s_load_dword s3, s[0:1], 0x4
	v_lshrrev_b32_e32 v1, 2, v0
	v_lshl_or_b32 v2, s2, 7, v1
	s_waitcnt lgkmcnt(0)
	v_cmp_gt_u32_e32 vcc, s3, v2
	s_and_saveexec_b64 s[2:3], vcc
	s_cbranch_execz .LBB53_4
; %bb.1:
	s_load_dwordx2 s[2:3], s[0:1], 0x28
	s_load_dword s4, s[0:1], 0x38
	v_mov_b32_e32 v3, 0
	v_and_b32_e32 v0, 3, v0
	s_waitcnt lgkmcnt(0)
	v_lshl_add_u64 v[4:5], v[2:3], 2, s[2:3]
	global_load_dwordx2 v[4:5], v[4:5], off
	v_subrev_u32_e32 v0, s4, v0
	s_waitcnt vmcnt(0)
	v_add_u32_e32 v0, v0, v4
	v_subrev_u32_e32 v6, s4, v5
	v_cmp_lt_i32_e32 vcc, v0, v6
	s_and_b64 exec, exec, vcc
	s_cbranch_execz .LBB53_4
; %bb.2:
	s_load_dwordx2 s[6:7], s[0:1], 0x30
	s_load_dword s5, s[0:1], 0x18
	s_load_dwordx2 s[8:9], s[0:1], 0x20
	s_load_dwordx2 s[2:3], s[0:1], 0x10
	v_ashrrev_i32_e32 v1, 31, v0
	s_mov_b64 s[0:1], 0
	s_waitcnt lgkmcnt(0)
	v_mul_lo_u32 v2, s5, v2
	v_subrev_u32_e32 v7, s4, v2
	v_lshl_add_u64 v[2:3], v[0:1], 2, s[6:7]
	v_lshl_add_u64 v[4:5], v[0:1], 3, s[8:9]
.LBB53_3:                               ; =>This Inner Loop Header: Depth=1
	global_load_dword v1, v[2:3], off
	v_add_u32_e32 v0, 4, v0
	v_cmp_ge_i32_e32 vcc, v0, v6
	v_lshl_add_u64 v[2:3], v[2:3], 0, 16
	s_or_b64 s[0:1], vcc, s[0:1]
	s_waitcnt vmcnt(0)
	v_add_u32_e32 v8, v7, v1
	v_ashrrev_i32_e32 v9, 31, v8
	v_lshl_add_u64 v[8:9], v[8:9], 3, s[2:3]
	global_load_dwordx2 v[8:9], v[8:9], off
	s_waitcnt vmcnt(0)
	global_store_dwordx2 v[4:5], v[8:9], off
	v_lshl_add_u64 v[4:5], v[4:5], 0, 32
	s_andn2_b64 exec, exec, s[0:1]
	s_cbranch_execnz .LBB53_3
.LBB53_4:
	s_endpgm
	.section	.rodata,"a",@progbits
	.p2align	6, 0x0
	.amdhsa_kernel _ZN9rocsparseL23sddmm_csx_sample_kernelILi512ELi4EL20rocsparse_direction_1E21rocsparse_complex_numIfEiiS3_EEvT4_S4_T3_PKT5_S4_PS6_PKS5_PKS4_21rocsparse_index_base_
		.amdhsa_group_segment_fixed_size 0
		.amdhsa_private_segment_fixed_size 0
		.amdhsa_kernarg_size 60
		.amdhsa_user_sgpr_count 2
		.amdhsa_user_sgpr_dispatch_ptr 0
		.amdhsa_user_sgpr_queue_ptr 0
		.amdhsa_user_sgpr_kernarg_segment_ptr 1
		.amdhsa_user_sgpr_dispatch_id 0
		.amdhsa_user_sgpr_kernarg_preload_length 0
		.amdhsa_user_sgpr_kernarg_preload_offset 0
		.amdhsa_user_sgpr_private_segment_size 0
		.amdhsa_uses_dynamic_stack 0
		.amdhsa_enable_private_segment 0
		.amdhsa_system_sgpr_workgroup_id_x 1
		.amdhsa_system_sgpr_workgroup_id_y 0
		.amdhsa_system_sgpr_workgroup_id_z 0
		.amdhsa_system_sgpr_workgroup_info 0
		.amdhsa_system_vgpr_workitem_id 0
		.amdhsa_next_free_vgpr 10
		.amdhsa_next_free_sgpr 10
		.amdhsa_accum_offset 12
		.amdhsa_reserve_vcc 1
		.amdhsa_float_round_mode_32 0
		.amdhsa_float_round_mode_16_64 0
		.amdhsa_float_denorm_mode_32 3
		.amdhsa_float_denorm_mode_16_64 3
		.amdhsa_dx10_clamp 1
		.amdhsa_ieee_mode 1
		.amdhsa_fp16_overflow 0
		.amdhsa_tg_split 0
		.amdhsa_exception_fp_ieee_invalid_op 0
		.amdhsa_exception_fp_denorm_src 0
		.amdhsa_exception_fp_ieee_div_zero 0
		.amdhsa_exception_fp_ieee_overflow 0
		.amdhsa_exception_fp_ieee_underflow 0
		.amdhsa_exception_fp_ieee_inexact 0
		.amdhsa_exception_int_div_zero 0
	.end_amdhsa_kernel
	.section	.text._ZN9rocsparseL23sddmm_csx_sample_kernelILi512ELi4EL20rocsparse_direction_1E21rocsparse_complex_numIfEiiS3_EEvT4_S4_T3_PKT5_S4_PS6_PKS5_PKS4_21rocsparse_index_base_,"axG",@progbits,_ZN9rocsparseL23sddmm_csx_sample_kernelILi512ELi4EL20rocsparse_direction_1E21rocsparse_complex_numIfEiiS3_EEvT4_S4_T3_PKT5_S4_PS6_PKS5_PKS4_21rocsparse_index_base_,comdat
.Lfunc_end53:
	.size	_ZN9rocsparseL23sddmm_csx_sample_kernelILi512ELi4EL20rocsparse_direction_1E21rocsparse_complex_numIfEiiS3_EEvT4_S4_T3_PKT5_S4_PS6_PKS5_PKS4_21rocsparse_index_base_, .Lfunc_end53-_ZN9rocsparseL23sddmm_csx_sample_kernelILi512ELi4EL20rocsparse_direction_1E21rocsparse_complex_numIfEiiS3_EEvT4_S4_T3_PKT5_S4_PS6_PKS5_PKS4_21rocsparse_index_base_
                                        ; -- End function
	.set _ZN9rocsparseL23sddmm_csx_sample_kernelILi512ELi4EL20rocsparse_direction_1E21rocsparse_complex_numIfEiiS3_EEvT4_S4_T3_PKT5_S4_PS6_PKS5_PKS4_21rocsparse_index_base_.num_vgpr, 10
	.set _ZN9rocsparseL23sddmm_csx_sample_kernelILi512ELi4EL20rocsparse_direction_1E21rocsparse_complex_numIfEiiS3_EEvT4_S4_T3_PKT5_S4_PS6_PKS5_PKS4_21rocsparse_index_base_.num_agpr, 0
	.set _ZN9rocsparseL23sddmm_csx_sample_kernelILi512ELi4EL20rocsparse_direction_1E21rocsparse_complex_numIfEiiS3_EEvT4_S4_T3_PKT5_S4_PS6_PKS5_PKS4_21rocsparse_index_base_.numbered_sgpr, 10
	.set _ZN9rocsparseL23sddmm_csx_sample_kernelILi512ELi4EL20rocsparse_direction_1E21rocsparse_complex_numIfEiiS3_EEvT4_S4_T3_PKT5_S4_PS6_PKS5_PKS4_21rocsparse_index_base_.num_named_barrier, 0
	.set _ZN9rocsparseL23sddmm_csx_sample_kernelILi512ELi4EL20rocsparse_direction_1E21rocsparse_complex_numIfEiiS3_EEvT4_S4_T3_PKT5_S4_PS6_PKS5_PKS4_21rocsparse_index_base_.private_seg_size, 0
	.set _ZN9rocsparseL23sddmm_csx_sample_kernelILi512ELi4EL20rocsparse_direction_1E21rocsparse_complex_numIfEiiS3_EEvT4_S4_T3_PKT5_S4_PS6_PKS5_PKS4_21rocsparse_index_base_.uses_vcc, 1
	.set _ZN9rocsparseL23sddmm_csx_sample_kernelILi512ELi4EL20rocsparse_direction_1E21rocsparse_complex_numIfEiiS3_EEvT4_S4_T3_PKT5_S4_PS6_PKS5_PKS4_21rocsparse_index_base_.uses_flat_scratch, 0
	.set _ZN9rocsparseL23sddmm_csx_sample_kernelILi512ELi4EL20rocsparse_direction_1E21rocsparse_complex_numIfEiiS3_EEvT4_S4_T3_PKT5_S4_PS6_PKS5_PKS4_21rocsparse_index_base_.has_dyn_sized_stack, 0
	.set _ZN9rocsparseL23sddmm_csx_sample_kernelILi512ELi4EL20rocsparse_direction_1E21rocsparse_complex_numIfEiiS3_EEvT4_S4_T3_PKT5_S4_PS6_PKS5_PKS4_21rocsparse_index_base_.has_recursion, 0
	.set _ZN9rocsparseL23sddmm_csx_sample_kernelILi512ELi4EL20rocsparse_direction_1E21rocsparse_complex_numIfEiiS3_EEvT4_S4_T3_PKT5_S4_PS6_PKS5_PKS4_21rocsparse_index_base_.has_indirect_call, 0
	.section	.AMDGPU.csdata,"",@progbits
; Kernel info:
; codeLenInByte = 268
; TotalNumSgprs: 16
; NumVgprs: 10
; NumAgprs: 0
; TotalNumVgprs: 10
; ScratchSize: 0
; MemoryBound: 0
; FloatMode: 240
; IeeeMode: 1
; LDSByteSize: 0 bytes/workgroup (compile time only)
; SGPRBlocks: 1
; VGPRBlocks: 1
; NumSGPRsForWavesPerEU: 16
; NumVGPRsForWavesPerEU: 10
; AccumOffset: 12
; Occupancy: 8
; WaveLimiterHint : 1
; COMPUTE_PGM_RSRC2:SCRATCH_EN: 0
; COMPUTE_PGM_RSRC2:USER_SGPR: 2
; COMPUTE_PGM_RSRC2:TRAP_HANDLER: 0
; COMPUTE_PGM_RSRC2:TGID_X_EN: 1
; COMPUTE_PGM_RSRC2:TGID_Y_EN: 0
; COMPUTE_PGM_RSRC2:TGID_Z_EN: 0
; COMPUTE_PGM_RSRC2:TIDIG_COMP_CNT: 0
; COMPUTE_PGM_RSRC3_GFX90A:ACCUM_OFFSET: 2
; COMPUTE_PGM_RSRC3_GFX90A:TG_SPLIT: 0
	.section	.text._ZN9rocsparseL23sddmm_csx_sample_kernelILi512ELi2EL20rocsparse_direction_1E21rocsparse_complex_numIfEiiS3_EEvT4_S4_T3_PKT5_S4_PS6_PKS5_PKS4_21rocsparse_index_base_,"axG",@progbits,_ZN9rocsparseL23sddmm_csx_sample_kernelILi512ELi2EL20rocsparse_direction_1E21rocsparse_complex_numIfEiiS3_EEvT4_S4_T3_PKT5_S4_PS6_PKS5_PKS4_21rocsparse_index_base_,comdat
	.globl	_ZN9rocsparseL23sddmm_csx_sample_kernelILi512ELi2EL20rocsparse_direction_1E21rocsparse_complex_numIfEiiS3_EEvT4_S4_T3_PKT5_S4_PS6_PKS5_PKS4_21rocsparse_index_base_ ; -- Begin function _ZN9rocsparseL23sddmm_csx_sample_kernelILi512ELi2EL20rocsparse_direction_1E21rocsparse_complex_numIfEiiS3_EEvT4_S4_T3_PKT5_S4_PS6_PKS5_PKS4_21rocsparse_index_base_
	.p2align	8
	.type	_ZN9rocsparseL23sddmm_csx_sample_kernelILi512ELi2EL20rocsparse_direction_1E21rocsparse_complex_numIfEiiS3_EEvT4_S4_T3_PKT5_S4_PS6_PKS5_PKS4_21rocsparse_index_base_,@function
_ZN9rocsparseL23sddmm_csx_sample_kernelILi512ELi2EL20rocsparse_direction_1E21rocsparse_complex_numIfEiiS3_EEvT4_S4_T3_PKT5_S4_PS6_PKS5_PKS4_21rocsparse_index_base_: ; @_ZN9rocsparseL23sddmm_csx_sample_kernelILi512ELi2EL20rocsparse_direction_1E21rocsparse_complex_numIfEiiS3_EEvT4_S4_T3_PKT5_S4_PS6_PKS5_PKS4_21rocsparse_index_base_
; %bb.0:
	s_load_dword s3, s[0:1], 0x4
	v_lshrrev_b32_e32 v1, 1, v0
	v_lshl_or_b32 v2, s2, 8, v1
	s_waitcnt lgkmcnt(0)
	v_cmp_gt_u32_e32 vcc, s3, v2
	s_and_saveexec_b64 s[2:3], vcc
	s_cbranch_execz .LBB54_4
; %bb.1:
	s_load_dwordx2 s[2:3], s[0:1], 0x28
	s_load_dword s4, s[0:1], 0x38
	v_mov_b32_e32 v3, 0
	v_and_b32_e32 v0, 1, v0
	s_waitcnt lgkmcnt(0)
	v_lshl_add_u64 v[4:5], v[2:3], 2, s[2:3]
	global_load_dwordx2 v[4:5], v[4:5], off
	v_subrev_u32_e32 v0, s4, v0
	s_waitcnt vmcnt(0)
	v_add_u32_e32 v0, v0, v4
	v_subrev_u32_e32 v6, s4, v5
	v_cmp_lt_i32_e32 vcc, v0, v6
	s_and_b64 exec, exec, vcc
	s_cbranch_execz .LBB54_4
; %bb.2:
	s_load_dwordx2 s[6:7], s[0:1], 0x30
	s_load_dword s5, s[0:1], 0x18
	s_load_dwordx2 s[8:9], s[0:1], 0x20
	s_load_dwordx2 s[2:3], s[0:1], 0x10
	v_ashrrev_i32_e32 v1, 31, v0
	s_mov_b64 s[0:1], 0
	s_waitcnt lgkmcnt(0)
	v_mul_lo_u32 v2, s5, v2
	v_subrev_u32_e32 v7, s4, v2
	v_lshl_add_u64 v[2:3], v[0:1], 2, s[6:7]
	v_lshl_add_u64 v[4:5], v[0:1], 3, s[8:9]
.LBB54_3:                               ; =>This Inner Loop Header: Depth=1
	global_load_dword v1, v[2:3], off
	v_add_u32_e32 v0, 2, v0
	v_cmp_ge_i32_e32 vcc, v0, v6
	v_lshl_add_u64 v[2:3], v[2:3], 0, 8
	s_or_b64 s[0:1], vcc, s[0:1]
	s_waitcnt vmcnt(0)
	v_add_u32_e32 v8, v7, v1
	v_ashrrev_i32_e32 v9, 31, v8
	v_lshl_add_u64 v[8:9], v[8:9], 3, s[2:3]
	global_load_dwordx2 v[8:9], v[8:9], off
	s_waitcnt vmcnt(0)
	global_store_dwordx2 v[4:5], v[8:9], off
	v_lshl_add_u64 v[4:5], v[4:5], 0, 16
	s_andn2_b64 exec, exec, s[0:1]
	s_cbranch_execnz .LBB54_3
.LBB54_4:
	s_endpgm
	.section	.rodata,"a",@progbits
	.p2align	6, 0x0
	.amdhsa_kernel _ZN9rocsparseL23sddmm_csx_sample_kernelILi512ELi2EL20rocsparse_direction_1E21rocsparse_complex_numIfEiiS3_EEvT4_S4_T3_PKT5_S4_PS6_PKS5_PKS4_21rocsparse_index_base_
		.amdhsa_group_segment_fixed_size 0
		.amdhsa_private_segment_fixed_size 0
		.amdhsa_kernarg_size 60
		.amdhsa_user_sgpr_count 2
		.amdhsa_user_sgpr_dispatch_ptr 0
		.amdhsa_user_sgpr_queue_ptr 0
		.amdhsa_user_sgpr_kernarg_segment_ptr 1
		.amdhsa_user_sgpr_dispatch_id 0
		.amdhsa_user_sgpr_kernarg_preload_length 0
		.amdhsa_user_sgpr_kernarg_preload_offset 0
		.amdhsa_user_sgpr_private_segment_size 0
		.amdhsa_uses_dynamic_stack 0
		.amdhsa_enable_private_segment 0
		.amdhsa_system_sgpr_workgroup_id_x 1
		.amdhsa_system_sgpr_workgroup_id_y 0
		.amdhsa_system_sgpr_workgroup_id_z 0
		.amdhsa_system_sgpr_workgroup_info 0
		.amdhsa_system_vgpr_workitem_id 0
		.amdhsa_next_free_vgpr 10
		.amdhsa_next_free_sgpr 10
		.amdhsa_accum_offset 12
		.amdhsa_reserve_vcc 1
		.amdhsa_float_round_mode_32 0
		.amdhsa_float_round_mode_16_64 0
		.amdhsa_float_denorm_mode_32 3
		.amdhsa_float_denorm_mode_16_64 3
		.amdhsa_dx10_clamp 1
		.amdhsa_ieee_mode 1
		.amdhsa_fp16_overflow 0
		.amdhsa_tg_split 0
		.amdhsa_exception_fp_ieee_invalid_op 0
		.amdhsa_exception_fp_denorm_src 0
		.amdhsa_exception_fp_ieee_div_zero 0
		.amdhsa_exception_fp_ieee_overflow 0
		.amdhsa_exception_fp_ieee_underflow 0
		.amdhsa_exception_fp_ieee_inexact 0
		.amdhsa_exception_int_div_zero 0
	.end_amdhsa_kernel
	.section	.text._ZN9rocsparseL23sddmm_csx_sample_kernelILi512ELi2EL20rocsparse_direction_1E21rocsparse_complex_numIfEiiS3_EEvT4_S4_T3_PKT5_S4_PS6_PKS5_PKS4_21rocsparse_index_base_,"axG",@progbits,_ZN9rocsparseL23sddmm_csx_sample_kernelILi512ELi2EL20rocsparse_direction_1E21rocsparse_complex_numIfEiiS3_EEvT4_S4_T3_PKT5_S4_PS6_PKS5_PKS4_21rocsparse_index_base_,comdat
.Lfunc_end54:
	.size	_ZN9rocsparseL23sddmm_csx_sample_kernelILi512ELi2EL20rocsparse_direction_1E21rocsparse_complex_numIfEiiS3_EEvT4_S4_T3_PKT5_S4_PS6_PKS5_PKS4_21rocsparse_index_base_, .Lfunc_end54-_ZN9rocsparseL23sddmm_csx_sample_kernelILi512ELi2EL20rocsparse_direction_1E21rocsparse_complex_numIfEiiS3_EEvT4_S4_T3_PKT5_S4_PS6_PKS5_PKS4_21rocsparse_index_base_
                                        ; -- End function
	.set _ZN9rocsparseL23sddmm_csx_sample_kernelILi512ELi2EL20rocsparse_direction_1E21rocsparse_complex_numIfEiiS3_EEvT4_S4_T3_PKT5_S4_PS6_PKS5_PKS4_21rocsparse_index_base_.num_vgpr, 10
	.set _ZN9rocsparseL23sddmm_csx_sample_kernelILi512ELi2EL20rocsparse_direction_1E21rocsparse_complex_numIfEiiS3_EEvT4_S4_T3_PKT5_S4_PS6_PKS5_PKS4_21rocsparse_index_base_.num_agpr, 0
	.set _ZN9rocsparseL23sddmm_csx_sample_kernelILi512ELi2EL20rocsparse_direction_1E21rocsparse_complex_numIfEiiS3_EEvT4_S4_T3_PKT5_S4_PS6_PKS5_PKS4_21rocsparse_index_base_.numbered_sgpr, 10
	.set _ZN9rocsparseL23sddmm_csx_sample_kernelILi512ELi2EL20rocsparse_direction_1E21rocsparse_complex_numIfEiiS3_EEvT4_S4_T3_PKT5_S4_PS6_PKS5_PKS4_21rocsparse_index_base_.num_named_barrier, 0
	.set _ZN9rocsparseL23sddmm_csx_sample_kernelILi512ELi2EL20rocsparse_direction_1E21rocsparse_complex_numIfEiiS3_EEvT4_S4_T3_PKT5_S4_PS6_PKS5_PKS4_21rocsparse_index_base_.private_seg_size, 0
	.set _ZN9rocsparseL23sddmm_csx_sample_kernelILi512ELi2EL20rocsparse_direction_1E21rocsparse_complex_numIfEiiS3_EEvT4_S4_T3_PKT5_S4_PS6_PKS5_PKS4_21rocsparse_index_base_.uses_vcc, 1
	.set _ZN9rocsparseL23sddmm_csx_sample_kernelILi512ELi2EL20rocsparse_direction_1E21rocsparse_complex_numIfEiiS3_EEvT4_S4_T3_PKT5_S4_PS6_PKS5_PKS4_21rocsparse_index_base_.uses_flat_scratch, 0
	.set _ZN9rocsparseL23sddmm_csx_sample_kernelILi512ELi2EL20rocsparse_direction_1E21rocsparse_complex_numIfEiiS3_EEvT4_S4_T3_PKT5_S4_PS6_PKS5_PKS4_21rocsparse_index_base_.has_dyn_sized_stack, 0
	.set _ZN9rocsparseL23sddmm_csx_sample_kernelILi512ELi2EL20rocsparse_direction_1E21rocsparse_complex_numIfEiiS3_EEvT4_S4_T3_PKT5_S4_PS6_PKS5_PKS4_21rocsparse_index_base_.has_recursion, 0
	.set _ZN9rocsparseL23sddmm_csx_sample_kernelILi512ELi2EL20rocsparse_direction_1E21rocsparse_complex_numIfEiiS3_EEvT4_S4_T3_PKT5_S4_PS6_PKS5_PKS4_21rocsparse_index_base_.has_indirect_call, 0
	.section	.AMDGPU.csdata,"",@progbits
; Kernel info:
; codeLenInByte = 268
; TotalNumSgprs: 16
; NumVgprs: 10
; NumAgprs: 0
; TotalNumVgprs: 10
; ScratchSize: 0
; MemoryBound: 0
; FloatMode: 240
; IeeeMode: 1
; LDSByteSize: 0 bytes/workgroup (compile time only)
; SGPRBlocks: 1
; VGPRBlocks: 1
; NumSGPRsForWavesPerEU: 16
; NumVGPRsForWavesPerEU: 10
; AccumOffset: 12
; Occupancy: 8
; WaveLimiterHint : 1
; COMPUTE_PGM_RSRC2:SCRATCH_EN: 0
; COMPUTE_PGM_RSRC2:USER_SGPR: 2
; COMPUTE_PGM_RSRC2:TRAP_HANDLER: 0
; COMPUTE_PGM_RSRC2:TGID_X_EN: 1
; COMPUTE_PGM_RSRC2:TGID_Y_EN: 0
; COMPUTE_PGM_RSRC2:TGID_Z_EN: 0
; COMPUTE_PGM_RSRC2:TIDIG_COMP_CNT: 0
; COMPUTE_PGM_RSRC3_GFX90A:ACCUM_OFFSET: 2
; COMPUTE_PGM_RSRC3_GFX90A:TG_SPLIT: 0
	.section	.text._ZN9rocsparseL23sddmm_csx_sample_kernelILi512ELi1EL20rocsparse_direction_1E21rocsparse_complex_numIfEiiS3_EEvT4_S4_T3_PKT5_S4_PS6_PKS5_PKS4_21rocsparse_index_base_,"axG",@progbits,_ZN9rocsparseL23sddmm_csx_sample_kernelILi512ELi1EL20rocsparse_direction_1E21rocsparse_complex_numIfEiiS3_EEvT4_S4_T3_PKT5_S4_PS6_PKS5_PKS4_21rocsparse_index_base_,comdat
	.globl	_ZN9rocsparseL23sddmm_csx_sample_kernelILi512ELi1EL20rocsparse_direction_1E21rocsparse_complex_numIfEiiS3_EEvT4_S4_T3_PKT5_S4_PS6_PKS5_PKS4_21rocsparse_index_base_ ; -- Begin function _ZN9rocsparseL23sddmm_csx_sample_kernelILi512ELi1EL20rocsparse_direction_1E21rocsparse_complex_numIfEiiS3_EEvT4_S4_T3_PKT5_S4_PS6_PKS5_PKS4_21rocsparse_index_base_
	.p2align	8
	.type	_ZN9rocsparseL23sddmm_csx_sample_kernelILi512ELi1EL20rocsparse_direction_1E21rocsparse_complex_numIfEiiS3_EEvT4_S4_T3_PKT5_S4_PS6_PKS5_PKS4_21rocsparse_index_base_,@function
_ZN9rocsparseL23sddmm_csx_sample_kernelILi512ELi1EL20rocsparse_direction_1E21rocsparse_complex_numIfEiiS3_EEvT4_S4_T3_PKT5_S4_PS6_PKS5_PKS4_21rocsparse_index_base_: ; @_ZN9rocsparseL23sddmm_csx_sample_kernelILi512ELi1EL20rocsparse_direction_1E21rocsparse_complex_numIfEiiS3_EEvT4_S4_T3_PKT5_S4_PS6_PKS5_PKS4_21rocsparse_index_base_
; %bb.0:
	s_load_dword s3, s[0:1], 0x4
	v_lshl_or_b32 v2, s2, 9, v0
	s_waitcnt lgkmcnt(0)
	v_cmp_gt_u32_e32 vcc, s3, v2
	s_and_saveexec_b64 s[2:3], vcc
	s_cbranch_execz .LBB55_4
; %bb.1:
	s_load_dwordx2 s[2:3], s[0:1], 0x28
	v_mov_b32_e32 v3, 0
	s_waitcnt lgkmcnt(0)
	v_lshl_add_u64 v[0:1], v[2:3], 2, s[2:3]
	global_load_dwordx2 v[0:1], v[0:1], off
	s_waitcnt vmcnt(0)
	v_cmp_lt_i32_e32 vcc, v0, v1
	s_and_b64 exec, exec, vcc
	s_cbranch_execz .LBB55_4
; %bb.2:
	s_load_dword s8, s[0:1], 0x38
	s_load_dwordx2 s[4:5], s[0:1], 0x30
	s_load_dword s9, s[0:1], 0x18
	s_load_dwordx2 s[6:7], s[0:1], 0x20
	s_load_dwordx2 s[2:3], s[0:1], 0x10
	s_waitcnt lgkmcnt(0)
	v_subrev_u32_e32 v6, s8, v1
	v_subrev_u32_e32 v0, s8, v0
	v_mul_lo_u32 v1, s9, v2
	v_subrev_u32_e32 v7, s8, v1
	v_ashrrev_i32_e32 v1, 31, v0
	v_lshl_add_u64 v[2:3], v[0:1], 2, s[4:5]
	v_lshl_add_u64 v[4:5], v[0:1], 3, s[6:7]
	s_mov_b64 s[0:1], 0
.LBB55_3:                               ; =>This Inner Loop Header: Depth=1
	global_load_dword v1, v[2:3], off
	v_add_u32_e32 v0, 1, v0
	v_cmp_ge_i32_e32 vcc, v0, v6
	v_lshl_add_u64 v[2:3], v[2:3], 0, 4
	s_or_b64 s[0:1], vcc, s[0:1]
	s_waitcnt vmcnt(0)
	v_add_u32_e32 v8, v7, v1
	v_ashrrev_i32_e32 v9, 31, v8
	v_lshl_add_u64 v[8:9], v[8:9], 3, s[2:3]
	global_load_dwordx2 v[8:9], v[8:9], off
	s_waitcnt vmcnt(0)
	global_store_dwordx2 v[4:5], v[8:9], off
	v_lshl_add_u64 v[4:5], v[4:5], 0, 8
	s_andn2_b64 exec, exec, s[0:1]
	s_cbranch_execnz .LBB55_3
.LBB55_4:
	s_endpgm
	.section	.rodata,"a",@progbits
	.p2align	6, 0x0
	.amdhsa_kernel _ZN9rocsparseL23sddmm_csx_sample_kernelILi512ELi1EL20rocsparse_direction_1E21rocsparse_complex_numIfEiiS3_EEvT4_S4_T3_PKT5_S4_PS6_PKS5_PKS4_21rocsparse_index_base_
		.amdhsa_group_segment_fixed_size 0
		.amdhsa_private_segment_fixed_size 0
		.amdhsa_kernarg_size 60
		.amdhsa_user_sgpr_count 2
		.amdhsa_user_sgpr_dispatch_ptr 0
		.amdhsa_user_sgpr_queue_ptr 0
		.amdhsa_user_sgpr_kernarg_segment_ptr 1
		.amdhsa_user_sgpr_dispatch_id 0
		.amdhsa_user_sgpr_kernarg_preload_length 0
		.amdhsa_user_sgpr_kernarg_preload_offset 0
		.amdhsa_user_sgpr_private_segment_size 0
		.amdhsa_uses_dynamic_stack 0
		.amdhsa_enable_private_segment 0
		.amdhsa_system_sgpr_workgroup_id_x 1
		.amdhsa_system_sgpr_workgroup_id_y 0
		.amdhsa_system_sgpr_workgroup_id_z 0
		.amdhsa_system_sgpr_workgroup_info 0
		.amdhsa_system_vgpr_workitem_id 0
		.amdhsa_next_free_vgpr 10
		.amdhsa_next_free_sgpr 10
		.amdhsa_accum_offset 12
		.amdhsa_reserve_vcc 1
		.amdhsa_float_round_mode_32 0
		.amdhsa_float_round_mode_16_64 0
		.amdhsa_float_denorm_mode_32 3
		.amdhsa_float_denorm_mode_16_64 3
		.amdhsa_dx10_clamp 1
		.amdhsa_ieee_mode 1
		.amdhsa_fp16_overflow 0
		.amdhsa_tg_split 0
		.amdhsa_exception_fp_ieee_invalid_op 0
		.amdhsa_exception_fp_denorm_src 0
		.amdhsa_exception_fp_ieee_div_zero 0
		.amdhsa_exception_fp_ieee_overflow 0
		.amdhsa_exception_fp_ieee_underflow 0
		.amdhsa_exception_fp_ieee_inexact 0
		.amdhsa_exception_int_div_zero 0
	.end_amdhsa_kernel
	.section	.text._ZN9rocsparseL23sddmm_csx_sample_kernelILi512ELi1EL20rocsparse_direction_1E21rocsparse_complex_numIfEiiS3_EEvT4_S4_T3_PKT5_S4_PS6_PKS5_PKS4_21rocsparse_index_base_,"axG",@progbits,_ZN9rocsparseL23sddmm_csx_sample_kernelILi512ELi1EL20rocsparse_direction_1E21rocsparse_complex_numIfEiiS3_EEvT4_S4_T3_PKT5_S4_PS6_PKS5_PKS4_21rocsparse_index_base_,comdat
.Lfunc_end55:
	.size	_ZN9rocsparseL23sddmm_csx_sample_kernelILi512ELi1EL20rocsparse_direction_1E21rocsparse_complex_numIfEiiS3_EEvT4_S4_T3_PKT5_S4_PS6_PKS5_PKS4_21rocsparse_index_base_, .Lfunc_end55-_ZN9rocsparseL23sddmm_csx_sample_kernelILi512ELi1EL20rocsparse_direction_1E21rocsparse_complex_numIfEiiS3_EEvT4_S4_T3_PKT5_S4_PS6_PKS5_PKS4_21rocsparse_index_base_
                                        ; -- End function
	.set _ZN9rocsparseL23sddmm_csx_sample_kernelILi512ELi1EL20rocsparse_direction_1E21rocsparse_complex_numIfEiiS3_EEvT4_S4_T3_PKT5_S4_PS6_PKS5_PKS4_21rocsparse_index_base_.num_vgpr, 10
	.set _ZN9rocsparseL23sddmm_csx_sample_kernelILi512ELi1EL20rocsparse_direction_1E21rocsparse_complex_numIfEiiS3_EEvT4_S4_T3_PKT5_S4_PS6_PKS5_PKS4_21rocsparse_index_base_.num_agpr, 0
	.set _ZN9rocsparseL23sddmm_csx_sample_kernelILi512ELi1EL20rocsparse_direction_1E21rocsparse_complex_numIfEiiS3_EEvT4_S4_T3_PKT5_S4_PS6_PKS5_PKS4_21rocsparse_index_base_.numbered_sgpr, 10
	.set _ZN9rocsparseL23sddmm_csx_sample_kernelILi512ELi1EL20rocsparse_direction_1E21rocsparse_complex_numIfEiiS3_EEvT4_S4_T3_PKT5_S4_PS6_PKS5_PKS4_21rocsparse_index_base_.num_named_barrier, 0
	.set _ZN9rocsparseL23sddmm_csx_sample_kernelILi512ELi1EL20rocsparse_direction_1E21rocsparse_complex_numIfEiiS3_EEvT4_S4_T3_PKT5_S4_PS6_PKS5_PKS4_21rocsparse_index_base_.private_seg_size, 0
	.set _ZN9rocsparseL23sddmm_csx_sample_kernelILi512ELi1EL20rocsparse_direction_1E21rocsparse_complex_numIfEiiS3_EEvT4_S4_T3_PKT5_S4_PS6_PKS5_PKS4_21rocsparse_index_base_.uses_vcc, 1
	.set _ZN9rocsparseL23sddmm_csx_sample_kernelILi512ELi1EL20rocsparse_direction_1E21rocsparse_complex_numIfEiiS3_EEvT4_S4_T3_PKT5_S4_PS6_PKS5_PKS4_21rocsparse_index_base_.uses_flat_scratch, 0
	.set _ZN9rocsparseL23sddmm_csx_sample_kernelILi512ELi1EL20rocsparse_direction_1E21rocsparse_complex_numIfEiiS3_EEvT4_S4_T3_PKT5_S4_PS6_PKS5_PKS4_21rocsparse_index_base_.has_dyn_sized_stack, 0
	.set _ZN9rocsparseL23sddmm_csx_sample_kernelILi512ELi1EL20rocsparse_direction_1E21rocsparse_complex_numIfEiiS3_EEvT4_S4_T3_PKT5_S4_PS6_PKS5_PKS4_21rocsparse_index_base_.has_recursion, 0
	.set _ZN9rocsparseL23sddmm_csx_sample_kernelILi512ELi1EL20rocsparse_direction_1E21rocsparse_complex_numIfEiiS3_EEvT4_S4_T3_PKT5_S4_PS6_PKS5_PKS4_21rocsparse_index_base_.has_indirect_call, 0
	.section	.AMDGPU.csdata,"",@progbits
; Kernel info:
; codeLenInByte = 256
; TotalNumSgprs: 16
; NumVgprs: 10
; NumAgprs: 0
; TotalNumVgprs: 10
; ScratchSize: 0
; MemoryBound: 0
; FloatMode: 240
; IeeeMode: 1
; LDSByteSize: 0 bytes/workgroup (compile time only)
; SGPRBlocks: 1
; VGPRBlocks: 1
; NumSGPRsForWavesPerEU: 16
; NumVGPRsForWavesPerEU: 10
; AccumOffset: 12
; Occupancy: 8
; WaveLimiterHint : 1
; COMPUTE_PGM_RSRC2:SCRATCH_EN: 0
; COMPUTE_PGM_RSRC2:USER_SGPR: 2
; COMPUTE_PGM_RSRC2:TRAP_HANDLER: 0
; COMPUTE_PGM_RSRC2:TGID_X_EN: 1
; COMPUTE_PGM_RSRC2:TGID_Y_EN: 0
; COMPUTE_PGM_RSRC2:TGID_Z_EN: 0
; COMPUTE_PGM_RSRC2:TIDIG_COMP_CNT: 0
; COMPUTE_PGM_RSRC3_GFX90A:ACCUM_OFFSET: 2
; COMPUTE_PGM_RSRC3_GFX90A:TG_SPLIT: 0
	.section	.text._ZN9rocsparseL16sddmm_csx_kernelILi512ELi8EL20rocsparse_direction_0E21rocsparse_complex_numIfEiiS3_S3_S3_EEv20rocsparse_operation_S4_16rocsparse_order_S5_T4_S6_S6_T3_NS_24const_host_device_scalarIT2_EEPKT5_lPKT6_lSA_PT7_PKS7_PKS6_21rocsparse_index_base_b,"axG",@progbits,_ZN9rocsparseL16sddmm_csx_kernelILi512ELi8EL20rocsparse_direction_0E21rocsparse_complex_numIfEiiS3_S3_S3_EEv20rocsparse_operation_S4_16rocsparse_order_S5_T4_S6_S6_T3_NS_24const_host_device_scalarIT2_EEPKT5_lPKT6_lSA_PT7_PKS7_PKS6_21rocsparse_index_base_b,comdat
	.globl	_ZN9rocsparseL16sddmm_csx_kernelILi512ELi8EL20rocsparse_direction_0E21rocsparse_complex_numIfEiiS3_S3_S3_EEv20rocsparse_operation_S4_16rocsparse_order_S5_T4_S6_S6_T3_NS_24const_host_device_scalarIT2_EEPKT5_lPKT6_lSA_PT7_PKS7_PKS6_21rocsparse_index_base_b ; -- Begin function _ZN9rocsparseL16sddmm_csx_kernelILi512ELi8EL20rocsparse_direction_0E21rocsparse_complex_numIfEiiS3_S3_S3_EEv20rocsparse_operation_S4_16rocsparse_order_S5_T4_S6_S6_T3_NS_24const_host_device_scalarIT2_EEPKT5_lPKT6_lSA_PT7_PKS7_PKS6_21rocsparse_index_base_b
	.p2align	8
	.type	_ZN9rocsparseL16sddmm_csx_kernelILi512ELi8EL20rocsparse_direction_0E21rocsparse_complex_numIfEiiS3_S3_S3_EEv20rocsparse_operation_S4_16rocsparse_order_S5_T4_S6_S6_T3_NS_24const_host_device_scalarIT2_EEPKT5_lPKT6_lSA_PT7_PKS7_PKS6_21rocsparse_index_base_b,@function
_ZN9rocsparseL16sddmm_csx_kernelILi512ELi8EL20rocsparse_direction_0E21rocsparse_complex_numIfEiiS3_S3_S3_EEv20rocsparse_operation_S4_16rocsparse_order_S5_T4_S6_S6_T3_NS_24const_host_device_scalarIT2_EEPKT5_lPKT6_lSA_PT7_PKS7_PKS6_21rocsparse_index_base_b: ; @_ZN9rocsparseL16sddmm_csx_kernelILi512ELi8EL20rocsparse_direction_0E21rocsparse_complex_numIfEiiS3_S3_S3_EEv20rocsparse_operation_S4_16rocsparse_order_S5_T4_S6_S6_T3_NS_24const_host_device_scalarIT2_EEPKT5_lPKT6_lSA_PT7_PKS7_PKS6_21rocsparse_index_base_b
; %bb.0:
	s_load_dwordx2 s[4:5], s[0:1], 0x20
	s_load_dwordx4 s[12:15], s[0:1], 0x40
	s_load_dwordx2 s[16:17], s[0:1], 0x68
	s_add_u32 s3, s0, 32
	s_addc_u32 s6, s1, 0
	s_add_u32 s7, s0, 0x48
	s_addc_u32 s8, s1, 0
	s_waitcnt lgkmcnt(0)
	s_bitcmp1_b32 s17, 0
	s_cselect_b32 s5, s6, s5
	s_cselect_b32 s3, s3, s4
	v_mov_b32_e32 v2, s3
	v_mov_b32_e32 v3, s5
	flat_load_dwordx2 v[2:3], v[2:3]
	s_cselect_b32 s3, s8, s15
	s_cselect_b32 s4, s7, s14
	v_mov_b32_e32 v4, s4
	v_mov_b32_e32 v5, s3
	flat_load_dwordx2 v[4:5], v[4:5]
	s_brev_b32 s3, -2
	s_mov_b64 s[4:5], -1
	s_waitcnt vmcnt(0) lgkmcnt(0)
	v_bitop3_b32 v1, v2, s3, v3 bitop3:0xc8
	v_cmp_eq_u32_e32 vcc, 0, v1
	s_and_saveexec_b64 s[6:7], vcc
; %bb.1:
	v_cmp_neq_f32_e32 vcc, 1.0, v4
	v_cmp_neq_f32_e64 s[4:5], 0, v5
	s_or_b64 s[4:5], vcc, s[4:5]
	s_orn2_b64 s[4:5], s[4:5], exec
; %bb.2:
	s_or_b64 exec, exec, s[6:7]
	s_and_saveexec_b64 s[6:7], s[4:5]
	s_cbranch_execz .LBB56_34
; %bb.3:
	s_load_dword s3, s[0:1], 0x10
	v_lshrrev_b32_e32 v1, 3, v0
	v_lshl_or_b32 v6, s2, 6, v1
	s_waitcnt lgkmcnt(0)
	v_cmp_gt_i32_e32 vcc, s3, v6
	s_and_b64 exec, exec, vcc
	s_cbranch_execz .LBB56_34
; %bb.4:
	s_load_dwordx4 s[4:7], s[0:1], 0x0
	s_load_dwordx2 s[14:15], s[0:1], 0x58
	s_load_dwordx2 s[2:3], s[0:1], 0x30
	v_ashrrev_i32_e32 v7, 31, v6
	s_waitcnt lgkmcnt(0)
	s_cmp_eq_u32 s6, 1
	s_cselect_b64 s[8:9], -1, 0
	s_cmpk_eq_i32 s4, 0x6f
	s_cselect_b64 s[10:11], -1, 0
	s_cmpk_lg_i32 s4, 0x6f
	s_cselect_b64 s[18:19], -1, 0
	s_cmp_lg_u32 s6, 1
	s_cbranch_scc0 .LBB56_8
; %bb.5:
	s_andn2_b64 vcc, exec, s[10:11]
	v_mov_b64_e32 v[10:11], v[6:7]
	s_cbranch_vccnz .LBB56_7
; %bb.6:
	v_mul_lo_u32 v8, s3, v6
	v_mul_lo_u32 v9, s2, v7
	v_mad_u64_u32 v[10:11], s[20:21], s2, v6, 0
	v_add3_u32 v11, v11, v9, v8
.LBB56_7:
	s_cbranch_execz .LBB56_9
	s_branch .LBB56_11
.LBB56_8:
                                        ; implicit-def: $vgpr10_vgpr11
.LBB56_9:
	s_andn2_b64 vcc, exec, s[18:19]
	v_mov_b64_e32 v[10:11], v[6:7]
	s_cbranch_vccnz .LBB56_11
; %bb.10:
	v_mul_lo_u32 v8, s3, v6
	v_mul_lo_u32 v9, s2, v7
	v_mad_u64_u32 v[10:11], s[18:19], s2, v6, 0
	v_add3_u32 v11, v11, v9, v8
.LBB56_11:
	v_lshl_add_u64 v[6:7], v[6:7], 2, s[14:15]
	global_load_dwordx2 v[12:13], v[6:7], off
	s_waitcnt vmcnt(0)
	v_cmp_lt_i32_e32 vcc, v12, v13
	s_and_b64 exec, exec, vcc
	s_cbranch_execz .LBB56_34
; %bb.12:
	s_xor_b64 s[8:9], s[10:11], s[8:9]
	s_and_b64 s[8:9], s[8:9], exec
	s_cselect_b32 s9, 0, s3
	s_cselect_b32 s8, 1, s2
	s_cmp_lg_u32 s7, 1
	s_cselect_b64 s[18:19], -1, 0
	s_cmp_eq_u32 s7, 1
	v_and_b32_e32 v20, 7, v0
	s_cselect_b64 s[2:3], -1, 0
	s_cmpk_eq_i32 s5, 0x6f
	v_subrev_u32_e32 v0, s16, v12
	v_subrev_u32_e32 v23, s16, v13
	v_mad_u64_u32 v[12:13], s[28:29], s8, v20, 0
	s_cselect_b64 s[6:7], -1, 0
	s_cmpk_lg_i32 s5, 0x6f
	s_load_dwordx2 s[24:25], s[0:1], 0x38
	s_load_dwordx2 s[20:21], s[0:1], 0x50
	;; [unrolled: 1-line block ×3, first 2 shown]
	s_load_dword s17, s[0:1], 0x18
	v_mov_b32_e32 v14, v13
	s_cselect_b64 s[10:11], -1, 0
	s_xor_b64 s[2:3], s[6:7], s[2:3]
	v_mad_u64_u32 v[14:15], s[28:29], s9, v20, v[14:15]
	s_and_b64 s[2:3], s[2:3], exec
	v_mov_b32_e32 v13, v14
	v_lshlrev_b64 v[10:11], 3, v[10:11]
	s_cselect_b32 s26, s12, 1
	v_lshl_add_u64 v[10:11], v[12:13], 3, v[10:11]
	s_cselect_b32 s27, s13, 0
	s_waitcnt lgkmcnt(0)
	v_lshl_add_u64 v[10:11], s[22:23], 0, v[10:11]
	s_lshl_b64 s[22:23], s[8:9], 6
	v_mad_u64_u32 v[12:13], s[8:9], s26, v20, 0
	s_load_dwordx2 s[14:15], s[0:1], 0x60
	v_mov_b32_e32 v14, v13
	v_mad_u64_u32 v[14:15], s[8:9], s27, v20, v[14:15]
	v_mov_b32_e32 v13, v14
	v_cndmask_b32_e64 v16, 0, 1, s[6:7]
	v_lshlrev_b32_e32 v21, 6, v1
	v_lshl_add_u64 v[12:13], v[12:13], 3, s[24:25]
	v_cndmask_b32_e64 v1, 0, 1, s[10:11]
	v_cmp_gt_i32_e64 s[0:1], s17, v20
	v_lshl_or_b32 v22, v20, 3, v21
	v_cmp_eq_u32_e64 s[2:3], 0, v20
	v_xor_b32_e32 v6, 0x80000000, v3
	v_cmp_gt_u32_e64 s[4:5], 4, v20
	v_cmp_gt_u32_e64 s[6:7], 2, v20
	v_mov_b32_e32 v7, v2
	v_mov_b32_e32 v8, v4
	;; [unrolled: 1-line block ×4, first 2 shown]
	v_lshl_add_u64 v[12:13], v[12:13], 0, 4
	s_lshl_b64 s[24:25], s[26:27], 6
	s_mov_b64 s[26:27], 0
	v_cmp_ne_u32_e64 s[8:9], 1, v1
	v_cmp_ne_u32_e64 s[10:11], 1, v16
	s_branch .LBB56_14
.LBB56_13:                              ;   in Loop: Header=BB56_14 Depth=1
	s_or_b64 exec, exec, s[28:29]
	v_add_u32_e32 v0, 1, v0
	v_cmp_ge_i32_e32 vcc, v0, v23
	s_or_b64 s[26:27], vcc, s[26:27]
	s_andn2_b64 exec, exec, s[26:27]
	s_cbranch_execz .LBB56_34
.LBB56_14:                              ; =>This Loop Header: Depth=1
                                        ;     Child Loop BB56_24 Depth 2
	v_ashrrev_i32_e32 v1, 31, v0
	s_waitcnt lgkmcnt(0)
	v_lshl_add_u64 v[14:15], v[0:1], 2, s[14:15]
	global_load_dword v14, v[14:15], off
	s_mov_b64 s[28:29], -1
	s_and_b64 vcc, exec, s[18:19]
                                        ; implicit-def: $vgpr16_vgpr17
	s_waitcnt vmcnt(0)
	v_subrev_u32_e32 v14, s16, v14
	v_ashrrev_i32_e32 v15, 31, v14
	s_cbranch_vccnz .LBB56_17
; %bb.15:                               ;   in Loop: Header=BB56_14 Depth=1
	s_andn2_b64 vcc, exec, s[28:29]
	s_cbranch_vccz .LBB56_20
.LBB56_16:                              ;   in Loop: Header=BB56_14 Depth=1
	v_mov_b32_e32 v15, 0
	v_mov_b32_e32 v14, v15
	s_and_saveexec_b64 s[28:29], s[0:1]
	s_cbranch_execnz .LBB56_23
	s_branch .LBB56_26
.LBB56_17:                              ;   in Loop: Header=BB56_14 Depth=1
	s_and_b64 vcc, exec, s[8:9]
	v_mov_b64_e32 v[16:17], v[14:15]
	s_cbranch_vccnz .LBB56_19
; %bb.18:                               ;   in Loop: Header=BB56_14 Depth=1
	v_mul_lo_u32 v18, s13, v14
	v_mul_lo_u32 v19, s12, v15
	v_mad_u64_u32 v[16:17], s[28:29], s12, v14, 0
	v_add3_u32 v17, v17, v19, v18
.LBB56_19:                              ;   in Loop: Header=BB56_14 Depth=1
	s_cbranch_execnz .LBB56_16
.LBB56_20:                              ;   in Loop: Header=BB56_14 Depth=1
	s_and_b64 vcc, exec, s[10:11]
	s_cbranch_vccnz .LBB56_22
; %bb.21:                               ;   in Loop: Header=BB56_14 Depth=1
	v_mul_lo_u32 v16, s13, v14
	v_mul_lo_u32 v17, s12, v15
	v_mad_u64_u32 v[14:15], s[28:29], s12, v14, 0
	v_add3_u32 v15, v15, v17, v16
.LBB56_22:                              ;   in Loop: Header=BB56_14 Depth=1
	v_mov_b64_e32 v[16:17], v[14:15]
	v_mov_b32_e32 v15, 0
	v_mov_b32_e32 v14, v15
	s_and_saveexec_b64 s[28:29], s[0:1]
	s_cbranch_execz .LBB56_26
.LBB56_23:                              ;   in Loop: Header=BB56_14 Depth=1
	v_mov_b32_e32 v14, 0
	v_lshl_add_u64 v[16:17], v[16:17], 3, v[12:13]
	s_mov_b64 s[30:31], 0
	v_mov_b64_e32 v[18:19], v[10:11]
	v_mov_b32_e32 v24, v20
	v_mov_b32_e32 v15, v14
.LBB56_24:                              ;   Parent Loop BB56_14 Depth=1
                                        ; =>  This Inner Loop Header: Depth=2
	global_load_dwordx2 v[26:27], v[18:19], off
	global_load_dwordx2 v[28:29], v[16:17], off offset:-4
	v_add_u32_e32 v24, 8, v24
	v_cmp_le_i32_e32 vcc, s17, v24
	v_lshl_add_u64 v[18:19], v[18:19], 0, s[22:23]
	v_lshl_add_u64 v[16:17], v[16:17], 0, s[24:25]
	s_or_b64 s[30:31], vcc, s[30:31]
	s_waitcnt vmcnt(1)
	v_xor_b32_e32 v30, 0x80000000, v27
	v_mov_b32_e32 v31, v26
	s_waitcnt vmcnt(0)
	v_pk_mul_f32 v[30:31], v[28:29], v[30:31] op_sel:[1,0]
	s_nop 0
	v_pk_fma_f32 v[26:27], v[26:27], v[28:29], v[30:31] op_sel_hi:[1,0,1]
	s_nop 0
	v_pk_add_f32 v[14:15], v[14:15], v[26:27]
	s_andn2_b64 exec, exec, s[30:31]
	s_cbranch_execnz .LBB56_24
; %bb.25:                               ;   in Loop: Header=BB56_14 Depth=1
	s_or_b64 exec, exec, s[30:31]
.LBB56_26:                              ;   in Loop: Header=BB56_14 Depth=1
	s_or_b64 exec, exec, s[28:29]
	ds_write_b64 v22, v[14:15]
	s_waitcnt lgkmcnt(0)
	s_barrier
	s_and_saveexec_b64 s[28:29], s[4:5]
	s_cbranch_execz .LBB56_28
; %bb.27:                               ;   in Loop: Header=BB56_14 Depth=1
	ds_read2_b64 v[14:17], v22 offset1:4
	s_waitcnt lgkmcnt(0)
	v_pk_add_f32 v[14:15], v[16:17], v[14:15]
	ds_write_b64 v22, v[14:15]
.LBB56_28:                              ;   in Loop: Header=BB56_14 Depth=1
	s_or_b64 exec, exec, s[28:29]
	s_waitcnt lgkmcnt(0)
	s_barrier
	s_and_saveexec_b64 s[28:29], s[6:7]
	s_cbranch_execz .LBB56_30
; %bb.29:                               ;   in Loop: Header=BB56_14 Depth=1
	ds_read2_b64 v[14:17], v22 offset1:2
	s_waitcnt lgkmcnt(0)
	v_pk_add_f32 v[14:15], v[16:17], v[14:15]
	ds_write_b64 v22, v[14:15]
.LBB56_30:                              ;   in Loop: Header=BB56_14 Depth=1
	s_or_b64 exec, exec, s[28:29]
	;; [unrolled: 11-line block ×3, first 2 shown]
	s_waitcnt lgkmcnt(0)
	s_barrier
	s_and_saveexec_b64 s[28:29], s[2:3]
	s_cbranch_execz .LBB56_13
; %bb.33:                               ;   in Loop: Header=BB56_14 Depth=1
	v_lshl_add_u64 v[14:15], v[0:1], 3, s[20:21]
	global_load_dwordx2 v[16:17], v[14:15], off
	ds_read_b64 v[18:19], v21
	s_waitcnt lgkmcnt(0)
	v_pk_mul_f32 v[24:25], v[18:19], v[6:7] op_sel:[1,0]
	s_nop 0
	v_pk_fma_f32 v[18:19], v[2:3], v[18:19], v[24:25] op_sel_hi:[1,0,1]
	s_waitcnt vmcnt(0)
	v_pk_mul_f32 v[26:27], v[4:5], v[16:17] op_sel:[0,1] op_sel_hi:[1,0] neg_lo:[0,1]
	s_nop 0
	v_pk_fma_f32 v[16:17], v[16:17], v[8:9], v[26:27]
	s_nop 0
	v_pk_add_f32 v[16:17], v[18:19], v[16:17]
	global_store_dwordx2 v[14:15], v[16:17], off
	s_branch .LBB56_13
.LBB56_34:
	s_endpgm
	.section	.rodata,"a",@progbits
	.p2align	6, 0x0
	.amdhsa_kernel _ZN9rocsparseL16sddmm_csx_kernelILi512ELi8EL20rocsparse_direction_0E21rocsparse_complex_numIfEiiS3_S3_S3_EEv20rocsparse_operation_S4_16rocsparse_order_S5_T4_S6_S6_T3_NS_24const_host_device_scalarIT2_EEPKT5_lPKT6_lSA_PT7_PKS7_PKS6_21rocsparse_index_base_b
		.amdhsa_group_segment_fixed_size 4096
		.amdhsa_private_segment_fixed_size 0
		.amdhsa_kernarg_size 112
		.amdhsa_user_sgpr_count 2
		.amdhsa_user_sgpr_dispatch_ptr 0
		.amdhsa_user_sgpr_queue_ptr 0
		.amdhsa_user_sgpr_kernarg_segment_ptr 1
		.amdhsa_user_sgpr_dispatch_id 0
		.amdhsa_user_sgpr_kernarg_preload_length 0
		.amdhsa_user_sgpr_kernarg_preload_offset 0
		.amdhsa_user_sgpr_private_segment_size 0
		.amdhsa_uses_dynamic_stack 0
		.amdhsa_enable_private_segment 0
		.amdhsa_system_sgpr_workgroup_id_x 1
		.amdhsa_system_sgpr_workgroup_id_y 0
		.amdhsa_system_sgpr_workgroup_id_z 0
		.amdhsa_system_sgpr_workgroup_info 0
		.amdhsa_system_vgpr_workitem_id 0
		.amdhsa_next_free_vgpr 32
		.amdhsa_next_free_sgpr 32
		.amdhsa_accum_offset 32
		.amdhsa_reserve_vcc 1
		.amdhsa_float_round_mode_32 0
		.amdhsa_float_round_mode_16_64 0
		.amdhsa_float_denorm_mode_32 3
		.amdhsa_float_denorm_mode_16_64 3
		.amdhsa_dx10_clamp 1
		.amdhsa_ieee_mode 1
		.amdhsa_fp16_overflow 0
		.amdhsa_tg_split 0
		.amdhsa_exception_fp_ieee_invalid_op 0
		.amdhsa_exception_fp_denorm_src 0
		.amdhsa_exception_fp_ieee_div_zero 0
		.amdhsa_exception_fp_ieee_overflow 0
		.amdhsa_exception_fp_ieee_underflow 0
		.amdhsa_exception_fp_ieee_inexact 0
		.amdhsa_exception_int_div_zero 0
	.end_amdhsa_kernel
	.section	.text._ZN9rocsparseL16sddmm_csx_kernelILi512ELi8EL20rocsparse_direction_0E21rocsparse_complex_numIfEiiS3_S3_S3_EEv20rocsparse_operation_S4_16rocsparse_order_S5_T4_S6_S6_T3_NS_24const_host_device_scalarIT2_EEPKT5_lPKT6_lSA_PT7_PKS7_PKS6_21rocsparse_index_base_b,"axG",@progbits,_ZN9rocsparseL16sddmm_csx_kernelILi512ELi8EL20rocsparse_direction_0E21rocsparse_complex_numIfEiiS3_S3_S3_EEv20rocsparse_operation_S4_16rocsparse_order_S5_T4_S6_S6_T3_NS_24const_host_device_scalarIT2_EEPKT5_lPKT6_lSA_PT7_PKS7_PKS6_21rocsparse_index_base_b,comdat
.Lfunc_end56:
	.size	_ZN9rocsparseL16sddmm_csx_kernelILi512ELi8EL20rocsparse_direction_0E21rocsparse_complex_numIfEiiS3_S3_S3_EEv20rocsparse_operation_S4_16rocsparse_order_S5_T4_S6_S6_T3_NS_24const_host_device_scalarIT2_EEPKT5_lPKT6_lSA_PT7_PKS7_PKS6_21rocsparse_index_base_b, .Lfunc_end56-_ZN9rocsparseL16sddmm_csx_kernelILi512ELi8EL20rocsparse_direction_0E21rocsparse_complex_numIfEiiS3_S3_S3_EEv20rocsparse_operation_S4_16rocsparse_order_S5_T4_S6_S6_T3_NS_24const_host_device_scalarIT2_EEPKT5_lPKT6_lSA_PT7_PKS7_PKS6_21rocsparse_index_base_b
                                        ; -- End function
	.set _ZN9rocsparseL16sddmm_csx_kernelILi512ELi8EL20rocsparse_direction_0E21rocsparse_complex_numIfEiiS3_S3_S3_EEv20rocsparse_operation_S4_16rocsparse_order_S5_T4_S6_S6_T3_NS_24const_host_device_scalarIT2_EEPKT5_lPKT6_lSA_PT7_PKS7_PKS6_21rocsparse_index_base_b.num_vgpr, 32
	.set _ZN9rocsparseL16sddmm_csx_kernelILi512ELi8EL20rocsparse_direction_0E21rocsparse_complex_numIfEiiS3_S3_S3_EEv20rocsparse_operation_S4_16rocsparse_order_S5_T4_S6_S6_T3_NS_24const_host_device_scalarIT2_EEPKT5_lPKT6_lSA_PT7_PKS7_PKS6_21rocsparse_index_base_b.num_agpr, 0
	.set _ZN9rocsparseL16sddmm_csx_kernelILi512ELi8EL20rocsparse_direction_0E21rocsparse_complex_numIfEiiS3_S3_S3_EEv20rocsparse_operation_S4_16rocsparse_order_S5_T4_S6_S6_T3_NS_24const_host_device_scalarIT2_EEPKT5_lPKT6_lSA_PT7_PKS7_PKS6_21rocsparse_index_base_b.numbered_sgpr, 32
	.set _ZN9rocsparseL16sddmm_csx_kernelILi512ELi8EL20rocsparse_direction_0E21rocsparse_complex_numIfEiiS3_S3_S3_EEv20rocsparse_operation_S4_16rocsparse_order_S5_T4_S6_S6_T3_NS_24const_host_device_scalarIT2_EEPKT5_lPKT6_lSA_PT7_PKS7_PKS6_21rocsparse_index_base_b.num_named_barrier, 0
	.set _ZN9rocsparseL16sddmm_csx_kernelILi512ELi8EL20rocsparse_direction_0E21rocsparse_complex_numIfEiiS3_S3_S3_EEv20rocsparse_operation_S4_16rocsparse_order_S5_T4_S6_S6_T3_NS_24const_host_device_scalarIT2_EEPKT5_lPKT6_lSA_PT7_PKS7_PKS6_21rocsparse_index_base_b.private_seg_size, 0
	.set _ZN9rocsparseL16sddmm_csx_kernelILi512ELi8EL20rocsparse_direction_0E21rocsparse_complex_numIfEiiS3_S3_S3_EEv20rocsparse_operation_S4_16rocsparse_order_S5_T4_S6_S6_T3_NS_24const_host_device_scalarIT2_EEPKT5_lPKT6_lSA_PT7_PKS7_PKS6_21rocsparse_index_base_b.uses_vcc, 1
	.set _ZN9rocsparseL16sddmm_csx_kernelILi512ELi8EL20rocsparse_direction_0E21rocsparse_complex_numIfEiiS3_S3_S3_EEv20rocsparse_operation_S4_16rocsparse_order_S5_T4_S6_S6_T3_NS_24const_host_device_scalarIT2_EEPKT5_lPKT6_lSA_PT7_PKS7_PKS6_21rocsparse_index_base_b.uses_flat_scratch, 0
	.set _ZN9rocsparseL16sddmm_csx_kernelILi512ELi8EL20rocsparse_direction_0E21rocsparse_complex_numIfEiiS3_S3_S3_EEv20rocsparse_operation_S4_16rocsparse_order_S5_T4_S6_S6_T3_NS_24const_host_device_scalarIT2_EEPKT5_lPKT6_lSA_PT7_PKS7_PKS6_21rocsparse_index_base_b.has_dyn_sized_stack, 0
	.set _ZN9rocsparseL16sddmm_csx_kernelILi512ELi8EL20rocsparse_direction_0E21rocsparse_complex_numIfEiiS3_S3_S3_EEv20rocsparse_operation_S4_16rocsparse_order_S5_T4_S6_S6_T3_NS_24const_host_device_scalarIT2_EEPKT5_lPKT6_lSA_PT7_PKS7_PKS6_21rocsparse_index_base_b.has_recursion, 0
	.set _ZN9rocsparseL16sddmm_csx_kernelILi512ELi8EL20rocsparse_direction_0E21rocsparse_complex_numIfEiiS3_S3_S3_EEv20rocsparse_operation_S4_16rocsparse_order_S5_T4_S6_S6_T3_NS_24const_host_device_scalarIT2_EEPKT5_lPKT6_lSA_PT7_PKS7_PKS6_21rocsparse_index_base_b.has_indirect_call, 0
	.section	.AMDGPU.csdata,"",@progbits
; Kernel info:
; codeLenInByte = 1328
; TotalNumSgprs: 38
; NumVgprs: 32
; NumAgprs: 0
; TotalNumVgprs: 32
; ScratchSize: 0
; MemoryBound: 0
; FloatMode: 240
; IeeeMode: 1
; LDSByteSize: 4096 bytes/workgroup (compile time only)
; SGPRBlocks: 4
; VGPRBlocks: 3
; NumSGPRsForWavesPerEU: 38
; NumVGPRsForWavesPerEU: 32
; AccumOffset: 32
; Occupancy: 8
; WaveLimiterHint : 0
; COMPUTE_PGM_RSRC2:SCRATCH_EN: 0
; COMPUTE_PGM_RSRC2:USER_SGPR: 2
; COMPUTE_PGM_RSRC2:TRAP_HANDLER: 0
; COMPUTE_PGM_RSRC2:TGID_X_EN: 1
; COMPUTE_PGM_RSRC2:TGID_Y_EN: 0
; COMPUTE_PGM_RSRC2:TGID_Z_EN: 0
; COMPUTE_PGM_RSRC2:TIDIG_COMP_CNT: 0
; COMPUTE_PGM_RSRC3_GFX90A:ACCUM_OFFSET: 7
; COMPUTE_PGM_RSRC3_GFX90A:TG_SPLIT: 0
	.section	.text._ZN9rocsparseL16sddmm_csx_kernelILi512ELi4EL20rocsparse_direction_0E21rocsparse_complex_numIfEiiS3_S3_S3_EEv20rocsparse_operation_S4_16rocsparse_order_S5_T4_S6_S6_T3_NS_24const_host_device_scalarIT2_EEPKT5_lPKT6_lSA_PT7_PKS7_PKS6_21rocsparse_index_base_b,"axG",@progbits,_ZN9rocsparseL16sddmm_csx_kernelILi512ELi4EL20rocsparse_direction_0E21rocsparse_complex_numIfEiiS3_S3_S3_EEv20rocsparse_operation_S4_16rocsparse_order_S5_T4_S6_S6_T3_NS_24const_host_device_scalarIT2_EEPKT5_lPKT6_lSA_PT7_PKS7_PKS6_21rocsparse_index_base_b,comdat
	.globl	_ZN9rocsparseL16sddmm_csx_kernelILi512ELi4EL20rocsparse_direction_0E21rocsparse_complex_numIfEiiS3_S3_S3_EEv20rocsparse_operation_S4_16rocsparse_order_S5_T4_S6_S6_T3_NS_24const_host_device_scalarIT2_EEPKT5_lPKT6_lSA_PT7_PKS7_PKS6_21rocsparse_index_base_b ; -- Begin function _ZN9rocsparseL16sddmm_csx_kernelILi512ELi4EL20rocsparse_direction_0E21rocsparse_complex_numIfEiiS3_S3_S3_EEv20rocsparse_operation_S4_16rocsparse_order_S5_T4_S6_S6_T3_NS_24const_host_device_scalarIT2_EEPKT5_lPKT6_lSA_PT7_PKS7_PKS6_21rocsparse_index_base_b
	.p2align	8
	.type	_ZN9rocsparseL16sddmm_csx_kernelILi512ELi4EL20rocsparse_direction_0E21rocsparse_complex_numIfEiiS3_S3_S3_EEv20rocsparse_operation_S4_16rocsparse_order_S5_T4_S6_S6_T3_NS_24const_host_device_scalarIT2_EEPKT5_lPKT6_lSA_PT7_PKS7_PKS6_21rocsparse_index_base_b,@function
_ZN9rocsparseL16sddmm_csx_kernelILi512ELi4EL20rocsparse_direction_0E21rocsparse_complex_numIfEiiS3_S3_S3_EEv20rocsparse_operation_S4_16rocsparse_order_S5_T4_S6_S6_T3_NS_24const_host_device_scalarIT2_EEPKT5_lPKT6_lSA_PT7_PKS7_PKS6_21rocsparse_index_base_b: ; @_ZN9rocsparseL16sddmm_csx_kernelILi512ELi4EL20rocsparse_direction_0E21rocsparse_complex_numIfEiiS3_S3_S3_EEv20rocsparse_operation_S4_16rocsparse_order_S5_T4_S6_S6_T3_NS_24const_host_device_scalarIT2_EEPKT5_lPKT6_lSA_PT7_PKS7_PKS6_21rocsparse_index_base_b
; %bb.0:
	s_load_dwordx2 s[4:5], s[0:1], 0x20
	s_load_dwordx4 s[12:15], s[0:1], 0x40
	s_load_dwordx2 s[10:11], s[0:1], 0x68
	s_add_u32 s3, s0, 32
	s_addc_u32 s6, s1, 0
	s_add_u32 s7, s0, 0x48
	s_addc_u32 s8, s1, 0
	s_waitcnt lgkmcnt(0)
	s_bitcmp1_b32 s11, 0
	s_cselect_b32 s5, s6, s5
	s_cselect_b32 s3, s3, s4
	v_mov_b32_e32 v2, s3
	v_mov_b32_e32 v3, s5
	flat_load_dwordx2 v[2:3], v[2:3]
	s_cselect_b32 s3, s8, s15
	s_cselect_b32 s4, s7, s14
	v_mov_b32_e32 v4, s4
	v_mov_b32_e32 v5, s3
	flat_load_dwordx2 v[4:5], v[4:5]
	s_brev_b32 s3, -2
	s_mov_b64 s[4:5], -1
	s_waitcnt vmcnt(0) lgkmcnt(0)
	v_bitop3_b32 v1, v2, s3, v3 bitop3:0xc8
	v_cmp_eq_u32_e32 vcc, 0, v1
	s_and_saveexec_b64 s[6:7], vcc
; %bb.1:
	v_cmp_neq_f32_e32 vcc, 1.0, v4
	v_cmp_neq_f32_e64 s[4:5], 0, v5
	s_or_b64 s[4:5], vcc, s[4:5]
	s_orn2_b64 s[4:5], s[4:5], exec
; %bb.2:
	s_or_b64 exec, exec, s[6:7]
	s_and_saveexec_b64 s[6:7], s[4:5]
	s_cbranch_execz .LBB57_32
; %bb.3:
	s_load_dword s3, s[0:1], 0x10
	v_lshrrev_b32_e32 v1, 2, v0
	v_lshl_or_b32 v6, s2, 7, v1
	s_waitcnt lgkmcnt(0)
	v_cmp_gt_i32_e32 vcc, s3, v6
	s_and_b64 exec, exec, vcc
	s_cbranch_execz .LBB57_32
; %bb.4:
	s_load_dwordx4 s[4:7], s[0:1], 0x0
	s_load_dwordx2 s[14:15], s[0:1], 0x58
	s_load_dwordx2 s[2:3], s[0:1], 0x30
	v_ashrrev_i32_e32 v7, 31, v6
	s_waitcnt lgkmcnt(0)
	s_cmp_eq_u32 s6, 1
	s_cselect_b64 s[8:9], -1, 0
	s_cmpk_eq_i32 s4, 0x6f
	s_cselect_b64 s[16:17], -1, 0
	s_cmpk_lg_i32 s4, 0x6f
	s_cselect_b64 s[18:19], -1, 0
	s_cmp_lg_u32 s6, 1
	s_cbranch_scc0 .LBB57_8
; %bb.5:
	s_andn2_b64 vcc, exec, s[16:17]
	v_mov_b64_e32 v[10:11], v[6:7]
	s_cbranch_vccnz .LBB57_7
; %bb.6:
	v_mul_lo_u32 v8, s3, v6
	v_mul_lo_u32 v9, s2, v7
	v_mad_u64_u32 v[10:11], s[20:21], s2, v6, 0
	v_add3_u32 v11, v11, v9, v8
.LBB57_7:
	s_cbranch_execz .LBB57_9
	s_branch .LBB57_11
.LBB57_8:
                                        ; implicit-def: $vgpr10_vgpr11
.LBB57_9:
	s_andn2_b64 vcc, exec, s[18:19]
	v_mov_b64_e32 v[10:11], v[6:7]
	s_cbranch_vccnz .LBB57_11
; %bb.10:
	v_mul_lo_u32 v8, s3, v6
	v_mul_lo_u32 v9, s2, v7
	v_mad_u64_u32 v[10:11], s[18:19], s2, v6, 0
	v_add3_u32 v11, v11, v9, v8
.LBB57_11:
	v_lshl_add_u64 v[6:7], v[6:7], 2, s[14:15]
	global_load_dwordx2 v[12:13], v[6:7], off
	s_waitcnt vmcnt(0)
	v_cmp_lt_i32_e32 vcc, v12, v13
	s_and_b64 exec, exec, vcc
	s_cbranch_execz .LBB57_32
; %bb.12:
	s_xor_b64 s[8:9], s[16:17], s[8:9]
	s_and_b64 s[8:9], s[8:9], exec
	s_cselect_b32 s9, 0, s3
	s_cselect_b32 s8, 1, s2
	s_cmp_lg_u32 s7, 1
	s_cselect_b64 s[16:17], -1, 0
	s_cmp_eq_u32 s7, 1
	s_cselect_b64 s[2:3], -1, 0
	s_cmpk_eq_i32 s5, 0x6f
	v_and_b32_e32 v20, 3, v0
	s_cselect_b64 s[6:7], -1, 0
	s_cmpk_lg_i32 s5, 0x6f
	v_subrev_u32_e32 v0, s10, v12
	v_subrev_u32_e32 v23, s10, v13
	v_mad_u64_u32 v[12:13], s[24:25], s8, v20, 0
	s_cselect_b64 s[26:27], -1, 0
	v_cndmask_b32_e64 v16, 0, 1, s[6:7]
	s_xor_b64 s[2:3], s[6:7], s[2:3]
	s_load_dwordx2 s[6:7], s[0:1], 0x38
	s_load_dwordx2 s[18:19], s[0:1], 0x50
	;; [unrolled: 1-line block ×3, first 2 shown]
	s_load_dword s11, s[0:1], 0x18
	v_mov_b32_e32 v14, v13
	v_mad_u64_u32 v[14:15], s[24:25], s9, v20, v[14:15]
	s_and_b64 s[2:3], s[2:3], exec
	v_mov_b32_e32 v13, v14
	v_lshlrev_b64 v[10:11], 3, v[10:11]
	s_cselect_b32 s22, s12, 1
	v_lshl_add_u64 v[10:11], v[12:13], 3, v[10:11]
	s_cselect_b32 s23, s13, 0
	s_waitcnt lgkmcnt(0)
	v_lshl_add_u64 v[10:11], s[20:21], 0, v[10:11]
	s_lshl_b64 s[20:21], s[8:9], 5
	v_mad_u64_u32 v[12:13], s[8:9], s22, v20, 0
	s_load_dwordx2 s[14:15], s[0:1], 0x60
	v_mov_b32_e32 v14, v13
	v_mad_u64_u32 v[14:15], s[8:9], s23, v20, v[14:15]
	v_mov_b32_e32 v13, v14
	v_lshlrev_b32_e32 v21, 5, v1
	v_lshl_add_u64 v[12:13], v[12:13], 3, s[6:7]
	v_cndmask_b32_e64 v1, 0, 1, s[26:27]
	v_cmp_gt_i32_e64 s[0:1], s11, v20
	v_lshl_or_b32 v22, v20, 3, v21
	v_cmp_eq_u32_e64 s[2:3], 0, v20
	v_xor_b32_e32 v6, 0x80000000, v3
	v_cmp_gt_u32_e64 s[4:5], 2, v20
	v_mov_b32_e32 v7, v2
	v_mov_b32_e32 v8, v4
	;; [unrolled: 1-line block ×4, first 2 shown]
	v_lshl_add_u64 v[12:13], v[12:13], 0, 4
	s_lshl_b64 s[22:23], s[22:23], 5
	s_mov_b64 s[24:25], 0
	v_cmp_ne_u32_e64 s[6:7], 1, v1
	v_cmp_ne_u32_e64 s[8:9], 1, v16
	s_branch .LBB57_14
.LBB57_13:                              ;   in Loop: Header=BB57_14 Depth=1
	s_or_b64 exec, exec, s[26:27]
	v_add_u32_e32 v0, 1, v0
	v_cmp_ge_i32_e32 vcc, v0, v23
	s_or_b64 s[24:25], vcc, s[24:25]
	s_andn2_b64 exec, exec, s[24:25]
	s_cbranch_execz .LBB57_32
.LBB57_14:                              ; =>This Loop Header: Depth=1
                                        ;     Child Loop BB57_24 Depth 2
	v_ashrrev_i32_e32 v1, 31, v0
	s_waitcnt lgkmcnt(0)
	v_lshl_add_u64 v[14:15], v[0:1], 2, s[14:15]
	global_load_dword v14, v[14:15], off
	s_mov_b64 s[26:27], -1
	s_and_b64 vcc, exec, s[16:17]
                                        ; implicit-def: $vgpr16_vgpr17
	s_waitcnt vmcnt(0)
	v_subrev_u32_e32 v14, s10, v14
	v_ashrrev_i32_e32 v15, 31, v14
	s_cbranch_vccnz .LBB57_17
; %bb.15:                               ;   in Loop: Header=BB57_14 Depth=1
	s_andn2_b64 vcc, exec, s[26:27]
	s_cbranch_vccz .LBB57_20
.LBB57_16:                              ;   in Loop: Header=BB57_14 Depth=1
	v_mov_b32_e32 v15, 0
	v_mov_b32_e32 v14, v15
	s_and_saveexec_b64 s[26:27], s[0:1]
	s_cbranch_execnz .LBB57_23
	s_branch .LBB57_26
.LBB57_17:                              ;   in Loop: Header=BB57_14 Depth=1
	s_and_b64 vcc, exec, s[6:7]
	v_mov_b64_e32 v[16:17], v[14:15]
	s_cbranch_vccnz .LBB57_19
; %bb.18:                               ;   in Loop: Header=BB57_14 Depth=1
	v_mul_lo_u32 v18, s13, v14
	v_mul_lo_u32 v19, s12, v15
	v_mad_u64_u32 v[16:17], s[26:27], s12, v14, 0
	v_add3_u32 v17, v17, v19, v18
.LBB57_19:                              ;   in Loop: Header=BB57_14 Depth=1
	s_cbranch_execnz .LBB57_16
.LBB57_20:                              ;   in Loop: Header=BB57_14 Depth=1
	s_and_b64 vcc, exec, s[8:9]
	s_cbranch_vccnz .LBB57_22
; %bb.21:                               ;   in Loop: Header=BB57_14 Depth=1
	v_mul_lo_u32 v16, s13, v14
	v_mul_lo_u32 v17, s12, v15
	v_mad_u64_u32 v[14:15], s[26:27], s12, v14, 0
	v_add3_u32 v15, v15, v17, v16
.LBB57_22:                              ;   in Loop: Header=BB57_14 Depth=1
	v_mov_b64_e32 v[16:17], v[14:15]
	v_mov_b32_e32 v15, 0
	v_mov_b32_e32 v14, v15
	s_and_saveexec_b64 s[26:27], s[0:1]
	s_cbranch_execz .LBB57_26
.LBB57_23:                              ;   in Loop: Header=BB57_14 Depth=1
	v_mov_b32_e32 v14, 0
	v_lshl_add_u64 v[16:17], v[16:17], 3, v[12:13]
	s_mov_b64 s[28:29], 0
	v_mov_b64_e32 v[18:19], v[10:11]
	v_mov_b32_e32 v24, v20
	v_mov_b32_e32 v15, v14
.LBB57_24:                              ;   Parent Loop BB57_14 Depth=1
                                        ; =>  This Inner Loop Header: Depth=2
	global_load_dwordx2 v[26:27], v[18:19], off
	global_load_dwordx2 v[28:29], v[16:17], off offset:-4
	v_add_u32_e32 v24, 4, v24
	v_cmp_le_i32_e32 vcc, s11, v24
	v_lshl_add_u64 v[18:19], v[18:19], 0, s[20:21]
	v_lshl_add_u64 v[16:17], v[16:17], 0, s[22:23]
	s_or_b64 s[28:29], vcc, s[28:29]
	s_waitcnt vmcnt(1)
	v_xor_b32_e32 v30, 0x80000000, v27
	v_mov_b32_e32 v31, v26
	s_waitcnt vmcnt(0)
	v_pk_mul_f32 v[30:31], v[28:29], v[30:31] op_sel:[1,0]
	s_nop 0
	v_pk_fma_f32 v[26:27], v[26:27], v[28:29], v[30:31] op_sel_hi:[1,0,1]
	s_nop 0
	v_pk_add_f32 v[14:15], v[14:15], v[26:27]
	s_andn2_b64 exec, exec, s[28:29]
	s_cbranch_execnz .LBB57_24
; %bb.25:                               ;   in Loop: Header=BB57_14 Depth=1
	s_or_b64 exec, exec, s[28:29]
.LBB57_26:                              ;   in Loop: Header=BB57_14 Depth=1
	s_or_b64 exec, exec, s[26:27]
	ds_write_b64 v22, v[14:15]
	s_waitcnt lgkmcnt(0)
	s_barrier
	s_and_saveexec_b64 s[26:27], s[4:5]
	s_cbranch_execz .LBB57_28
; %bb.27:                               ;   in Loop: Header=BB57_14 Depth=1
	ds_read2_b64 v[14:17], v22 offset1:2
	s_waitcnt lgkmcnt(0)
	v_pk_add_f32 v[14:15], v[16:17], v[14:15]
	ds_write_b64 v22, v[14:15]
.LBB57_28:                              ;   in Loop: Header=BB57_14 Depth=1
	s_or_b64 exec, exec, s[26:27]
	s_waitcnt lgkmcnt(0)
	s_barrier
	s_and_saveexec_b64 s[26:27], s[2:3]
	s_cbranch_execz .LBB57_30
; %bb.29:                               ;   in Loop: Header=BB57_14 Depth=1
	ds_read2_b64 v[14:17], v22 offset1:1
	s_waitcnt lgkmcnt(0)
	v_pk_add_f32 v[14:15], v[16:17], v[14:15]
	ds_write_b64 v22, v[14:15]
.LBB57_30:                              ;   in Loop: Header=BB57_14 Depth=1
	s_or_b64 exec, exec, s[26:27]
	s_waitcnt lgkmcnt(0)
	s_barrier
	s_and_saveexec_b64 s[26:27], s[2:3]
	s_cbranch_execz .LBB57_13
; %bb.31:                               ;   in Loop: Header=BB57_14 Depth=1
	v_lshl_add_u64 v[14:15], v[0:1], 3, s[18:19]
	global_load_dwordx2 v[16:17], v[14:15], off
	ds_read_b64 v[18:19], v21
	s_waitcnt lgkmcnt(0)
	v_pk_mul_f32 v[24:25], v[18:19], v[6:7] op_sel:[1,0]
	s_nop 0
	v_pk_fma_f32 v[18:19], v[2:3], v[18:19], v[24:25] op_sel_hi:[1,0,1]
	s_waitcnt vmcnt(0)
	v_pk_mul_f32 v[26:27], v[4:5], v[16:17] op_sel:[0,1] op_sel_hi:[1,0] neg_lo:[0,1]
	s_nop 0
	v_pk_fma_f32 v[16:17], v[16:17], v[8:9], v[26:27]
	s_nop 0
	v_pk_add_f32 v[16:17], v[18:19], v[16:17]
	global_store_dwordx2 v[14:15], v[16:17], off
	s_branch .LBB57_13
.LBB57_32:
	s_endpgm
	.section	.rodata,"a",@progbits
	.p2align	6, 0x0
	.amdhsa_kernel _ZN9rocsparseL16sddmm_csx_kernelILi512ELi4EL20rocsparse_direction_0E21rocsparse_complex_numIfEiiS3_S3_S3_EEv20rocsparse_operation_S4_16rocsparse_order_S5_T4_S6_S6_T3_NS_24const_host_device_scalarIT2_EEPKT5_lPKT6_lSA_PT7_PKS7_PKS6_21rocsparse_index_base_b
		.amdhsa_group_segment_fixed_size 4096
		.amdhsa_private_segment_fixed_size 0
		.amdhsa_kernarg_size 112
		.amdhsa_user_sgpr_count 2
		.amdhsa_user_sgpr_dispatch_ptr 0
		.amdhsa_user_sgpr_queue_ptr 0
		.amdhsa_user_sgpr_kernarg_segment_ptr 1
		.amdhsa_user_sgpr_dispatch_id 0
		.amdhsa_user_sgpr_kernarg_preload_length 0
		.amdhsa_user_sgpr_kernarg_preload_offset 0
		.amdhsa_user_sgpr_private_segment_size 0
		.amdhsa_uses_dynamic_stack 0
		.amdhsa_enable_private_segment 0
		.amdhsa_system_sgpr_workgroup_id_x 1
		.amdhsa_system_sgpr_workgroup_id_y 0
		.amdhsa_system_sgpr_workgroup_id_z 0
		.amdhsa_system_sgpr_workgroup_info 0
		.amdhsa_system_vgpr_workitem_id 0
		.amdhsa_next_free_vgpr 32
		.amdhsa_next_free_sgpr 30
		.amdhsa_accum_offset 32
		.amdhsa_reserve_vcc 1
		.amdhsa_float_round_mode_32 0
		.amdhsa_float_round_mode_16_64 0
		.amdhsa_float_denorm_mode_32 3
		.amdhsa_float_denorm_mode_16_64 3
		.amdhsa_dx10_clamp 1
		.amdhsa_ieee_mode 1
		.amdhsa_fp16_overflow 0
		.amdhsa_tg_split 0
		.amdhsa_exception_fp_ieee_invalid_op 0
		.amdhsa_exception_fp_denorm_src 0
		.amdhsa_exception_fp_ieee_div_zero 0
		.amdhsa_exception_fp_ieee_overflow 0
		.amdhsa_exception_fp_ieee_underflow 0
		.amdhsa_exception_fp_ieee_inexact 0
		.amdhsa_exception_int_div_zero 0
	.end_amdhsa_kernel
	.section	.text._ZN9rocsparseL16sddmm_csx_kernelILi512ELi4EL20rocsparse_direction_0E21rocsparse_complex_numIfEiiS3_S3_S3_EEv20rocsparse_operation_S4_16rocsparse_order_S5_T4_S6_S6_T3_NS_24const_host_device_scalarIT2_EEPKT5_lPKT6_lSA_PT7_PKS7_PKS6_21rocsparse_index_base_b,"axG",@progbits,_ZN9rocsparseL16sddmm_csx_kernelILi512ELi4EL20rocsparse_direction_0E21rocsparse_complex_numIfEiiS3_S3_S3_EEv20rocsparse_operation_S4_16rocsparse_order_S5_T4_S6_S6_T3_NS_24const_host_device_scalarIT2_EEPKT5_lPKT6_lSA_PT7_PKS7_PKS6_21rocsparse_index_base_b,comdat
.Lfunc_end57:
	.size	_ZN9rocsparseL16sddmm_csx_kernelILi512ELi4EL20rocsparse_direction_0E21rocsparse_complex_numIfEiiS3_S3_S3_EEv20rocsparse_operation_S4_16rocsparse_order_S5_T4_S6_S6_T3_NS_24const_host_device_scalarIT2_EEPKT5_lPKT6_lSA_PT7_PKS7_PKS6_21rocsparse_index_base_b, .Lfunc_end57-_ZN9rocsparseL16sddmm_csx_kernelILi512ELi4EL20rocsparse_direction_0E21rocsparse_complex_numIfEiiS3_S3_S3_EEv20rocsparse_operation_S4_16rocsparse_order_S5_T4_S6_S6_T3_NS_24const_host_device_scalarIT2_EEPKT5_lPKT6_lSA_PT7_PKS7_PKS6_21rocsparse_index_base_b
                                        ; -- End function
	.set _ZN9rocsparseL16sddmm_csx_kernelILi512ELi4EL20rocsparse_direction_0E21rocsparse_complex_numIfEiiS3_S3_S3_EEv20rocsparse_operation_S4_16rocsparse_order_S5_T4_S6_S6_T3_NS_24const_host_device_scalarIT2_EEPKT5_lPKT6_lSA_PT7_PKS7_PKS6_21rocsparse_index_base_b.num_vgpr, 32
	.set _ZN9rocsparseL16sddmm_csx_kernelILi512ELi4EL20rocsparse_direction_0E21rocsparse_complex_numIfEiiS3_S3_S3_EEv20rocsparse_operation_S4_16rocsparse_order_S5_T4_S6_S6_T3_NS_24const_host_device_scalarIT2_EEPKT5_lPKT6_lSA_PT7_PKS7_PKS6_21rocsparse_index_base_b.num_agpr, 0
	.set _ZN9rocsparseL16sddmm_csx_kernelILi512ELi4EL20rocsparse_direction_0E21rocsparse_complex_numIfEiiS3_S3_S3_EEv20rocsparse_operation_S4_16rocsparse_order_S5_T4_S6_S6_T3_NS_24const_host_device_scalarIT2_EEPKT5_lPKT6_lSA_PT7_PKS7_PKS6_21rocsparse_index_base_b.numbered_sgpr, 30
	.set _ZN9rocsparseL16sddmm_csx_kernelILi512ELi4EL20rocsparse_direction_0E21rocsparse_complex_numIfEiiS3_S3_S3_EEv20rocsparse_operation_S4_16rocsparse_order_S5_T4_S6_S6_T3_NS_24const_host_device_scalarIT2_EEPKT5_lPKT6_lSA_PT7_PKS7_PKS6_21rocsparse_index_base_b.num_named_barrier, 0
	.set _ZN9rocsparseL16sddmm_csx_kernelILi512ELi4EL20rocsparse_direction_0E21rocsparse_complex_numIfEiiS3_S3_S3_EEv20rocsparse_operation_S4_16rocsparse_order_S5_T4_S6_S6_T3_NS_24const_host_device_scalarIT2_EEPKT5_lPKT6_lSA_PT7_PKS7_PKS6_21rocsparse_index_base_b.private_seg_size, 0
	.set _ZN9rocsparseL16sddmm_csx_kernelILi512ELi4EL20rocsparse_direction_0E21rocsparse_complex_numIfEiiS3_S3_S3_EEv20rocsparse_operation_S4_16rocsparse_order_S5_T4_S6_S6_T3_NS_24const_host_device_scalarIT2_EEPKT5_lPKT6_lSA_PT7_PKS7_PKS6_21rocsparse_index_base_b.uses_vcc, 1
	.set _ZN9rocsparseL16sddmm_csx_kernelILi512ELi4EL20rocsparse_direction_0E21rocsparse_complex_numIfEiiS3_S3_S3_EEv20rocsparse_operation_S4_16rocsparse_order_S5_T4_S6_S6_T3_NS_24const_host_device_scalarIT2_EEPKT5_lPKT6_lSA_PT7_PKS7_PKS6_21rocsparse_index_base_b.uses_flat_scratch, 0
	.set _ZN9rocsparseL16sddmm_csx_kernelILi512ELi4EL20rocsparse_direction_0E21rocsparse_complex_numIfEiiS3_S3_S3_EEv20rocsparse_operation_S4_16rocsparse_order_S5_T4_S6_S6_T3_NS_24const_host_device_scalarIT2_EEPKT5_lPKT6_lSA_PT7_PKS7_PKS6_21rocsparse_index_base_b.has_dyn_sized_stack, 0
	.set _ZN9rocsparseL16sddmm_csx_kernelILi512ELi4EL20rocsparse_direction_0E21rocsparse_complex_numIfEiiS3_S3_S3_EEv20rocsparse_operation_S4_16rocsparse_order_S5_T4_S6_S6_T3_NS_24const_host_device_scalarIT2_EEPKT5_lPKT6_lSA_PT7_PKS7_PKS6_21rocsparse_index_base_b.has_recursion, 0
	.set _ZN9rocsparseL16sddmm_csx_kernelILi512ELi4EL20rocsparse_direction_0E21rocsparse_complex_numIfEiiS3_S3_S3_EEv20rocsparse_operation_S4_16rocsparse_order_S5_T4_S6_S6_T3_NS_24const_host_device_scalarIT2_EEPKT5_lPKT6_lSA_PT7_PKS7_PKS6_21rocsparse_index_base_b.has_indirect_call, 0
	.section	.AMDGPU.csdata,"",@progbits
; Kernel info:
; codeLenInByte = 1272
; TotalNumSgprs: 36
; NumVgprs: 32
; NumAgprs: 0
; TotalNumVgprs: 32
; ScratchSize: 0
; MemoryBound: 0
; FloatMode: 240
; IeeeMode: 1
; LDSByteSize: 4096 bytes/workgroup (compile time only)
; SGPRBlocks: 4
; VGPRBlocks: 3
; NumSGPRsForWavesPerEU: 36
; NumVGPRsForWavesPerEU: 32
; AccumOffset: 32
; Occupancy: 8
; WaveLimiterHint : 0
; COMPUTE_PGM_RSRC2:SCRATCH_EN: 0
; COMPUTE_PGM_RSRC2:USER_SGPR: 2
; COMPUTE_PGM_RSRC2:TRAP_HANDLER: 0
; COMPUTE_PGM_RSRC2:TGID_X_EN: 1
; COMPUTE_PGM_RSRC2:TGID_Y_EN: 0
; COMPUTE_PGM_RSRC2:TGID_Z_EN: 0
; COMPUTE_PGM_RSRC2:TIDIG_COMP_CNT: 0
; COMPUTE_PGM_RSRC3_GFX90A:ACCUM_OFFSET: 7
; COMPUTE_PGM_RSRC3_GFX90A:TG_SPLIT: 0
	.section	.text._ZN9rocsparseL16sddmm_csx_kernelILi512ELi2EL20rocsparse_direction_0E21rocsparse_complex_numIfEiiS3_S3_S3_EEv20rocsparse_operation_S4_16rocsparse_order_S5_T4_S6_S6_T3_NS_24const_host_device_scalarIT2_EEPKT5_lPKT6_lSA_PT7_PKS7_PKS6_21rocsparse_index_base_b,"axG",@progbits,_ZN9rocsparseL16sddmm_csx_kernelILi512ELi2EL20rocsparse_direction_0E21rocsparse_complex_numIfEiiS3_S3_S3_EEv20rocsparse_operation_S4_16rocsparse_order_S5_T4_S6_S6_T3_NS_24const_host_device_scalarIT2_EEPKT5_lPKT6_lSA_PT7_PKS7_PKS6_21rocsparse_index_base_b,comdat
	.globl	_ZN9rocsparseL16sddmm_csx_kernelILi512ELi2EL20rocsparse_direction_0E21rocsparse_complex_numIfEiiS3_S3_S3_EEv20rocsparse_operation_S4_16rocsparse_order_S5_T4_S6_S6_T3_NS_24const_host_device_scalarIT2_EEPKT5_lPKT6_lSA_PT7_PKS7_PKS6_21rocsparse_index_base_b ; -- Begin function _ZN9rocsparseL16sddmm_csx_kernelILi512ELi2EL20rocsparse_direction_0E21rocsparse_complex_numIfEiiS3_S3_S3_EEv20rocsparse_operation_S4_16rocsparse_order_S5_T4_S6_S6_T3_NS_24const_host_device_scalarIT2_EEPKT5_lPKT6_lSA_PT7_PKS7_PKS6_21rocsparse_index_base_b
	.p2align	8
	.type	_ZN9rocsparseL16sddmm_csx_kernelILi512ELi2EL20rocsparse_direction_0E21rocsparse_complex_numIfEiiS3_S3_S3_EEv20rocsparse_operation_S4_16rocsparse_order_S5_T4_S6_S6_T3_NS_24const_host_device_scalarIT2_EEPKT5_lPKT6_lSA_PT7_PKS7_PKS6_21rocsparse_index_base_b,@function
_ZN9rocsparseL16sddmm_csx_kernelILi512ELi2EL20rocsparse_direction_0E21rocsparse_complex_numIfEiiS3_S3_S3_EEv20rocsparse_operation_S4_16rocsparse_order_S5_T4_S6_S6_T3_NS_24const_host_device_scalarIT2_EEPKT5_lPKT6_lSA_PT7_PKS7_PKS6_21rocsparse_index_base_b: ; @_ZN9rocsparseL16sddmm_csx_kernelILi512ELi2EL20rocsparse_direction_0E21rocsparse_complex_numIfEiiS3_S3_S3_EEv20rocsparse_operation_S4_16rocsparse_order_S5_T4_S6_S6_T3_NS_24const_host_device_scalarIT2_EEPKT5_lPKT6_lSA_PT7_PKS7_PKS6_21rocsparse_index_base_b
; %bb.0:
	s_load_dwordx2 s[4:5], s[0:1], 0x20
	s_load_dwordx4 s[8:11], s[0:1], 0x40
	s_load_dwordx2 s[12:13], s[0:1], 0x68
	s_add_u32 s3, s0, 32
	s_addc_u32 s6, s1, 0
	s_add_u32 s7, s0, 0x48
	s_addc_u32 s14, s1, 0
	s_waitcnt lgkmcnt(0)
	s_bitcmp1_b32 s13, 0
	s_cselect_b32 s5, s6, s5
	s_cselect_b32 s3, s3, s4
	v_mov_b32_e32 v2, s3
	v_mov_b32_e32 v3, s5
	flat_load_dwordx2 v[2:3], v[2:3]
	s_cselect_b32 s3, s14, s11
	s_cselect_b32 s4, s7, s10
	v_mov_b32_e32 v4, s4
	v_mov_b32_e32 v5, s3
	flat_load_dwordx2 v[4:5], v[4:5]
	s_brev_b32 s3, -2
	s_mov_b64 s[4:5], -1
	s_waitcnt vmcnt(0) lgkmcnt(0)
	v_bitop3_b32 v1, v2, s3, v3 bitop3:0xc8
	v_cmp_eq_u32_e32 vcc, 0, v1
	s_and_saveexec_b64 s[6:7], vcc
; %bb.1:
	v_cmp_neq_f32_e32 vcc, 1.0, v4
	v_cmp_neq_f32_e64 s[4:5], 0, v5
	s_or_b64 s[4:5], vcc, s[4:5]
	s_orn2_b64 s[4:5], s[4:5], exec
; %bb.2:
	s_or_b64 exec, exec, s[6:7]
	s_and_saveexec_b64 s[6:7], s[4:5]
	s_cbranch_execz .LBB58_30
; %bb.3:
	s_load_dword s3, s[0:1], 0x10
	v_lshrrev_b32_e32 v1, 1, v0
	v_lshl_or_b32 v6, s2, 8, v1
	s_waitcnt lgkmcnt(0)
	v_cmp_gt_i32_e32 vcc, s3, v6
	s_and_b64 exec, exec, vcc
	s_cbranch_execz .LBB58_30
; %bb.4:
	s_load_dwordx4 s[4:7], s[0:1], 0x0
	s_load_dwordx2 s[10:11], s[0:1], 0x58
	s_load_dwordx2 s[2:3], s[0:1], 0x30
	v_ashrrev_i32_e32 v7, 31, v6
	s_waitcnt lgkmcnt(0)
	s_cmp_eq_u32 s6, 1
	s_cselect_b64 s[14:15], -1, 0
	s_cmpk_eq_i32 s4, 0x6f
	s_cselect_b64 s[16:17], -1, 0
	s_cmpk_lg_i32 s4, 0x6f
	s_cselect_b64 s[18:19], -1, 0
	s_cmp_lg_u32 s6, 1
	s_cbranch_scc0 .LBB58_8
; %bb.5:
	s_andn2_b64 vcc, exec, s[16:17]
	v_mov_b64_e32 v[10:11], v[6:7]
	s_cbranch_vccnz .LBB58_7
; %bb.6:
	v_mul_lo_u32 v8, s3, v6
	v_mul_lo_u32 v9, s2, v7
	v_mad_u64_u32 v[10:11], s[20:21], s2, v6, 0
	v_add3_u32 v11, v11, v9, v8
.LBB58_7:
	s_cbranch_execz .LBB58_9
	s_branch .LBB58_11
.LBB58_8:
                                        ; implicit-def: $vgpr10_vgpr11
.LBB58_9:
	s_andn2_b64 vcc, exec, s[18:19]
	v_mov_b64_e32 v[10:11], v[6:7]
	s_cbranch_vccnz .LBB58_11
; %bb.10:
	v_mul_lo_u32 v8, s3, v6
	v_mul_lo_u32 v9, s2, v7
	v_mad_u64_u32 v[10:11], s[18:19], s2, v6, 0
	v_add3_u32 v11, v11, v9, v8
.LBB58_11:
	v_lshl_add_u64 v[6:7], v[6:7], 2, s[10:11]
	global_load_dwordx2 v[12:13], v[6:7], off
	s_waitcnt vmcnt(0)
	v_cmp_lt_i32_e32 vcc, v12, v13
	s_and_b64 exec, exec, vcc
	s_cbranch_execz .LBB58_30
; %bb.12:
	s_xor_b64 s[14:15], s[16:17], s[14:15]
	s_and_b64 s[14:15], s[14:15], exec
	s_cselect_b32 s19, 0, s3
	s_cselect_b32 s18, 1, s2
	s_cmp_lg_u32 s7, 1
	s_cselect_b64 s[14:15], -1, 0
	s_cmp_eq_u32 s7, 1
	s_cselect_b64 s[2:3], -1, 0
	s_cmpk_eq_i32 s5, 0x6f
	s_cselect_b64 s[6:7], -1, 0
	s_cmpk_lg_i32 s5, 0x6f
	s_cselect_b64 s[4:5], -1, 0
	v_cndmask_b32_e64 v14, 0, 1, s[6:7]
	s_xor_b64 s[2:3], s[6:7], s[2:3]
	s_load_dwordx2 s[6:7], s[0:1], 0x38
	s_load_dwordx2 s[16:17], s[0:1], 0x50
	;; [unrolled: 1-line block ×3, first 2 shown]
	s_load_dword s13, s[0:1], 0x18
	s_load_dwordx2 s[10:11], s[0:1], 0x60
	s_and_b64 s[2:3], s[2:3], exec
	v_and_b32_e32 v20, 1, v0
	s_cselect_b32 s23, s9, 0
	s_cselect_b32 s22, s8, 1
	v_subrev_u32_e32 v0, s12, v12
	v_subrev_u32_e32 v23, s12, v13
	v_mul_lo_u32 v13, s19, v20
	v_mul_lo_u32 v12, s18, v20
	v_lshlrev_b64 v[10:11], 3, v[10:11]
	v_lshl_add_u64 v[10:11], v[12:13], 3, v[10:11]
	v_mul_lo_u32 v13, s23, v20
	v_mul_lo_u32 v12, s22, v20
	v_lshlrev_b32_e32 v21, 4, v1
	s_waitcnt lgkmcnt(0)
	v_lshl_add_u64 v[12:13], v[12:13], 3, s[6:7]
	v_cndmask_b32_e64 v1, 0, 1, s[4:5]
	v_cmp_gt_i32_e64 s[0:1], s13, v20
	v_lshl_or_b32 v22, v20, 3, v21
	v_cmp_eq_u32_e64 s[2:3], 0, v20
	v_xor_b32_e32 v6, 0x80000000, v3
	v_mov_b32_e32 v7, v2
	v_mov_b32_e32 v8, v4
	;; [unrolled: 1-line block ×4, first 2 shown]
	v_lshl_add_u64 v[10:11], s[20:21], 0, v[10:11]
	s_lshl_b64 s[18:19], s[18:19], 4
	v_lshl_add_u64 v[12:13], v[12:13], 0, 4
	s_lshl_b64 s[20:21], s[22:23], 4
	s_mov_b64 s[22:23], 0
	v_cmp_ne_u32_e64 s[4:5], 1, v1
	v_cmp_ne_u32_e64 s[6:7], 1, v14
	s_branch .LBB58_14
.LBB58_13:                              ;   in Loop: Header=BB58_14 Depth=1
	s_or_b64 exec, exec, s[24:25]
	v_add_u32_e32 v0, 1, v0
	v_cmp_ge_i32_e32 vcc, v0, v23
	s_or_b64 s[22:23], vcc, s[22:23]
	s_andn2_b64 exec, exec, s[22:23]
	s_cbranch_execz .LBB58_30
.LBB58_14:                              ; =>This Loop Header: Depth=1
                                        ;     Child Loop BB58_24 Depth 2
	v_ashrrev_i32_e32 v1, 31, v0
	v_lshl_add_u64 v[14:15], v[0:1], 2, s[10:11]
	global_load_dword v14, v[14:15], off
	s_mov_b64 s[24:25], -1
	s_and_b64 vcc, exec, s[14:15]
                                        ; implicit-def: $vgpr16_vgpr17
	s_waitcnt vmcnt(0)
	v_subrev_u32_e32 v14, s12, v14
	v_ashrrev_i32_e32 v15, 31, v14
	s_cbranch_vccnz .LBB58_17
; %bb.15:                               ;   in Loop: Header=BB58_14 Depth=1
	s_andn2_b64 vcc, exec, s[24:25]
	s_cbranch_vccz .LBB58_20
.LBB58_16:                              ;   in Loop: Header=BB58_14 Depth=1
	v_mov_b32_e32 v15, 0
	v_mov_b32_e32 v14, v15
	s_and_saveexec_b64 s[24:25], s[0:1]
	s_cbranch_execnz .LBB58_23
	s_branch .LBB58_26
.LBB58_17:                              ;   in Loop: Header=BB58_14 Depth=1
	s_and_b64 vcc, exec, s[4:5]
	v_mov_b64_e32 v[16:17], v[14:15]
	s_cbranch_vccnz .LBB58_19
; %bb.18:                               ;   in Loop: Header=BB58_14 Depth=1
	v_mul_lo_u32 v18, s9, v14
	v_mul_lo_u32 v19, s8, v15
	v_mad_u64_u32 v[16:17], s[24:25], s8, v14, 0
	v_add3_u32 v17, v17, v19, v18
.LBB58_19:                              ;   in Loop: Header=BB58_14 Depth=1
	s_cbranch_execnz .LBB58_16
.LBB58_20:                              ;   in Loop: Header=BB58_14 Depth=1
	s_and_b64 vcc, exec, s[6:7]
	s_cbranch_vccnz .LBB58_22
; %bb.21:                               ;   in Loop: Header=BB58_14 Depth=1
	v_mul_lo_u32 v16, s9, v14
	v_mul_lo_u32 v17, s8, v15
	v_mad_u64_u32 v[14:15], s[24:25], s8, v14, 0
	v_add3_u32 v15, v15, v17, v16
.LBB58_22:                              ;   in Loop: Header=BB58_14 Depth=1
	v_mov_b64_e32 v[16:17], v[14:15]
	v_mov_b32_e32 v15, 0
	v_mov_b32_e32 v14, v15
	s_and_saveexec_b64 s[24:25], s[0:1]
	s_cbranch_execz .LBB58_26
.LBB58_23:                              ;   in Loop: Header=BB58_14 Depth=1
	v_mov_b32_e32 v14, 0
	v_lshl_add_u64 v[16:17], v[16:17], 3, v[12:13]
	s_mov_b64 s[26:27], 0
	v_mov_b64_e32 v[18:19], v[10:11]
	v_mov_b32_e32 v24, v20
	v_mov_b32_e32 v15, v14
.LBB58_24:                              ;   Parent Loop BB58_14 Depth=1
                                        ; =>  This Inner Loop Header: Depth=2
	global_load_dwordx2 v[26:27], v[18:19], off
	global_load_dwordx2 v[28:29], v[16:17], off offset:-4
	v_add_u32_e32 v24, 2, v24
	v_cmp_le_i32_e32 vcc, s13, v24
	v_lshl_add_u64 v[18:19], v[18:19], 0, s[18:19]
	v_lshl_add_u64 v[16:17], v[16:17], 0, s[20:21]
	s_or_b64 s[26:27], vcc, s[26:27]
	s_waitcnt vmcnt(1)
	v_xor_b32_e32 v30, 0x80000000, v27
	v_mov_b32_e32 v31, v26
	s_waitcnt vmcnt(0)
	v_pk_mul_f32 v[30:31], v[28:29], v[30:31] op_sel:[1,0]
	s_nop 0
	v_pk_fma_f32 v[26:27], v[26:27], v[28:29], v[30:31] op_sel_hi:[1,0,1]
	s_nop 0
	v_pk_add_f32 v[14:15], v[14:15], v[26:27]
	s_andn2_b64 exec, exec, s[26:27]
	s_cbranch_execnz .LBB58_24
; %bb.25:                               ;   in Loop: Header=BB58_14 Depth=1
	s_or_b64 exec, exec, s[26:27]
.LBB58_26:                              ;   in Loop: Header=BB58_14 Depth=1
	s_or_b64 exec, exec, s[24:25]
	ds_write_b64 v22, v[14:15]
	s_waitcnt lgkmcnt(0)
	s_barrier
	s_and_saveexec_b64 s[24:25], s[2:3]
	s_cbranch_execz .LBB58_28
; %bb.27:                               ;   in Loop: Header=BB58_14 Depth=1
	ds_read_b64 v[14:15], v21 offset:8
	ds_read_b64 v[16:17], v22
	s_waitcnt lgkmcnt(0)
	v_pk_add_f32 v[14:15], v[14:15], v[16:17]
	ds_write_b64 v22, v[14:15]
.LBB58_28:                              ;   in Loop: Header=BB58_14 Depth=1
	s_or_b64 exec, exec, s[24:25]
	s_waitcnt lgkmcnt(0)
	s_barrier
	s_and_saveexec_b64 s[24:25], s[2:3]
	s_cbranch_execz .LBB58_13
; %bb.29:                               ;   in Loop: Header=BB58_14 Depth=1
	v_lshl_add_u64 v[14:15], v[0:1], 3, s[16:17]
	global_load_dwordx2 v[16:17], v[14:15], off
	ds_read_b64 v[18:19], v21
	s_waitcnt lgkmcnt(0)
	v_pk_mul_f32 v[24:25], v[18:19], v[6:7] op_sel:[1,0]
	s_nop 0
	v_pk_fma_f32 v[18:19], v[2:3], v[18:19], v[24:25] op_sel_hi:[1,0,1]
	s_waitcnt vmcnt(0)
	v_pk_mul_f32 v[26:27], v[4:5], v[16:17] op_sel:[0,1] op_sel_hi:[1,0] neg_lo:[0,1]
	s_nop 0
	v_pk_fma_f32 v[16:17], v[16:17], v[8:9], v[26:27]
	s_nop 0
	v_pk_add_f32 v[16:17], v[18:19], v[16:17]
	global_store_dwordx2 v[14:15], v[16:17], off
	s_branch .LBB58_13
.LBB58_30:
	s_endpgm
	.section	.rodata,"a",@progbits
	.p2align	6, 0x0
	.amdhsa_kernel _ZN9rocsparseL16sddmm_csx_kernelILi512ELi2EL20rocsparse_direction_0E21rocsparse_complex_numIfEiiS3_S3_S3_EEv20rocsparse_operation_S4_16rocsparse_order_S5_T4_S6_S6_T3_NS_24const_host_device_scalarIT2_EEPKT5_lPKT6_lSA_PT7_PKS7_PKS6_21rocsparse_index_base_b
		.amdhsa_group_segment_fixed_size 4096
		.amdhsa_private_segment_fixed_size 0
		.amdhsa_kernarg_size 112
		.amdhsa_user_sgpr_count 2
		.amdhsa_user_sgpr_dispatch_ptr 0
		.amdhsa_user_sgpr_queue_ptr 0
		.amdhsa_user_sgpr_kernarg_segment_ptr 1
		.amdhsa_user_sgpr_dispatch_id 0
		.amdhsa_user_sgpr_kernarg_preload_length 0
		.amdhsa_user_sgpr_kernarg_preload_offset 0
		.amdhsa_user_sgpr_private_segment_size 0
		.amdhsa_uses_dynamic_stack 0
		.amdhsa_enable_private_segment 0
		.amdhsa_system_sgpr_workgroup_id_x 1
		.amdhsa_system_sgpr_workgroup_id_y 0
		.amdhsa_system_sgpr_workgroup_id_z 0
		.amdhsa_system_sgpr_workgroup_info 0
		.amdhsa_system_vgpr_workitem_id 0
		.amdhsa_next_free_vgpr 32
		.amdhsa_next_free_sgpr 28
		.amdhsa_accum_offset 32
		.amdhsa_reserve_vcc 1
		.amdhsa_float_round_mode_32 0
		.amdhsa_float_round_mode_16_64 0
		.amdhsa_float_denorm_mode_32 3
		.amdhsa_float_denorm_mode_16_64 3
		.amdhsa_dx10_clamp 1
		.amdhsa_ieee_mode 1
		.amdhsa_fp16_overflow 0
		.amdhsa_tg_split 0
		.amdhsa_exception_fp_ieee_invalid_op 0
		.amdhsa_exception_fp_denorm_src 0
		.amdhsa_exception_fp_ieee_div_zero 0
		.amdhsa_exception_fp_ieee_overflow 0
		.amdhsa_exception_fp_ieee_underflow 0
		.amdhsa_exception_fp_ieee_inexact 0
		.amdhsa_exception_int_div_zero 0
	.end_amdhsa_kernel
	.section	.text._ZN9rocsparseL16sddmm_csx_kernelILi512ELi2EL20rocsparse_direction_0E21rocsparse_complex_numIfEiiS3_S3_S3_EEv20rocsparse_operation_S4_16rocsparse_order_S5_T4_S6_S6_T3_NS_24const_host_device_scalarIT2_EEPKT5_lPKT6_lSA_PT7_PKS7_PKS6_21rocsparse_index_base_b,"axG",@progbits,_ZN9rocsparseL16sddmm_csx_kernelILi512ELi2EL20rocsparse_direction_0E21rocsparse_complex_numIfEiiS3_S3_S3_EEv20rocsparse_operation_S4_16rocsparse_order_S5_T4_S6_S6_T3_NS_24const_host_device_scalarIT2_EEPKT5_lPKT6_lSA_PT7_PKS7_PKS6_21rocsparse_index_base_b,comdat
.Lfunc_end58:
	.size	_ZN9rocsparseL16sddmm_csx_kernelILi512ELi2EL20rocsparse_direction_0E21rocsparse_complex_numIfEiiS3_S3_S3_EEv20rocsparse_operation_S4_16rocsparse_order_S5_T4_S6_S6_T3_NS_24const_host_device_scalarIT2_EEPKT5_lPKT6_lSA_PT7_PKS7_PKS6_21rocsparse_index_base_b, .Lfunc_end58-_ZN9rocsparseL16sddmm_csx_kernelILi512ELi2EL20rocsparse_direction_0E21rocsparse_complex_numIfEiiS3_S3_S3_EEv20rocsparse_operation_S4_16rocsparse_order_S5_T4_S6_S6_T3_NS_24const_host_device_scalarIT2_EEPKT5_lPKT6_lSA_PT7_PKS7_PKS6_21rocsparse_index_base_b
                                        ; -- End function
	.set _ZN9rocsparseL16sddmm_csx_kernelILi512ELi2EL20rocsparse_direction_0E21rocsparse_complex_numIfEiiS3_S3_S3_EEv20rocsparse_operation_S4_16rocsparse_order_S5_T4_S6_S6_T3_NS_24const_host_device_scalarIT2_EEPKT5_lPKT6_lSA_PT7_PKS7_PKS6_21rocsparse_index_base_b.num_vgpr, 32
	.set _ZN9rocsparseL16sddmm_csx_kernelILi512ELi2EL20rocsparse_direction_0E21rocsparse_complex_numIfEiiS3_S3_S3_EEv20rocsparse_operation_S4_16rocsparse_order_S5_T4_S6_S6_T3_NS_24const_host_device_scalarIT2_EEPKT5_lPKT6_lSA_PT7_PKS7_PKS6_21rocsparse_index_base_b.num_agpr, 0
	.set _ZN9rocsparseL16sddmm_csx_kernelILi512ELi2EL20rocsparse_direction_0E21rocsparse_complex_numIfEiiS3_S3_S3_EEv20rocsparse_operation_S4_16rocsparse_order_S5_T4_S6_S6_T3_NS_24const_host_device_scalarIT2_EEPKT5_lPKT6_lSA_PT7_PKS7_PKS6_21rocsparse_index_base_b.numbered_sgpr, 28
	.set _ZN9rocsparseL16sddmm_csx_kernelILi512ELi2EL20rocsparse_direction_0E21rocsparse_complex_numIfEiiS3_S3_S3_EEv20rocsparse_operation_S4_16rocsparse_order_S5_T4_S6_S6_T3_NS_24const_host_device_scalarIT2_EEPKT5_lPKT6_lSA_PT7_PKS7_PKS6_21rocsparse_index_base_b.num_named_barrier, 0
	.set _ZN9rocsparseL16sddmm_csx_kernelILi512ELi2EL20rocsparse_direction_0E21rocsparse_complex_numIfEiiS3_S3_S3_EEv20rocsparse_operation_S4_16rocsparse_order_S5_T4_S6_S6_T3_NS_24const_host_device_scalarIT2_EEPKT5_lPKT6_lSA_PT7_PKS7_PKS6_21rocsparse_index_base_b.private_seg_size, 0
	.set _ZN9rocsparseL16sddmm_csx_kernelILi512ELi2EL20rocsparse_direction_0E21rocsparse_complex_numIfEiiS3_S3_S3_EEv20rocsparse_operation_S4_16rocsparse_order_S5_T4_S6_S6_T3_NS_24const_host_device_scalarIT2_EEPKT5_lPKT6_lSA_PT7_PKS7_PKS6_21rocsparse_index_base_b.uses_vcc, 1
	.set _ZN9rocsparseL16sddmm_csx_kernelILi512ELi2EL20rocsparse_direction_0E21rocsparse_complex_numIfEiiS3_S3_S3_EEv20rocsparse_operation_S4_16rocsparse_order_S5_T4_S6_S6_T3_NS_24const_host_device_scalarIT2_EEPKT5_lPKT6_lSA_PT7_PKS7_PKS6_21rocsparse_index_base_b.uses_flat_scratch, 0
	.set _ZN9rocsparseL16sddmm_csx_kernelILi512ELi2EL20rocsparse_direction_0E21rocsparse_complex_numIfEiiS3_S3_S3_EEv20rocsparse_operation_S4_16rocsparse_order_S5_T4_S6_S6_T3_NS_24const_host_device_scalarIT2_EEPKT5_lPKT6_lSA_PT7_PKS7_PKS6_21rocsparse_index_base_b.has_dyn_sized_stack, 0
	.set _ZN9rocsparseL16sddmm_csx_kernelILi512ELi2EL20rocsparse_direction_0E21rocsparse_complex_numIfEiiS3_S3_S3_EEv20rocsparse_operation_S4_16rocsparse_order_S5_T4_S6_S6_T3_NS_24const_host_device_scalarIT2_EEPKT5_lPKT6_lSA_PT7_PKS7_PKS6_21rocsparse_index_base_b.has_recursion, 0
	.set _ZN9rocsparseL16sddmm_csx_kernelILi512ELi2EL20rocsparse_direction_0E21rocsparse_complex_numIfEiiS3_S3_S3_EEv20rocsparse_operation_S4_16rocsparse_order_S5_T4_S6_S6_T3_NS_24const_host_device_scalarIT2_EEPKT5_lPKT6_lSA_PT7_PKS7_PKS6_21rocsparse_index_base_b.has_indirect_call, 0
	.section	.AMDGPU.csdata,"",@progbits
; Kernel info:
; codeLenInByte = 1204
; TotalNumSgprs: 34
; NumVgprs: 32
; NumAgprs: 0
; TotalNumVgprs: 32
; ScratchSize: 0
; MemoryBound: 0
; FloatMode: 240
; IeeeMode: 1
; LDSByteSize: 4096 bytes/workgroup (compile time only)
; SGPRBlocks: 4
; VGPRBlocks: 3
; NumSGPRsForWavesPerEU: 34
; NumVGPRsForWavesPerEU: 32
; AccumOffset: 32
; Occupancy: 8
; WaveLimiterHint : 0
; COMPUTE_PGM_RSRC2:SCRATCH_EN: 0
; COMPUTE_PGM_RSRC2:USER_SGPR: 2
; COMPUTE_PGM_RSRC2:TRAP_HANDLER: 0
; COMPUTE_PGM_RSRC2:TGID_X_EN: 1
; COMPUTE_PGM_RSRC2:TGID_Y_EN: 0
; COMPUTE_PGM_RSRC2:TGID_Z_EN: 0
; COMPUTE_PGM_RSRC2:TIDIG_COMP_CNT: 0
; COMPUTE_PGM_RSRC3_GFX90A:ACCUM_OFFSET: 7
; COMPUTE_PGM_RSRC3_GFX90A:TG_SPLIT: 0
	.section	.text._ZN9rocsparseL16sddmm_csx_kernelILi512ELi1EL20rocsparse_direction_0E21rocsparse_complex_numIfEiiS3_S3_S3_EEv20rocsparse_operation_S4_16rocsparse_order_S5_T4_S6_S6_T3_NS_24const_host_device_scalarIT2_EEPKT5_lPKT6_lSA_PT7_PKS7_PKS6_21rocsparse_index_base_b,"axG",@progbits,_ZN9rocsparseL16sddmm_csx_kernelILi512ELi1EL20rocsparse_direction_0E21rocsparse_complex_numIfEiiS3_S3_S3_EEv20rocsparse_operation_S4_16rocsparse_order_S5_T4_S6_S6_T3_NS_24const_host_device_scalarIT2_EEPKT5_lPKT6_lSA_PT7_PKS7_PKS6_21rocsparse_index_base_b,comdat
	.globl	_ZN9rocsparseL16sddmm_csx_kernelILi512ELi1EL20rocsparse_direction_0E21rocsparse_complex_numIfEiiS3_S3_S3_EEv20rocsparse_operation_S4_16rocsparse_order_S5_T4_S6_S6_T3_NS_24const_host_device_scalarIT2_EEPKT5_lPKT6_lSA_PT7_PKS7_PKS6_21rocsparse_index_base_b ; -- Begin function _ZN9rocsparseL16sddmm_csx_kernelILi512ELi1EL20rocsparse_direction_0E21rocsparse_complex_numIfEiiS3_S3_S3_EEv20rocsparse_operation_S4_16rocsparse_order_S5_T4_S6_S6_T3_NS_24const_host_device_scalarIT2_EEPKT5_lPKT6_lSA_PT7_PKS7_PKS6_21rocsparse_index_base_b
	.p2align	8
	.type	_ZN9rocsparseL16sddmm_csx_kernelILi512ELi1EL20rocsparse_direction_0E21rocsparse_complex_numIfEiiS3_S3_S3_EEv20rocsparse_operation_S4_16rocsparse_order_S5_T4_S6_S6_T3_NS_24const_host_device_scalarIT2_EEPKT5_lPKT6_lSA_PT7_PKS7_PKS6_21rocsparse_index_base_b,@function
_ZN9rocsparseL16sddmm_csx_kernelILi512ELi1EL20rocsparse_direction_0E21rocsparse_complex_numIfEiiS3_S3_S3_EEv20rocsparse_operation_S4_16rocsparse_order_S5_T4_S6_S6_T3_NS_24const_host_device_scalarIT2_EEPKT5_lPKT6_lSA_PT7_PKS7_PKS6_21rocsparse_index_base_b: ; @_ZN9rocsparseL16sddmm_csx_kernelILi512ELi1EL20rocsparse_direction_0E21rocsparse_complex_numIfEiiS3_S3_S3_EEv20rocsparse_operation_S4_16rocsparse_order_S5_T4_S6_S6_T3_NS_24const_host_device_scalarIT2_EEPKT5_lPKT6_lSA_PT7_PKS7_PKS6_21rocsparse_index_base_b
; %bb.0:
	s_load_dwordx2 s[4:5], s[0:1], 0x20
	s_load_dwordx4 s[8:11], s[0:1], 0x40
	s_load_dwordx2 s[12:13], s[0:1], 0x68
	s_add_u32 s3, s0, 32
	s_addc_u32 s6, s1, 0
	s_add_u32 s7, s0, 0x48
	s_addc_u32 s14, s1, 0
	s_waitcnt lgkmcnt(0)
	s_bitcmp1_b32 s13, 0
	s_cselect_b32 s5, s6, s5
	s_cselect_b32 s3, s3, s4
	v_mov_b32_e32 v2, s3
	v_mov_b32_e32 v3, s5
	flat_load_dwordx2 v[2:3], v[2:3]
	s_cselect_b32 s3, s14, s11
	s_cselect_b32 s4, s7, s10
	v_mov_b32_e32 v4, s4
	v_mov_b32_e32 v5, s3
	flat_load_dwordx2 v[4:5], v[4:5]
	s_brev_b32 s3, -2
	s_mov_b64 s[4:5], -1
	s_waitcnt vmcnt(0) lgkmcnt(0)
	v_bitop3_b32 v1, v2, s3, v3 bitop3:0xc8
	v_cmp_eq_u32_e32 vcc, 0, v1
	s_and_saveexec_b64 s[6:7], vcc
; %bb.1:
	v_cmp_neq_f32_e32 vcc, 1.0, v4
	v_cmp_neq_f32_e64 s[4:5], 0, v5
	s_or_b64 s[4:5], vcc, s[4:5]
	s_orn2_b64 s[4:5], s[4:5], exec
; %bb.2:
	s_or_b64 exec, exec, s[6:7]
	s_and_saveexec_b64 s[6:7], s[4:5]
	s_cbranch_execz .LBB59_26
; %bb.3:
	s_load_dword s3, s[0:1], 0x10
	v_lshl_or_b32 v6, s2, 9, v0
	s_waitcnt lgkmcnt(0)
	v_cmp_gt_i32_e32 vcc, s3, v6
	s_and_b64 exec, exec, vcc
	s_cbranch_execz .LBB59_26
; %bb.4:
	s_load_dwordx4 s[4:7], s[0:1], 0x0
	s_load_dwordx2 s[10:11], s[0:1], 0x58
	s_load_dwordx2 s[2:3], s[0:1], 0x30
	v_ashrrev_i32_e32 v7, 31, v6
	s_waitcnt lgkmcnt(0)
	s_cmp_eq_u32 s6, 1
	s_cselect_b64 s[16:17], -1, 0
	s_cmpk_eq_i32 s4, 0x6f
	s_cselect_b64 s[18:19], -1, 0
	s_cmpk_lg_i32 s4, 0x6f
	s_cselect_b64 s[14:15], -1, 0
	s_cmp_lg_u32 s6, 1
	s_cbranch_scc0 .LBB59_8
; %bb.5:
	s_andn2_b64 vcc, exec, s[18:19]
	v_mov_b64_e32 v[10:11], v[6:7]
	s_cbranch_vccnz .LBB59_7
; %bb.6:
	v_mul_lo_u32 v1, s3, v6
	v_mul_lo_u32 v8, s2, v7
	v_mad_u64_u32 v[10:11], s[20:21], s2, v6, 0
	v_add3_u32 v11, v11, v8, v1
.LBB59_7:
	s_cbranch_execz .LBB59_9
	s_branch .LBB59_11
.LBB59_8:
                                        ; implicit-def: $vgpr10_vgpr11
.LBB59_9:
	s_andn2_b64 vcc, exec, s[14:15]
	v_mov_b64_e32 v[10:11], v[6:7]
	s_cbranch_vccnz .LBB59_11
; %bb.10:
	v_mul_lo_u32 v1, s3, v6
	v_mul_lo_u32 v8, s2, v7
	v_mad_u64_u32 v[10:11], s[14:15], s2, v6, 0
	v_add3_u32 v11, v11, v8, v1
.LBB59_11:
	v_lshl_add_u64 v[6:7], v[6:7], 2, s[10:11]
	global_load_dwordx2 v[8:9], v[6:7], off
	s_waitcnt vmcnt(0)
	v_cmp_lt_i32_e32 vcc, v8, v9
	s_and_b64 exec, exec, vcc
	s_cbranch_execz .LBB59_26
; %bb.12:
	s_load_dwordx2 s[20:21], s[0:1], 0x28
	s_load_dwordx2 s[10:11], s[0:1], 0x60
	;; [unrolled: 1-line block ×4, first 2 shown]
	s_load_dword s13, s[0:1], 0x18
	s_xor_b64 s[0:1], s[18:19], s[16:17]
	s_and_b64 s[0:1], s[0:1], exec
	s_cselect_b32 s1, 0, s3
	s_cselect_b32 s0, 1, s2
	s_cmp_lg_u32 s7, 1
	s_cselect_b64 s[16:17], -1, 0
	s_cmp_eq_u32 s7, 1
	s_cselect_b64 s[2:3], -1, 0
	s_cmpk_eq_i32 s5, 0x6f
	s_cselect_b64 s[6:7], -1, 0
	s_cmpk_lg_i32 s5, 0x6f
	s_cselect_b64 s[4:5], -1, 0
	s_xor_b64 s[2:3], s[6:7], s[2:3]
	s_and_b64 s[2:3], s[2:3], exec
	s_cselect_b32 s3, s9, 0
	s_cselect_b32 s2, s8, 1
	s_waitcnt lgkmcnt(0)
	s_cmp_gt_i32 s13, 0
	v_cndmask_b32_e64 v12, 0, 1, s[6:7]
	s_cselect_b64 s[24:25], -1, 0
	v_subrev_u32_e32 v19, s12, v9
	s_lshl_b64 s[6:7], s[0:1], 3
	v_cndmask_b32_e64 v9, 0, 1, s[4:5]
	s_add_u32 s18, s22, 4
	v_cmp_ne_u32_e64 s[0:1], 1, v9
	v_cndmask_b32_e64 v9, 0, 1, s[24:25]
	v_lshl_add_u64 v[6:7], v[10:11], 3, s[20:21]
	v_subrev_u32_e32 v8, s12, v8
	v_lshlrev_b32_e32 v18, 3, v0
	v_xor_b32_e32 v0, 0x80000000, v3
	v_mov_b32_e32 v1, v2
	v_mov_b32_e32 v10, v4
	;; [unrolled: 1-line block ×4, first 2 shown]
	s_addc_u32 s19, s23, 0
	s_lshl_b64 s[20:21], s[2:3], 3
	s_mov_b64 s[22:23], 0
	v_cmp_ne_u32_e64 s[2:3], 1, v12
	v_cmp_ne_u32_e64 s[4:5], 1, v9
	s_branch .LBB59_15
.LBB59_13:                              ;   in Loop: Header=BB59_15 Depth=1
	v_mov_b32_e32 v13, 0
	v_mov_b32_e32 v12, v13
.LBB59_14:                              ;   in Loop: Header=BB59_15 Depth=1
	ds_write_b64 v18, v[12:13]
	v_lshl_add_u64 v[12:13], v[8:9], 3, s[14:15]
	s_waitcnt lgkmcnt(0)
	s_barrier
	global_load_dwordx2 v[14:15], v[12:13], off
	ds_read_b64 v[16:17], v18
	v_add_u32_e32 v8, 1, v8
	v_cmp_ge_i32_e32 vcc, v8, v19
	s_or_b64 s[22:23], vcc, s[22:23]
	s_waitcnt lgkmcnt(0)
	v_pk_mul_f32 v[20:21], v[16:17], v[0:1] op_sel:[1,0]
	s_nop 0
	v_pk_fma_f32 v[16:17], v[2:3], v[16:17], v[20:21] op_sel_hi:[1,0,1]
	s_waitcnt vmcnt(0)
	v_pk_mul_f32 v[20:21], v[4:5], v[14:15] op_sel:[0,1] op_sel_hi:[1,0] neg_lo:[0,1]
	s_nop 0
	v_pk_fma_f32 v[14:15], v[14:15], v[10:11], v[20:21]
	s_nop 0
	v_pk_add_f32 v[14:15], v[16:17], v[14:15]
	global_store_dwordx2 v[12:13], v[14:15], off
	s_andn2_b64 exec, exec, s[22:23]
	s_cbranch_execz .LBB59_26
.LBB59_15:                              ; =>This Loop Header: Depth=1
                                        ;     Child Loop BB59_25 Depth 2
	v_ashrrev_i32_e32 v9, 31, v8
	v_lshl_add_u64 v[12:13], v[8:9], 2, s[10:11]
	global_load_dword v12, v[12:13], off
	s_mov_b64 s[24:25], -1
	s_and_b64 vcc, exec, s[16:17]
                                        ; implicit-def: $vgpr14_vgpr15
	s_waitcnt vmcnt(0)
	v_subrev_u32_e32 v12, s12, v12
	v_ashrrev_i32_e32 v13, 31, v12
	s_cbranch_vccnz .LBB59_18
; %bb.16:                               ;   in Loop: Header=BB59_15 Depth=1
	s_andn2_b64 vcc, exec, s[24:25]
	s_cbranch_vccz .LBB59_21
.LBB59_17:                              ;   in Loop: Header=BB59_15 Depth=1
	s_and_b64 vcc, exec, s[4:5]
	s_cbranch_vccz .LBB59_24
	s_branch .LBB59_13
.LBB59_18:                              ;   in Loop: Header=BB59_15 Depth=1
	s_and_b64 vcc, exec, s[0:1]
	v_mov_b64_e32 v[14:15], v[12:13]
	s_cbranch_vccnz .LBB59_20
; %bb.19:                               ;   in Loop: Header=BB59_15 Depth=1
	v_mul_lo_u32 v16, s9, v12
	v_mul_lo_u32 v17, s8, v13
	v_mad_u64_u32 v[14:15], s[24:25], s8, v12, 0
	v_add3_u32 v15, v15, v17, v16
.LBB59_20:                              ;   in Loop: Header=BB59_15 Depth=1
	s_cbranch_execnz .LBB59_17
.LBB59_21:                              ;   in Loop: Header=BB59_15 Depth=1
	s_and_b64 vcc, exec, s[2:3]
	s_cbranch_vccnz .LBB59_23
; %bb.22:                               ;   in Loop: Header=BB59_15 Depth=1
	v_mul_lo_u32 v14, s9, v12
	v_mul_lo_u32 v15, s8, v13
	v_mad_u64_u32 v[12:13], s[24:25], s8, v12, 0
	v_add3_u32 v13, v13, v15, v14
.LBB59_23:                              ;   in Loop: Header=BB59_15 Depth=1
	v_mov_b64_e32 v[14:15], v[12:13]
	s_and_b64 vcc, exec, s[4:5]
	s_cbranch_vccnz .LBB59_13
.LBB59_24:                              ;   in Loop: Header=BB59_15 Depth=1
	v_mov_b32_e32 v12, 0
	v_lshl_add_u64 v[14:15], v[14:15], 3, s[18:19]
	v_mov_b64_e32 v[16:17], v[6:7]
	s_mov_b32 s24, s13
	v_mov_b32_e32 v13, v12
.LBB59_25:                              ;   Parent Loop BB59_15 Depth=1
                                        ; =>  This Inner Loop Header: Depth=2
	global_load_dwordx2 v[20:21], v[16:17], off
	global_load_dwordx2 v[22:23], v[14:15], off offset:-4
	s_add_i32 s24, s24, -1
	v_lshl_add_u64 v[16:17], v[16:17], 0, s[6:7]
	v_lshl_add_u64 v[14:15], v[14:15], 0, s[20:21]
	s_cmp_eq_u32 s24, 0
	s_waitcnt vmcnt(1)
	v_xor_b32_e32 v24, 0x80000000, v21
	v_mov_b32_e32 v25, v20
	s_waitcnt vmcnt(0)
	v_pk_mul_f32 v[24:25], v[22:23], v[24:25] op_sel:[1,0]
	s_nop 0
	v_pk_fma_f32 v[20:21], v[20:21], v[22:23], v[24:25] op_sel_hi:[1,0,1]
	s_nop 0
	v_pk_add_f32 v[12:13], v[12:13], v[20:21]
	s_cbranch_scc0 .LBB59_25
	s_branch .LBB59_14
.LBB59_26:
	s_endpgm
	.section	.rodata,"a",@progbits
	.p2align	6, 0x0
	.amdhsa_kernel _ZN9rocsparseL16sddmm_csx_kernelILi512ELi1EL20rocsparse_direction_0E21rocsparse_complex_numIfEiiS3_S3_S3_EEv20rocsparse_operation_S4_16rocsparse_order_S5_T4_S6_S6_T3_NS_24const_host_device_scalarIT2_EEPKT5_lPKT6_lSA_PT7_PKS7_PKS6_21rocsparse_index_base_b
		.amdhsa_group_segment_fixed_size 4096
		.amdhsa_private_segment_fixed_size 0
		.amdhsa_kernarg_size 112
		.amdhsa_user_sgpr_count 2
		.amdhsa_user_sgpr_dispatch_ptr 0
		.amdhsa_user_sgpr_queue_ptr 0
		.amdhsa_user_sgpr_kernarg_segment_ptr 1
		.amdhsa_user_sgpr_dispatch_id 0
		.amdhsa_user_sgpr_kernarg_preload_length 0
		.amdhsa_user_sgpr_kernarg_preload_offset 0
		.amdhsa_user_sgpr_private_segment_size 0
		.amdhsa_uses_dynamic_stack 0
		.amdhsa_enable_private_segment 0
		.amdhsa_system_sgpr_workgroup_id_x 1
		.amdhsa_system_sgpr_workgroup_id_y 0
		.amdhsa_system_sgpr_workgroup_id_z 0
		.amdhsa_system_sgpr_workgroup_info 0
		.amdhsa_system_vgpr_workitem_id 0
		.amdhsa_next_free_vgpr 26
		.amdhsa_next_free_sgpr 26
		.amdhsa_accum_offset 28
		.amdhsa_reserve_vcc 1
		.amdhsa_float_round_mode_32 0
		.amdhsa_float_round_mode_16_64 0
		.amdhsa_float_denorm_mode_32 3
		.amdhsa_float_denorm_mode_16_64 3
		.amdhsa_dx10_clamp 1
		.amdhsa_ieee_mode 1
		.amdhsa_fp16_overflow 0
		.amdhsa_tg_split 0
		.amdhsa_exception_fp_ieee_invalid_op 0
		.amdhsa_exception_fp_denorm_src 0
		.amdhsa_exception_fp_ieee_div_zero 0
		.amdhsa_exception_fp_ieee_overflow 0
		.amdhsa_exception_fp_ieee_underflow 0
		.amdhsa_exception_fp_ieee_inexact 0
		.amdhsa_exception_int_div_zero 0
	.end_amdhsa_kernel
	.section	.text._ZN9rocsparseL16sddmm_csx_kernelILi512ELi1EL20rocsparse_direction_0E21rocsparse_complex_numIfEiiS3_S3_S3_EEv20rocsparse_operation_S4_16rocsparse_order_S5_T4_S6_S6_T3_NS_24const_host_device_scalarIT2_EEPKT5_lPKT6_lSA_PT7_PKS7_PKS6_21rocsparse_index_base_b,"axG",@progbits,_ZN9rocsparseL16sddmm_csx_kernelILi512ELi1EL20rocsparse_direction_0E21rocsparse_complex_numIfEiiS3_S3_S3_EEv20rocsparse_operation_S4_16rocsparse_order_S5_T4_S6_S6_T3_NS_24const_host_device_scalarIT2_EEPKT5_lPKT6_lSA_PT7_PKS7_PKS6_21rocsparse_index_base_b,comdat
.Lfunc_end59:
	.size	_ZN9rocsparseL16sddmm_csx_kernelILi512ELi1EL20rocsparse_direction_0E21rocsparse_complex_numIfEiiS3_S3_S3_EEv20rocsparse_operation_S4_16rocsparse_order_S5_T4_S6_S6_T3_NS_24const_host_device_scalarIT2_EEPKT5_lPKT6_lSA_PT7_PKS7_PKS6_21rocsparse_index_base_b, .Lfunc_end59-_ZN9rocsparseL16sddmm_csx_kernelILi512ELi1EL20rocsparse_direction_0E21rocsparse_complex_numIfEiiS3_S3_S3_EEv20rocsparse_operation_S4_16rocsparse_order_S5_T4_S6_S6_T3_NS_24const_host_device_scalarIT2_EEPKT5_lPKT6_lSA_PT7_PKS7_PKS6_21rocsparse_index_base_b
                                        ; -- End function
	.set _ZN9rocsparseL16sddmm_csx_kernelILi512ELi1EL20rocsparse_direction_0E21rocsparse_complex_numIfEiiS3_S3_S3_EEv20rocsparse_operation_S4_16rocsparse_order_S5_T4_S6_S6_T3_NS_24const_host_device_scalarIT2_EEPKT5_lPKT6_lSA_PT7_PKS7_PKS6_21rocsparse_index_base_b.num_vgpr, 26
	.set _ZN9rocsparseL16sddmm_csx_kernelILi512ELi1EL20rocsparse_direction_0E21rocsparse_complex_numIfEiiS3_S3_S3_EEv20rocsparse_operation_S4_16rocsparse_order_S5_T4_S6_S6_T3_NS_24const_host_device_scalarIT2_EEPKT5_lPKT6_lSA_PT7_PKS7_PKS6_21rocsparse_index_base_b.num_agpr, 0
	.set _ZN9rocsparseL16sddmm_csx_kernelILi512ELi1EL20rocsparse_direction_0E21rocsparse_complex_numIfEiiS3_S3_S3_EEv20rocsparse_operation_S4_16rocsparse_order_S5_T4_S6_S6_T3_NS_24const_host_device_scalarIT2_EEPKT5_lPKT6_lSA_PT7_PKS7_PKS6_21rocsparse_index_base_b.numbered_sgpr, 26
	.set _ZN9rocsparseL16sddmm_csx_kernelILi512ELi1EL20rocsparse_direction_0E21rocsparse_complex_numIfEiiS3_S3_S3_EEv20rocsparse_operation_S4_16rocsparse_order_S5_T4_S6_S6_T3_NS_24const_host_device_scalarIT2_EEPKT5_lPKT6_lSA_PT7_PKS7_PKS6_21rocsparse_index_base_b.num_named_barrier, 0
	.set _ZN9rocsparseL16sddmm_csx_kernelILi512ELi1EL20rocsparse_direction_0E21rocsparse_complex_numIfEiiS3_S3_S3_EEv20rocsparse_operation_S4_16rocsparse_order_S5_T4_S6_S6_T3_NS_24const_host_device_scalarIT2_EEPKT5_lPKT6_lSA_PT7_PKS7_PKS6_21rocsparse_index_base_b.private_seg_size, 0
	.set _ZN9rocsparseL16sddmm_csx_kernelILi512ELi1EL20rocsparse_direction_0E21rocsparse_complex_numIfEiiS3_S3_S3_EEv20rocsparse_operation_S4_16rocsparse_order_S5_T4_S6_S6_T3_NS_24const_host_device_scalarIT2_EEPKT5_lPKT6_lSA_PT7_PKS7_PKS6_21rocsparse_index_base_b.uses_vcc, 1
	.set _ZN9rocsparseL16sddmm_csx_kernelILi512ELi1EL20rocsparse_direction_0E21rocsparse_complex_numIfEiiS3_S3_S3_EEv20rocsparse_operation_S4_16rocsparse_order_S5_T4_S6_S6_T3_NS_24const_host_device_scalarIT2_EEPKT5_lPKT6_lSA_PT7_PKS7_PKS6_21rocsparse_index_base_b.uses_flat_scratch, 0
	.set _ZN9rocsparseL16sddmm_csx_kernelILi512ELi1EL20rocsparse_direction_0E21rocsparse_complex_numIfEiiS3_S3_S3_EEv20rocsparse_operation_S4_16rocsparse_order_S5_T4_S6_S6_T3_NS_24const_host_device_scalarIT2_EEPKT5_lPKT6_lSA_PT7_PKS7_PKS6_21rocsparse_index_base_b.has_dyn_sized_stack, 0
	.set _ZN9rocsparseL16sddmm_csx_kernelILi512ELi1EL20rocsparse_direction_0E21rocsparse_complex_numIfEiiS3_S3_S3_EEv20rocsparse_operation_S4_16rocsparse_order_S5_T4_S6_S6_T3_NS_24const_host_device_scalarIT2_EEPKT5_lPKT6_lSA_PT7_PKS7_PKS6_21rocsparse_index_base_b.has_recursion, 0
	.set _ZN9rocsparseL16sddmm_csx_kernelILi512ELi1EL20rocsparse_direction_0E21rocsparse_complex_numIfEiiS3_S3_S3_EEv20rocsparse_operation_S4_16rocsparse_order_S5_T4_S6_S6_T3_NS_24const_host_device_scalarIT2_EEPKT5_lPKT6_lSA_PT7_PKS7_PKS6_21rocsparse_index_base_b.has_indirect_call, 0
	.section	.AMDGPU.csdata,"",@progbits
; Kernel info:
; codeLenInByte = 1044
; TotalNumSgprs: 32
; NumVgprs: 26
; NumAgprs: 0
; TotalNumVgprs: 26
; ScratchSize: 0
; MemoryBound: 0
; FloatMode: 240
; IeeeMode: 1
; LDSByteSize: 4096 bytes/workgroup (compile time only)
; SGPRBlocks: 3
; VGPRBlocks: 3
; NumSGPRsForWavesPerEU: 32
; NumVGPRsForWavesPerEU: 26
; AccumOffset: 28
; Occupancy: 8
; WaveLimiterHint : 0
; COMPUTE_PGM_RSRC2:SCRATCH_EN: 0
; COMPUTE_PGM_RSRC2:USER_SGPR: 2
; COMPUTE_PGM_RSRC2:TRAP_HANDLER: 0
; COMPUTE_PGM_RSRC2:TGID_X_EN: 1
; COMPUTE_PGM_RSRC2:TGID_Y_EN: 0
; COMPUTE_PGM_RSRC2:TGID_Z_EN: 0
; COMPUTE_PGM_RSRC2:TIDIG_COMP_CNT: 0
; COMPUTE_PGM_RSRC3_GFX90A:ACCUM_OFFSET: 6
; COMPUTE_PGM_RSRC3_GFX90A:TG_SPLIT: 0
	.section	.text._ZN9rocsparseL16csr2dense_kernelILi16ELi32Eii21rocsparse_complex_numIdEEEviT2_S3_PKT3_PKT1_PKS3_PS4_l16rocsparse_order_,"axG",@progbits,_ZN9rocsparseL16csr2dense_kernelILi16ELi32Eii21rocsparse_complex_numIdEEEviT2_S3_PKT3_PKT1_PKS3_PS4_l16rocsparse_order_,comdat
	.globl	_ZN9rocsparseL16csr2dense_kernelILi16ELi32Eii21rocsparse_complex_numIdEEEviT2_S3_PKT3_PKT1_PKS3_PS4_l16rocsparse_order_ ; -- Begin function _ZN9rocsparseL16csr2dense_kernelILi16ELi32Eii21rocsparse_complex_numIdEEEviT2_S3_PKT3_PKT1_PKS3_PS4_l16rocsparse_order_
	.p2align	8
	.type	_ZN9rocsparseL16csr2dense_kernelILi16ELi32Eii21rocsparse_complex_numIdEEEviT2_S3_PKT3_PKT1_PKS3_PS4_l16rocsparse_order_,@function
_ZN9rocsparseL16csr2dense_kernelILi16ELi32Eii21rocsparse_complex_numIdEEEviT2_S3_PKT3_PKT1_PKS3_PS4_l16rocsparse_order_: ; @_ZN9rocsparseL16csr2dense_kernelILi16ELi32Eii21rocsparse_complex_numIdEEEviT2_S3_PKT3_PKT1_PKS3_PS4_l16rocsparse_order_
; %bb.0:
	s_load_dwordx2 s[8:9], s[0:1], 0x0
	v_lshrrev_b32_e32 v1, 5, v0
	v_lshl_or_b32 v2, s2, 4, v1
	s_waitcnt lgkmcnt(0)
	v_cmp_gt_i32_e32 vcc, s9, v2
	s_and_saveexec_b64 s[2:3], vcc
	s_cbranch_execz .LBB60_8
; %bb.1:
	s_load_dwordx2 s[2:3], s[0:1], 0x18
	v_ashrrev_i32_e32 v3, 31, v2
	v_and_b32_e32 v10, 31, v0
	s_waitcnt lgkmcnt(0)
	v_lshl_add_u64 v[4:5], v[2:3], 2, s[2:3]
	global_load_dwordx2 v[4:5], v[4:5], off
	s_waitcnt vmcnt(0)
	v_sub_u32_e32 v11, v5, v4
	v_cmp_lt_i32_e32 vcc, v10, v11
	s_and_b64 exec, exec, vcc
	s_cbranch_execz .LBB60_8
; %bb.2:
	s_load_dwordx4 s[4:7], s[0:1], 0x20
	s_load_dword s9, s[0:1], 0x38
	s_load_dwordx2 s[2:3], s[0:1], 0x10
	s_load_dwordx2 s[10:11], s[0:1], 0x30
	v_subrev_u32_e32 v12, s8, v4
	s_waitcnt lgkmcnt(0)
	v_lshl_add_u64 v[0:1], v[2:3], 4, s[6:7]
	s_cmp_lg_u32 s9, 1
	s_cselect_b64 s[0:1], -1, 0
	v_mul_lo_u32 v4, s11, v2
	v_mul_lo_u32 v5, s10, v3
	v_mad_u64_u32 v[2:3], s[12:13], s10, v2, 0
	v_add3_u32 v3, v3, v5, v4
	v_lshl_add_u64 v[2:3], v[2:3], 4, s[6:7]
	s_mov_b64 s[6:7], 0
	s_branch .LBB60_4
.LBB60_3:                               ;   in Loop: Header=BB60_4 Depth=1
	v_lshl_add_u64 v[4:5], v[4:5], 4, s[2:3]
	global_load_dwordx4 v[14:17], v[4:5], off
	v_add_u32_e32 v10, 32, v10
	v_cmp_ge_i32_e32 vcc, v10, v11
	s_or_b64 s[6:7], vcc, s[6:7]
	s_waitcnt vmcnt(0)
	global_store_dwordx4 v[6:7], v[14:17], off
	s_andn2_b64 exec, exec, s[6:7]
	s_cbranch_execz .LBB60_8
.LBB60_4:                               ; =>This Inner Loop Header: Depth=1
	v_add_u32_e32 v4, v12, v10
	v_ashrrev_i32_e32 v5, 31, v4
	v_lshl_add_u64 v[6:7], v[4:5], 2, s[4:5]
	s_barrier
	global_load_dword v8, v[6:7], off
	s_mov_b64 s[12:13], -1
	s_and_b64 vcc, exec, s[0:1]
                                        ; implicit-def: $vgpr6_vgpr7
	s_waitcnt vmcnt(0)
	v_subrev_u32_e32 v8, s8, v8
	v_ashrrev_i32_e32 v9, 31, v8
	s_cbranch_vccz .LBB60_6
; %bb.5:                                ;   in Loop: Header=BB60_4 Depth=1
	v_lshl_add_u64 v[6:7], v[8:9], 4, v[2:3]
	s_mov_b64 s[12:13], 0
.LBB60_6:                               ;   in Loop: Header=BB60_4 Depth=1
	s_andn2_b64 vcc, exec, s[12:13]
	s_cbranch_vccnz .LBB60_3
; %bb.7:                                ;   in Loop: Header=BB60_4 Depth=1
	v_mul_lo_u32 v13, s11, v8
	v_mul_lo_u32 v9, s10, v9
	v_mad_u64_u32 v[6:7], s[12:13], s10, v8, 0
	v_add3_u32 v7, v7, v9, v13
	v_lshl_add_u64 v[6:7], v[6:7], 4, v[0:1]
	s_branch .LBB60_3
.LBB60_8:
	s_endpgm
	.section	.rodata,"a",@progbits
	.p2align	6, 0x0
	.amdhsa_kernel _ZN9rocsparseL16csr2dense_kernelILi16ELi32Eii21rocsparse_complex_numIdEEEviT2_S3_PKT3_PKT1_PKS3_PS4_l16rocsparse_order_
		.amdhsa_group_segment_fixed_size 0
		.amdhsa_private_segment_fixed_size 0
		.amdhsa_kernarg_size 60
		.amdhsa_user_sgpr_count 2
		.amdhsa_user_sgpr_dispatch_ptr 0
		.amdhsa_user_sgpr_queue_ptr 0
		.amdhsa_user_sgpr_kernarg_segment_ptr 1
		.amdhsa_user_sgpr_dispatch_id 0
		.amdhsa_user_sgpr_kernarg_preload_length 0
		.amdhsa_user_sgpr_kernarg_preload_offset 0
		.amdhsa_user_sgpr_private_segment_size 0
		.amdhsa_uses_dynamic_stack 0
		.amdhsa_enable_private_segment 0
		.amdhsa_system_sgpr_workgroup_id_x 1
		.amdhsa_system_sgpr_workgroup_id_y 0
		.amdhsa_system_sgpr_workgroup_id_z 0
		.amdhsa_system_sgpr_workgroup_info 0
		.amdhsa_system_vgpr_workitem_id 0
		.amdhsa_next_free_vgpr 18
		.amdhsa_next_free_sgpr 14
		.amdhsa_accum_offset 20
		.amdhsa_reserve_vcc 1
		.amdhsa_float_round_mode_32 0
		.amdhsa_float_round_mode_16_64 0
		.amdhsa_float_denorm_mode_32 3
		.amdhsa_float_denorm_mode_16_64 3
		.amdhsa_dx10_clamp 1
		.amdhsa_ieee_mode 1
		.amdhsa_fp16_overflow 0
		.amdhsa_tg_split 0
		.amdhsa_exception_fp_ieee_invalid_op 0
		.amdhsa_exception_fp_denorm_src 0
		.amdhsa_exception_fp_ieee_div_zero 0
		.amdhsa_exception_fp_ieee_overflow 0
		.amdhsa_exception_fp_ieee_underflow 0
		.amdhsa_exception_fp_ieee_inexact 0
		.amdhsa_exception_int_div_zero 0
	.end_amdhsa_kernel
	.section	.text._ZN9rocsparseL16csr2dense_kernelILi16ELi32Eii21rocsparse_complex_numIdEEEviT2_S3_PKT3_PKT1_PKS3_PS4_l16rocsparse_order_,"axG",@progbits,_ZN9rocsparseL16csr2dense_kernelILi16ELi32Eii21rocsparse_complex_numIdEEEviT2_S3_PKT3_PKT1_PKS3_PS4_l16rocsparse_order_,comdat
.Lfunc_end60:
	.size	_ZN9rocsparseL16csr2dense_kernelILi16ELi32Eii21rocsparse_complex_numIdEEEviT2_S3_PKT3_PKT1_PKS3_PS4_l16rocsparse_order_, .Lfunc_end60-_ZN9rocsparseL16csr2dense_kernelILi16ELi32Eii21rocsparse_complex_numIdEEEviT2_S3_PKT3_PKT1_PKS3_PS4_l16rocsparse_order_
                                        ; -- End function
	.set _ZN9rocsparseL16csr2dense_kernelILi16ELi32Eii21rocsparse_complex_numIdEEEviT2_S3_PKT3_PKT1_PKS3_PS4_l16rocsparse_order_.num_vgpr, 18
	.set _ZN9rocsparseL16csr2dense_kernelILi16ELi32Eii21rocsparse_complex_numIdEEEviT2_S3_PKT3_PKT1_PKS3_PS4_l16rocsparse_order_.num_agpr, 0
	.set _ZN9rocsparseL16csr2dense_kernelILi16ELi32Eii21rocsparse_complex_numIdEEEviT2_S3_PKT3_PKT1_PKS3_PS4_l16rocsparse_order_.numbered_sgpr, 14
	.set _ZN9rocsparseL16csr2dense_kernelILi16ELi32Eii21rocsparse_complex_numIdEEEviT2_S3_PKT3_PKT1_PKS3_PS4_l16rocsparse_order_.num_named_barrier, 0
	.set _ZN9rocsparseL16csr2dense_kernelILi16ELi32Eii21rocsparse_complex_numIdEEEviT2_S3_PKT3_PKT1_PKS3_PS4_l16rocsparse_order_.private_seg_size, 0
	.set _ZN9rocsparseL16csr2dense_kernelILi16ELi32Eii21rocsparse_complex_numIdEEEviT2_S3_PKT3_PKT1_PKS3_PS4_l16rocsparse_order_.uses_vcc, 1
	.set _ZN9rocsparseL16csr2dense_kernelILi16ELi32Eii21rocsparse_complex_numIdEEEviT2_S3_PKT3_PKT1_PKS3_PS4_l16rocsparse_order_.uses_flat_scratch, 0
	.set _ZN9rocsparseL16csr2dense_kernelILi16ELi32Eii21rocsparse_complex_numIdEEEviT2_S3_PKT3_PKT1_PKS3_PS4_l16rocsparse_order_.has_dyn_sized_stack, 0
	.set _ZN9rocsparseL16csr2dense_kernelILi16ELi32Eii21rocsparse_complex_numIdEEEviT2_S3_PKT3_PKT1_PKS3_PS4_l16rocsparse_order_.has_recursion, 0
	.set _ZN9rocsparseL16csr2dense_kernelILi16ELi32Eii21rocsparse_complex_numIdEEEviT2_S3_PKT3_PKT1_PKS3_PS4_l16rocsparse_order_.has_indirect_call, 0
	.section	.AMDGPU.csdata,"",@progbits
; Kernel info:
; codeLenInByte = 364
; TotalNumSgprs: 20
; NumVgprs: 18
; NumAgprs: 0
; TotalNumVgprs: 18
; ScratchSize: 0
; MemoryBound: 0
; FloatMode: 240
; IeeeMode: 1
; LDSByteSize: 0 bytes/workgroup (compile time only)
; SGPRBlocks: 2
; VGPRBlocks: 2
; NumSGPRsForWavesPerEU: 20
; NumVGPRsForWavesPerEU: 18
; AccumOffset: 20
; Occupancy: 8
; WaveLimiterHint : 1
; COMPUTE_PGM_RSRC2:SCRATCH_EN: 0
; COMPUTE_PGM_RSRC2:USER_SGPR: 2
; COMPUTE_PGM_RSRC2:TRAP_HANDLER: 0
; COMPUTE_PGM_RSRC2:TGID_X_EN: 1
; COMPUTE_PGM_RSRC2:TGID_Y_EN: 0
; COMPUTE_PGM_RSRC2:TGID_Z_EN: 0
; COMPUTE_PGM_RSRC2:TIDIG_COMP_CNT: 0
; COMPUTE_PGM_RSRC3_GFX90A:ACCUM_OFFSET: 4
; COMPUTE_PGM_RSRC3_GFX90A:TG_SPLIT: 0
	.section	.text._ZN9rocsparseL16csr2dense_kernelILi16ELi64Eii21rocsparse_complex_numIdEEEviT2_S3_PKT3_PKT1_PKS3_PS4_l16rocsparse_order_,"axG",@progbits,_ZN9rocsparseL16csr2dense_kernelILi16ELi64Eii21rocsparse_complex_numIdEEEviT2_S3_PKT3_PKT1_PKS3_PS4_l16rocsparse_order_,comdat
	.globl	_ZN9rocsparseL16csr2dense_kernelILi16ELi64Eii21rocsparse_complex_numIdEEEviT2_S3_PKT3_PKT1_PKS3_PS4_l16rocsparse_order_ ; -- Begin function _ZN9rocsparseL16csr2dense_kernelILi16ELi64Eii21rocsparse_complex_numIdEEEviT2_S3_PKT3_PKT1_PKS3_PS4_l16rocsparse_order_
	.p2align	8
	.type	_ZN9rocsparseL16csr2dense_kernelILi16ELi64Eii21rocsparse_complex_numIdEEEviT2_S3_PKT3_PKT1_PKS3_PS4_l16rocsparse_order_,@function
_ZN9rocsparseL16csr2dense_kernelILi16ELi64Eii21rocsparse_complex_numIdEEEviT2_S3_PKT3_PKT1_PKS3_PS4_l16rocsparse_order_: ; @_ZN9rocsparseL16csr2dense_kernelILi16ELi64Eii21rocsparse_complex_numIdEEEviT2_S3_PKT3_PKT1_PKS3_PS4_l16rocsparse_order_
; %bb.0:
	s_load_dwordx2 s[8:9], s[0:1], 0x0
	v_lshrrev_b32_e32 v1, 6, v0
	v_lshl_or_b32 v2, s2, 4, v1
	s_waitcnt lgkmcnt(0)
	v_cmp_gt_i32_e32 vcc, s9, v2
	s_and_saveexec_b64 s[2:3], vcc
	s_cbranch_execz .LBB61_8
; %bb.1:
	s_load_dwordx2 s[2:3], s[0:1], 0x18
	v_ashrrev_i32_e32 v3, 31, v2
	v_and_b32_e32 v10, 63, v0
	s_waitcnt lgkmcnt(0)
	v_lshl_add_u64 v[4:5], v[2:3], 2, s[2:3]
	global_load_dwordx2 v[4:5], v[4:5], off
	s_waitcnt vmcnt(0)
	v_sub_u32_e32 v11, v5, v4
	v_cmp_lt_i32_e32 vcc, v10, v11
	s_and_b64 exec, exec, vcc
	s_cbranch_execz .LBB61_8
; %bb.2:
	s_load_dwordx4 s[4:7], s[0:1], 0x20
	s_load_dword s9, s[0:1], 0x38
	s_load_dwordx2 s[2:3], s[0:1], 0x10
	s_load_dwordx2 s[10:11], s[0:1], 0x30
	v_subrev_u32_e32 v12, s8, v4
	s_waitcnt lgkmcnt(0)
	v_lshl_add_u64 v[0:1], v[2:3], 4, s[6:7]
	s_cmp_lg_u32 s9, 1
	s_cselect_b64 s[0:1], -1, 0
	v_mul_lo_u32 v4, s11, v2
	v_mul_lo_u32 v5, s10, v3
	v_mad_u64_u32 v[2:3], s[12:13], s10, v2, 0
	v_add3_u32 v3, v3, v5, v4
	v_lshl_add_u64 v[2:3], v[2:3], 4, s[6:7]
	s_mov_b64 s[6:7], 0
	s_branch .LBB61_4
.LBB61_3:                               ;   in Loop: Header=BB61_4 Depth=1
	v_lshl_add_u64 v[4:5], v[4:5], 4, s[2:3]
	global_load_dwordx4 v[14:17], v[4:5], off
	v_add_u32_e32 v10, 64, v10
	v_cmp_ge_i32_e32 vcc, v10, v11
	s_or_b64 s[6:7], vcc, s[6:7]
	s_waitcnt vmcnt(0)
	global_store_dwordx4 v[6:7], v[14:17], off
	s_andn2_b64 exec, exec, s[6:7]
	s_cbranch_execz .LBB61_8
.LBB61_4:                               ; =>This Inner Loop Header: Depth=1
	v_add_u32_e32 v4, v12, v10
	v_ashrrev_i32_e32 v5, 31, v4
	v_lshl_add_u64 v[6:7], v[4:5], 2, s[4:5]
	s_barrier
	global_load_dword v8, v[6:7], off
	s_mov_b64 s[12:13], -1
	s_and_b64 vcc, exec, s[0:1]
                                        ; implicit-def: $vgpr6_vgpr7
	s_waitcnt vmcnt(0)
	v_subrev_u32_e32 v8, s8, v8
	v_ashrrev_i32_e32 v9, 31, v8
	s_cbranch_vccz .LBB61_6
; %bb.5:                                ;   in Loop: Header=BB61_4 Depth=1
	v_lshl_add_u64 v[6:7], v[8:9], 4, v[2:3]
	s_mov_b64 s[12:13], 0
.LBB61_6:                               ;   in Loop: Header=BB61_4 Depth=1
	s_andn2_b64 vcc, exec, s[12:13]
	s_cbranch_vccnz .LBB61_3
; %bb.7:                                ;   in Loop: Header=BB61_4 Depth=1
	v_mul_lo_u32 v13, s11, v8
	v_mul_lo_u32 v9, s10, v9
	v_mad_u64_u32 v[6:7], s[12:13], s10, v8, 0
	v_add3_u32 v7, v7, v9, v13
	v_lshl_add_u64 v[6:7], v[6:7], 4, v[0:1]
	s_branch .LBB61_3
.LBB61_8:
	s_endpgm
	.section	.rodata,"a",@progbits
	.p2align	6, 0x0
	.amdhsa_kernel _ZN9rocsparseL16csr2dense_kernelILi16ELi64Eii21rocsparse_complex_numIdEEEviT2_S3_PKT3_PKT1_PKS3_PS4_l16rocsparse_order_
		.amdhsa_group_segment_fixed_size 0
		.amdhsa_private_segment_fixed_size 0
		.amdhsa_kernarg_size 60
		.amdhsa_user_sgpr_count 2
		.amdhsa_user_sgpr_dispatch_ptr 0
		.amdhsa_user_sgpr_queue_ptr 0
		.amdhsa_user_sgpr_kernarg_segment_ptr 1
		.amdhsa_user_sgpr_dispatch_id 0
		.amdhsa_user_sgpr_kernarg_preload_length 0
		.amdhsa_user_sgpr_kernarg_preload_offset 0
		.amdhsa_user_sgpr_private_segment_size 0
		.amdhsa_uses_dynamic_stack 0
		.amdhsa_enable_private_segment 0
		.amdhsa_system_sgpr_workgroup_id_x 1
		.amdhsa_system_sgpr_workgroup_id_y 0
		.amdhsa_system_sgpr_workgroup_id_z 0
		.amdhsa_system_sgpr_workgroup_info 0
		.amdhsa_system_vgpr_workitem_id 0
		.amdhsa_next_free_vgpr 18
		.amdhsa_next_free_sgpr 14
		.amdhsa_accum_offset 20
		.amdhsa_reserve_vcc 1
		.amdhsa_float_round_mode_32 0
		.amdhsa_float_round_mode_16_64 0
		.amdhsa_float_denorm_mode_32 3
		.amdhsa_float_denorm_mode_16_64 3
		.amdhsa_dx10_clamp 1
		.amdhsa_ieee_mode 1
		.amdhsa_fp16_overflow 0
		.amdhsa_tg_split 0
		.amdhsa_exception_fp_ieee_invalid_op 0
		.amdhsa_exception_fp_denorm_src 0
		.amdhsa_exception_fp_ieee_div_zero 0
		.amdhsa_exception_fp_ieee_overflow 0
		.amdhsa_exception_fp_ieee_underflow 0
		.amdhsa_exception_fp_ieee_inexact 0
		.amdhsa_exception_int_div_zero 0
	.end_amdhsa_kernel
	.section	.text._ZN9rocsparseL16csr2dense_kernelILi16ELi64Eii21rocsparse_complex_numIdEEEviT2_S3_PKT3_PKT1_PKS3_PS4_l16rocsparse_order_,"axG",@progbits,_ZN9rocsparseL16csr2dense_kernelILi16ELi64Eii21rocsparse_complex_numIdEEEviT2_S3_PKT3_PKT1_PKS3_PS4_l16rocsparse_order_,comdat
.Lfunc_end61:
	.size	_ZN9rocsparseL16csr2dense_kernelILi16ELi64Eii21rocsparse_complex_numIdEEEviT2_S3_PKT3_PKT1_PKS3_PS4_l16rocsparse_order_, .Lfunc_end61-_ZN9rocsparseL16csr2dense_kernelILi16ELi64Eii21rocsparse_complex_numIdEEEviT2_S3_PKT3_PKT1_PKS3_PS4_l16rocsparse_order_
                                        ; -- End function
	.set _ZN9rocsparseL16csr2dense_kernelILi16ELi64Eii21rocsparse_complex_numIdEEEviT2_S3_PKT3_PKT1_PKS3_PS4_l16rocsparse_order_.num_vgpr, 18
	.set _ZN9rocsparseL16csr2dense_kernelILi16ELi64Eii21rocsparse_complex_numIdEEEviT2_S3_PKT3_PKT1_PKS3_PS4_l16rocsparse_order_.num_agpr, 0
	.set _ZN9rocsparseL16csr2dense_kernelILi16ELi64Eii21rocsparse_complex_numIdEEEviT2_S3_PKT3_PKT1_PKS3_PS4_l16rocsparse_order_.numbered_sgpr, 14
	.set _ZN9rocsparseL16csr2dense_kernelILi16ELi64Eii21rocsparse_complex_numIdEEEviT2_S3_PKT3_PKT1_PKS3_PS4_l16rocsparse_order_.num_named_barrier, 0
	.set _ZN9rocsparseL16csr2dense_kernelILi16ELi64Eii21rocsparse_complex_numIdEEEviT2_S3_PKT3_PKT1_PKS3_PS4_l16rocsparse_order_.private_seg_size, 0
	.set _ZN9rocsparseL16csr2dense_kernelILi16ELi64Eii21rocsparse_complex_numIdEEEviT2_S3_PKT3_PKT1_PKS3_PS4_l16rocsparse_order_.uses_vcc, 1
	.set _ZN9rocsparseL16csr2dense_kernelILi16ELi64Eii21rocsparse_complex_numIdEEEviT2_S3_PKT3_PKT1_PKS3_PS4_l16rocsparse_order_.uses_flat_scratch, 0
	.set _ZN9rocsparseL16csr2dense_kernelILi16ELi64Eii21rocsparse_complex_numIdEEEviT2_S3_PKT3_PKT1_PKS3_PS4_l16rocsparse_order_.has_dyn_sized_stack, 0
	.set _ZN9rocsparseL16csr2dense_kernelILi16ELi64Eii21rocsparse_complex_numIdEEEviT2_S3_PKT3_PKT1_PKS3_PS4_l16rocsparse_order_.has_recursion, 0
	.set _ZN9rocsparseL16csr2dense_kernelILi16ELi64Eii21rocsparse_complex_numIdEEEviT2_S3_PKT3_PKT1_PKS3_PS4_l16rocsparse_order_.has_indirect_call, 0
	.section	.AMDGPU.csdata,"",@progbits
; Kernel info:
; codeLenInByte = 364
; TotalNumSgprs: 20
; NumVgprs: 18
; NumAgprs: 0
; TotalNumVgprs: 18
; ScratchSize: 0
; MemoryBound: 0
; FloatMode: 240
; IeeeMode: 1
; LDSByteSize: 0 bytes/workgroup (compile time only)
; SGPRBlocks: 2
; VGPRBlocks: 2
; NumSGPRsForWavesPerEU: 20
; NumVGPRsForWavesPerEU: 18
; AccumOffset: 20
; Occupancy: 8
; WaveLimiterHint : 1
; COMPUTE_PGM_RSRC2:SCRATCH_EN: 0
; COMPUTE_PGM_RSRC2:USER_SGPR: 2
; COMPUTE_PGM_RSRC2:TRAP_HANDLER: 0
; COMPUTE_PGM_RSRC2:TGID_X_EN: 1
; COMPUTE_PGM_RSRC2:TGID_Y_EN: 0
; COMPUTE_PGM_RSRC2:TGID_Z_EN: 0
; COMPUTE_PGM_RSRC2:TIDIG_COMP_CNT: 0
; COMPUTE_PGM_RSRC3_GFX90A:ACCUM_OFFSET: 4
; COMPUTE_PGM_RSRC3_GFX90A:TG_SPLIT: 0
	.section	.text._ZN9rocsparseL16csc2dense_kernelILi16ELi32Eii21rocsparse_complex_numIdEEEviT2_S3_PKT3_PKT1_PKS3_PS4_l16rocsparse_order_,"axG",@progbits,_ZN9rocsparseL16csc2dense_kernelILi16ELi32Eii21rocsparse_complex_numIdEEEviT2_S3_PKT3_PKT1_PKS3_PS4_l16rocsparse_order_,comdat
	.globl	_ZN9rocsparseL16csc2dense_kernelILi16ELi32Eii21rocsparse_complex_numIdEEEviT2_S3_PKT3_PKT1_PKS3_PS4_l16rocsparse_order_ ; -- Begin function _ZN9rocsparseL16csc2dense_kernelILi16ELi32Eii21rocsparse_complex_numIdEEEviT2_S3_PKT3_PKT1_PKS3_PS4_l16rocsparse_order_
	.p2align	8
	.type	_ZN9rocsparseL16csc2dense_kernelILi16ELi32Eii21rocsparse_complex_numIdEEEviT2_S3_PKT3_PKT1_PKS3_PS4_l16rocsparse_order_,@function
_ZN9rocsparseL16csc2dense_kernelILi16ELi32Eii21rocsparse_complex_numIdEEEviT2_S3_PKT3_PKT1_PKS3_PS4_l16rocsparse_order_: ; @_ZN9rocsparseL16csc2dense_kernelILi16ELi32Eii21rocsparse_complex_numIdEEEviT2_S3_PKT3_PKT1_PKS3_PS4_l16rocsparse_order_
; %bb.0:
	s_load_dword s3, s[0:1], 0x8
	v_lshrrev_b32_e32 v1, 5, v0
	v_lshl_or_b32 v2, s2, 4, v1
	s_waitcnt lgkmcnt(0)
	v_cmp_gt_i32_e32 vcc, s3, v2
	s_and_saveexec_b64 s[2:3], vcc
	s_cbranch_execz .LBB62_8
; %bb.1:
	s_load_dwordx2 s[2:3], s[0:1], 0x18
	v_ashrrev_i32_e32 v3, 31, v2
	v_and_b32_e32 v10, 31, v0
	s_waitcnt lgkmcnt(0)
	v_lshl_add_u64 v[4:5], v[2:3], 2, s[2:3]
	global_load_dwordx2 v[4:5], v[4:5], off
	s_waitcnt vmcnt(0)
	v_sub_u32_e32 v11, v5, v4
	v_cmp_lt_i32_e32 vcc, v10, v11
	s_and_b64 exec, exec, vcc
	s_cbranch_execz .LBB62_8
; %bb.2:
	s_load_dword s12, s[0:1], 0x0
	s_load_dwordx4 s[4:7], s[0:1], 0x20
	s_load_dword s10, s[0:1], 0x38
	s_load_dwordx2 s[2:3], s[0:1], 0x10
	s_load_dwordx2 s[8:9], s[0:1], 0x30
	s_waitcnt lgkmcnt(0)
	v_subrev_u32_e32 v12, s12, v4
	v_lshl_add_u64 v[0:1], v[2:3], 4, s[6:7]
	s_cmp_lg_u32 s10, 1
	s_cselect_b64 s[0:1], -1, 0
	v_mul_lo_u32 v4, s9, v2
	v_mul_lo_u32 v5, s8, v3
	v_mad_u64_u32 v[2:3], s[10:11], s8, v2, 0
	v_add3_u32 v3, v3, v5, v4
	v_lshl_add_u64 v[2:3], v[2:3], 4, s[6:7]
	s_mov_b64 s[6:7], 0
	s_branch .LBB62_4
.LBB62_3:                               ;   in Loop: Header=BB62_4 Depth=1
	v_lshl_add_u64 v[4:5], v[4:5], 4, s[2:3]
	global_load_dwordx4 v[14:17], v[4:5], off
	v_add_u32_e32 v10, 32, v10
	v_cmp_ge_i32_e32 vcc, v10, v11
	s_or_b64 s[6:7], vcc, s[6:7]
	s_waitcnt vmcnt(0)
	global_store_dwordx4 v[6:7], v[14:17], off
	s_andn2_b64 exec, exec, s[6:7]
	s_cbranch_execz .LBB62_8
.LBB62_4:                               ; =>This Inner Loop Header: Depth=1
	v_add_u32_e32 v4, v12, v10
	v_ashrrev_i32_e32 v5, 31, v4
	v_lshl_add_u64 v[6:7], v[4:5], 2, s[4:5]
	global_load_dword v8, v[6:7], off
	s_mov_b64 s[10:11], -1
	s_and_b64 vcc, exec, s[0:1]
                                        ; implicit-def: $vgpr6_vgpr7
	s_waitcnt vmcnt(0)
	v_subrev_u32_e32 v8, s12, v8
	v_ashrrev_i32_e32 v9, 31, v8
	s_cbranch_vccz .LBB62_6
; %bb.5:                                ;   in Loop: Header=BB62_4 Depth=1
	v_mul_lo_u32 v13, s9, v8
	v_mul_lo_u32 v14, s8, v9
	v_mad_u64_u32 v[6:7], s[10:11], s8, v8, 0
	v_add3_u32 v7, v7, v14, v13
	v_lshl_add_u64 v[6:7], v[6:7], 4, v[0:1]
	s_mov_b64 s[10:11], 0
.LBB62_6:                               ;   in Loop: Header=BB62_4 Depth=1
	s_andn2_b64 vcc, exec, s[10:11]
	s_cbranch_vccnz .LBB62_3
; %bb.7:                                ;   in Loop: Header=BB62_4 Depth=1
	v_lshl_add_u64 v[6:7], v[8:9], 4, v[2:3]
	s_branch .LBB62_3
.LBB62_8:
	s_endpgm
	.section	.rodata,"a",@progbits
	.p2align	6, 0x0
	.amdhsa_kernel _ZN9rocsparseL16csc2dense_kernelILi16ELi32Eii21rocsparse_complex_numIdEEEviT2_S3_PKT3_PKT1_PKS3_PS4_l16rocsparse_order_
		.amdhsa_group_segment_fixed_size 0
		.amdhsa_private_segment_fixed_size 0
		.amdhsa_kernarg_size 60
		.amdhsa_user_sgpr_count 2
		.amdhsa_user_sgpr_dispatch_ptr 0
		.amdhsa_user_sgpr_queue_ptr 0
		.amdhsa_user_sgpr_kernarg_segment_ptr 1
		.amdhsa_user_sgpr_dispatch_id 0
		.amdhsa_user_sgpr_kernarg_preload_length 0
		.amdhsa_user_sgpr_kernarg_preload_offset 0
		.amdhsa_user_sgpr_private_segment_size 0
		.amdhsa_uses_dynamic_stack 0
		.amdhsa_enable_private_segment 0
		.amdhsa_system_sgpr_workgroup_id_x 1
		.amdhsa_system_sgpr_workgroup_id_y 0
		.amdhsa_system_sgpr_workgroup_id_z 0
		.amdhsa_system_sgpr_workgroup_info 0
		.amdhsa_system_vgpr_workitem_id 0
		.amdhsa_next_free_vgpr 18
		.amdhsa_next_free_sgpr 13
		.amdhsa_accum_offset 20
		.amdhsa_reserve_vcc 1
		.amdhsa_float_round_mode_32 0
		.amdhsa_float_round_mode_16_64 0
		.amdhsa_float_denorm_mode_32 3
		.amdhsa_float_denorm_mode_16_64 3
		.amdhsa_dx10_clamp 1
		.amdhsa_ieee_mode 1
		.amdhsa_fp16_overflow 0
		.amdhsa_tg_split 0
		.amdhsa_exception_fp_ieee_invalid_op 0
		.amdhsa_exception_fp_denorm_src 0
		.amdhsa_exception_fp_ieee_div_zero 0
		.amdhsa_exception_fp_ieee_overflow 0
		.amdhsa_exception_fp_ieee_underflow 0
		.amdhsa_exception_fp_ieee_inexact 0
		.amdhsa_exception_int_div_zero 0
	.end_amdhsa_kernel
	.section	.text._ZN9rocsparseL16csc2dense_kernelILi16ELi32Eii21rocsparse_complex_numIdEEEviT2_S3_PKT3_PKT1_PKS3_PS4_l16rocsparse_order_,"axG",@progbits,_ZN9rocsparseL16csc2dense_kernelILi16ELi32Eii21rocsparse_complex_numIdEEEviT2_S3_PKT3_PKT1_PKS3_PS4_l16rocsparse_order_,comdat
.Lfunc_end62:
	.size	_ZN9rocsparseL16csc2dense_kernelILi16ELi32Eii21rocsparse_complex_numIdEEEviT2_S3_PKT3_PKT1_PKS3_PS4_l16rocsparse_order_, .Lfunc_end62-_ZN9rocsparseL16csc2dense_kernelILi16ELi32Eii21rocsparse_complex_numIdEEEviT2_S3_PKT3_PKT1_PKS3_PS4_l16rocsparse_order_
                                        ; -- End function
	.set _ZN9rocsparseL16csc2dense_kernelILi16ELi32Eii21rocsparse_complex_numIdEEEviT2_S3_PKT3_PKT1_PKS3_PS4_l16rocsparse_order_.num_vgpr, 18
	.set _ZN9rocsparseL16csc2dense_kernelILi16ELi32Eii21rocsparse_complex_numIdEEEviT2_S3_PKT3_PKT1_PKS3_PS4_l16rocsparse_order_.num_agpr, 0
	.set _ZN9rocsparseL16csc2dense_kernelILi16ELi32Eii21rocsparse_complex_numIdEEEviT2_S3_PKT3_PKT1_PKS3_PS4_l16rocsparse_order_.numbered_sgpr, 13
	.set _ZN9rocsparseL16csc2dense_kernelILi16ELi32Eii21rocsparse_complex_numIdEEEviT2_S3_PKT3_PKT1_PKS3_PS4_l16rocsparse_order_.num_named_barrier, 0
	.set _ZN9rocsparseL16csc2dense_kernelILi16ELi32Eii21rocsparse_complex_numIdEEEviT2_S3_PKT3_PKT1_PKS3_PS4_l16rocsparse_order_.private_seg_size, 0
	.set _ZN9rocsparseL16csc2dense_kernelILi16ELi32Eii21rocsparse_complex_numIdEEEviT2_S3_PKT3_PKT1_PKS3_PS4_l16rocsparse_order_.uses_vcc, 1
	.set _ZN9rocsparseL16csc2dense_kernelILi16ELi32Eii21rocsparse_complex_numIdEEEviT2_S3_PKT3_PKT1_PKS3_PS4_l16rocsparse_order_.uses_flat_scratch, 0
	.set _ZN9rocsparseL16csc2dense_kernelILi16ELi32Eii21rocsparse_complex_numIdEEEviT2_S3_PKT3_PKT1_PKS3_PS4_l16rocsparse_order_.has_dyn_sized_stack, 0
	.set _ZN9rocsparseL16csc2dense_kernelILi16ELi32Eii21rocsparse_complex_numIdEEEviT2_S3_PKT3_PKT1_PKS3_PS4_l16rocsparse_order_.has_recursion, 0
	.set _ZN9rocsparseL16csc2dense_kernelILi16ELi32Eii21rocsparse_complex_numIdEEEviT2_S3_PKT3_PKT1_PKS3_PS4_l16rocsparse_order_.has_indirect_call, 0
	.section	.AMDGPU.csdata,"",@progbits
; Kernel info:
; codeLenInByte = 368
; TotalNumSgprs: 19
; NumVgprs: 18
; NumAgprs: 0
; TotalNumVgprs: 18
; ScratchSize: 0
; MemoryBound: 0
; FloatMode: 240
; IeeeMode: 1
; LDSByteSize: 0 bytes/workgroup (compile time only)
; SGPRBlocks: 2
; VGPRBlocks: 2
; NumSGPRsForWavesPerEU: 19
; NumVGPRsForWavesPerEU: 18
; AccumOffset: 20
; Occupancy: 8
; WaveLimiterHint : 1
; COMPUTE_PGM_RSRC2:SCRATCH_EN: 0
; COMPUTE_PGM_RSRC2:USER_SGPR: 2
; COMPUTE_PGM_RSRC2:TRAP_HANDLER: 0
; COMPUTE_PGM_RSRC2:TGID_X_EN: 1
; COMPUTE_PGM_RSRC2:TGID_Y_EN: 0
; COMPUTE_PGM_RSRC2:TGID_Z_EN: 0
; COMPUTE_PGM_RSRC2:TIDIG_COMP_CNT: 0
; COMPUTE_PGM_RSRC3_GFX90A:ACCUM_OFFSET: 4
; COMPUTE_PGM_RSRC3_GFX90A:TG_SPLIT: 0
	.section	.text._ZN9rocsparseL16csc2dense_kernelILi16ELi64Eii21rocsparse_complex_numIdEEEviT2_S3_PKT3_PKT1_PKS3_PS4_l16rocsparse_order_,"axG",@progbits,_ZN9rocsparseL16csc2dense_kernelILi16ELi64Eii21rocsparse_complex_numIdEEEviT2_S3_PKT3_PKT1_PKS3_PS4_l16rocsparse_order_,comdat
	.globl	_ZN9rocsparseL16csc2dense_kernelILi16ELi64Eii21rocsparse_complex_numIdEEEviT2_S3_PKT3_PKT1_PKS3_PS4_l16rocsparse_order_ ; -- Begin function _ZN9rocsparseL16csc2dense_kernelILi16ELi64Eii21rocsparse_complex_numIdEEEviT2_S3_PKT3_PKT1_PKS3_PS4_l16rocsparse_order_
	.p2align	8
	.type	_ZN9rocsparseL16csc2dense_kernelILi16ELi64Eii21rocsparse_complex_numIdEEEviT2_S3_PKT3_PKT1_PKS3_PS4_l16rocsparse_order_,@function
_ZN9rocsparseL16csc2dense_kernelILi16ELi64Eii21rocsparse_complex_numIdEEEviT2_S3_PKT3_PKT1_PKS3_PS4_l16rocsparse_order_: ; @_ZN9rocsparseL16csc2dense_kernelILi16ELi64Eii21rocsparse_complex_numIdEEEviT2_S3_PKT3_PKT1_PKS3_PS4_l16rocsparse_order_
; %bb.0:
	s_load_dword s3, s[0:1], 0x8
	v_lshrrev_b32_e32 v1, 6, v0
	v_lshl_or_b32 v2, s2, 4, v1
	s_waitcnt lgkmcnt(0)
	v_cmp_gt_i32_e32 vcc, s3, v2
	s_and_saveexec_b64 s[2:3], vcc
	s_cbranch_execz .LBB63_8
; %bb.1:
	s_load_dwordx2 s[2:3], s[0:1], 0x18
	v_ashrrev_i32_e32 v3, 31, v2
	v_and_b32_e32 v10, 63, v0
	s_waitcnt lgkmcnt(0)
	v_lshl_add_u64 v[4:5], v[2:3], 2, s[2:3]
	global_load_dwordx2 v[4:5], v[4:5], off
	s_waitcnt vmcnt(0)
	v_sub_u32_e32 v11, v5, v4
	v_cmp_lt_i32_e32 vcc, v10, v11
	s_and_b64 exec, exec, vcc
	s_cbranch_execz .LBB63_8
; %bb.2:
	s_load_dword s12, s[0:1], 0x0
	s_load_dwordx4 s[4:7], s[0:1], 0x20
	s_load_dword s10, s[0:1], 0x38
	s_load_dwordx2 s[2:3], s[0:1], 0x10
	s_load_dwordx2 s[8:9], s[0:1], 0x30
	s_waitcnt lgkmcnt(0)
	v_subrev_u32_e32 v12, s12, v4
	v_lshl_add_u64 v[0:1], v[2:3], 4, s[6:7]
	s_cmp_lg_u32 s10, 1
	s_cselect_b64 s[0:1], -1, 0
	v_mul_lo_u32 v4, s9, v2
	v_mul_lo_u32 v5, s8, v3
	v_mad_u64_u32 v[2:3], s[10:11], s8, v2, 0
	v_add3_u32 v3, v3, v5, v4
	v_lshl_add_u64 v[2:3], v[2:3], 4, s[6:7]
	s_mov_b64 s[6:7], 0
	s_branch .LBB63_4
.LBB63_3:                               ;   in Loop: Header=BB63_4 Depth=1
	v_lshl_add_u64 v[4:5], v[4:5], 4, s[2:3]
	global_load_dwordx4 v[14:17], v[4:5], off
	v_add_u32_e32 v10, 64, v10
	v_cmp_ge_i32_e32 vcc, v10, v11
	s_or_b64 s[6:7], vcc, s[6:7]
	s_waitcnt vmcnt(0)
	global_store_dwordx4 v[6:7], v[14:17], off
	s_andn2_b64 exec, exec, s[6:7]
	s_cbranch_execz .LBB63_8
.LBB63_4:                               ; =>This Inner Loop Header: Depth=1
	v_add_u32_e32 v4, v12, v10
	v_ashrrev_i32_e32 v5, 31, v4
	v_lshl_add_u64 v[6:7], v[4:5], 2, s[4:5]
	global_load_dword v8, v[6:7], off
	s_mov_b64 s[10:11], -1
	s_and_b64 vcc, exec, s[0:1]
                                        ; implicit-def: $vgpr6_vgpr7
	s_waitcnt vmcnt(0)
	v_subrev_u32_e32 v8, s12, v8
	v_ashrrev_i32_e32 v9, 31, v8
	s_cbranch_vccz .LBB63_6
; %bb.5:                                ;   in Loop: Header=BB63_4 Depth=1
	v_mul_lo_u32 v13, s9, v8
	v_mul_lo_u32 v14, s8, v9
	v_mad_u64_u32 v[6:7], s[10:11], s8, v8, 0
	v_add3_u32 v7, v7, v14, v13
	v_lshl_add_u64 v[6:7], v[6:7], 4, v[0:1]
	s_mov_b64 s[10:11], 0
.LBB63_6:                               ;   in Loop: Header=BB63_4 Depth=1
	s_andn2_b64 vcc, exec, s[10:11]
	s_cbranch_vccnz .LBB63_3
; %bb.7:                                ;   in Loop: Header=BB63_4 Depth=1
	v_lshl_add_u64 v[6:7], v[8:9], 4, v[2:3]
	s_branch .LBB63_3
.LBB63_8:
	s_endpgm
	.section	.rodata,"a",@progbits
	.p2align	6, 0x0
	.amdhsa_kernel _ZN9rocsparseL16csc2dense_kernelILi16ELi64Eii21rocsparse_complex_numIdEEEviT2_S3_PKT3_PKT1_PKS3_PS4_l16rocsparse_order_
		.amdhsa_group_segment_fixed_size 0
		.amdhsa_private_segment_fixed_size 0
		.amdhsa_kernarg_size 60
		.amdhsa_user_sgpr_count 2
		.amdhsa_user_sgpr_dispatch_ptr 0
		.amdhsa_user_sgpr_queue_ptr 0
		.amdhsa_user_sgpr_kernarg_segment_ptr 1
		.amdhsa_user_sgpr_dispatch_id 0
		.amdhsa_user_sgpr_kernarg_preload_length 0
		.amdhsa_user_sgpr_kernarg_preload_offset 0
		.amdhsa_user_sgpr_private_segment_size 0
		.amdhsa_uses_dynamic_stack 0
		.amdhsa_enable_private_segment 0
		.amdhsa_system_sgpr_workgroup_id_x 1
		.amdhsa_system_sgpr_workgroup_id_y 0
		.amdhsa_system_sgpr_workgroup_id_z 0
		.amdhsa_system_sgpr_workgroup_info 0
		.amdhsa_system_vgpr_workitem_id 0
		.amdhsa_next_free_vgpr 18
		.amdhsa_next_free_sgpr 13
		.amdhsa_accum_offset 20
		.amdhsa_reserve_vcc 1
		.amdhsa_float_round_mode_32 0
		.amdhsa_float_round_mode_16_64 0
		.amdhsa_float_denorm_mode_32 3
		.amdhsa_float_denorm_mode_16_64 3
		.amdhsa_dx10_clamp 1
		.amdhsa_ieee_mode 1
		.amdhsa_fp16_overflow 0
		.amdhsa_tg_split 0
		.amdhsa_exception_fp_ieee_invalid_op 0
		.amdhsa_exception_fp_denorm_src 0
		.amdhsa_exception_fp_ieee_div_zero 0
		.amdhsa_exception_fp_ieee_overflow 0
		.amdhsa_exception_fp_ieee_underflow 0
		.amdhsa_exception_fp_ieee_inexact 0
		.amdhsa_exception_int_div_zero 0
	.end_amdhsa_kernel
	.section	.text._ZN9rocsparseL16csc2dense_kernelILi16ELi64Eii21rocsparse_complex_numIdEEEviT2_S3_PKT3_PKT1_PKS3_PS4_l16rocsparse_order_,"axG",@progbits,_ZN9rocsparseL16csc2dense_kernelILi16ELi64Eii21rocsparse_complex_numIdEEEviT2_S3_PKT3_PKT1_PKS3_PS4_l16rocsparse_order_,comdat
.Lfunc_end63:
	.size	_ZN9rocsparseL16csc2dense_kernelILi16ELi64Eii21rocsparse_complex_numIdEEEviT2_S3_PKT3_PKT1_PKS3_PS4_l16rocsparse_order_, .Lfunc_end63-_ZN9rocsparseL16csc2dense_kernelILi16ELi64Eii21rocsparse_complex_numIdEEEviT2_S3_PKT3_PKT1_PKS3_PS4_l16rocsparse_order_
                                        ; -- End function
	.set _ZN9rocsparseL16csc2dense_kernelILi16ELi64Eii21rocsparse_complex_numIdEEEviT2_S3_PKT3_PKT1_PKS3_PS4_l16rocsparse_order_.num_vgpr, 18
	.set _ZN9rocsparseL16csc2dense_kernelILi16ELi64Eii21rocsparse_complex_numIdEEEviT2_S3_PKT3_PKT1_PKS3_PS4_l16rocsparse_order_.num_agpr, 0
	.set _ZN9rocsparseL16csc2dense_kernelILi16ELi64Eii21rocsparse_complex_numIdEEEviT2_S3_PKT3_PKT1_PKS3_PS4_l16rocsparse_order_.numbered_sgpr, 13
	.set _ZN9rocsparseL16csc2dense_kernelILi16ELi64Eii21rocsparse_complex_numIdEEEviT2_S3_PKT3_PKT1_PKS3_PS4_l16rocsparse_order_.num_named_barrier, 0
	.set _ZN9rocsparseL16csc2dense_kernelILi16ELi64Eii21rocsparse_complex_numIdEEEviT2_S3_PKT3_PKT1_PKS3_PS4_l16rocsparse_order_.private_seg_size, 0
	.set _ZN9rocsparseL16csc2dense_kernelILi16ELi64Eii21rocsparse_complex_numIdEEEviT2_S3_PKT3_PKT1_PKS3_PS4_l16rocsparse_order_.uses_vcc, 1
	.set _ZN9rocsparseL16csc2dense_kernelILi16ELi64Eii21rocsparse_complex_numIdEEEviT2_S3_PKT3_PKT1_PKS3_PS4_l16rocsparse_order_.uses_flat_scratch, 0
	.set _ZN9rocsparseL16csc2dense_kernelILi16ELi64Eii21rocsparse_complex_numIdEEEviT2_S3_PKT3_PKT1_PKS3_PS4_l16rocsparse_order_.has_dyn_sized_stack, 0
	.set _ZN9rocsparseL16csc2dense_kernelILi16ELi64Eii21rocsparse_complex_numIdEEEviT2_S3_PKT3_PKT1_PKS3_PS4_l16rocsparse_order_.has_recursion, 0
	.set _ZN9rocsparseL16csc2dense_kernelILi16ELi64Eii21rocsparse_complex_numIdEEEviT2_S3_PKT3_PKT1_PKS3_PS4_l16rocsparse_order_.has_indirect_call, 0
	.section	.AMDGPU.csdata,"",@progbits
; Kernel info:
; codeLenInByte = 368
; TotalNumSgprs: 19
; NumVgprs: 18
; NumAgprs: 0
; TotalNumVgprs: 18
; ScratchSize: 0
; MemoryBound: 0
; FloatMode: 240
; IeeeMode: 1
; LDSByteSize: 0 bytes/workgroup (compile time only)
; SGPRBlocks: 2
; VGPRBlocks: 2
; NumSGPRsForWavesPerEU: 19
; NumVGPRsForWavesPerEU: 18
; AccumOffset: 20
; Occupancy: 8
; WaveLimiterHint : 1
; COMPUTE_PGM_RSRC2:SCRATCH_EN: 0
; COMPUTE_PGM_RSRC2:USER_SGPR: 2
; COMPUTE_PGM_RSRC2:TRAP_HANDLER: 0
; COMPUTE_PGM_RSRC2:TGID_X_EN: 1
; COMPUTE_PGM_RSRC2:TGID_Y_EN: 0
; COMPUTE_PGM_RSRC2:TGID_Z_EN: 0
; COMPUTE_PGM_RSRC2:TIDIG_COMP_CNT: 0
; COMPUTE_PGM_RSRC3_GFX90A:ACCUM_OFFSET: 4
; COMPUTE_PGM_RSRC3_GFX90A:TG_SPLIT: 0
	.section	.text._ZN9rocsparseL23sddmm_csx_sample_kernelILi512ELi64EL20rocsparse_direction_1E21rocsparse_complex_numIdEiiS3_EEvT4_S4_T3_PKT5_S4_PS6_PKS5_PKS4_21rocsparse_index_base_,"axG",@progbits,_ZN9rocsparseL23sddmm_csx_sample_kernelILi512ELi64EL20rocsparse_direction_1E21rocsparse_complex_numIdEiiS3_EEvT4_S4_T3_PKT5_S4_PS6_PKS5_PKS4_21rocsparse_index_base_,comdat
	.globl	_ZN9rocsparseL23sddmm_csx_sample_kernelILi512ELi64EL20rocsparse_direction_1E21rocsparse_complex_numIdEiiS3_EEvT4_S4_T3_PKT5_S4_PS6_PKS5_PKS4_21rocsparse_index_base_ ; -- Begin function _ZN9rocsparseL23sddmm_csx_sample_kernelILi512ELi64EL20rocsparse_direction_1E21rocsparse_complex_numIdEiiS3_EEvT4_S4_T3_PKT5_S4_PS6_PKS5_PKS4_21rocsparse_index_base_
	.p2align	8
	.type	_ZN9rocsparseL23sddmm_csx_sample_kernelILi512ELi64EL20rocsparse_direction_1E21rocsparse_complex_numIdEiiS3_EEvT4_S4_T3_PKT5_S4_PS6_PKS5_PKS4_21rocsparse_index_base_,@function
_ZN9rocsparseL23sddmm_csx_sample_kernelILi512ELi64EL20rocsparse_direction_1E21rocsparse_complex_numIdEiiS3_EEvT4_S4_T3_PKT5_S4_PS6_PKS5_PKS4_21rocsparse_index_base_: ; @_ZN9rocsparseL23sddmm_csx_sample_kernelILi512ELi64EL20rocsparse_direction_1E21rocsparse_complex_numIdEiiS3_EEvT4_S4_T3_PKT5_S4_PS6_PKS5_PKS4_21rocsparse_index_base_
; %bb.0:
	s_load_dword s3, s[0:1], 0x4
	v_lshrrev_b32_e32 v1, 6, v0
	v_lshl_or_b32 v2, s2, 3, v1
	s_waitcnt lgkmcnt(0)
	v_cmp_gt_u32_e32 vcc, s3, v2
	s_and_saveexec_b64 s[2:3], vcc
	s_cbranch_execz .LBB64_4
; %bb.1:
	s_load_dwordx2 s[2:3], s[0:1], 0x28
	s_load_dword s4, s[0:1], 0x38
	v_mov_b32_e32 v3, 0
	v_and_b32_e32 v0, 63, v0
	s_waitcnt lgkmcnt(0)
	v_lshl_add_u64 v[4:5], v[2:3], 2, s[2:3]
	global_load_dwordx2 v[4:5], v[4:5], off
	v_subrev_u32_e32 v0, s4, v0
	s_waitcnt vmcnt(0)
	v_add_u32_e32 v0, v0, v4
	v_subrev_u32_e32 v6, s4, v5
	v_cmp_lt_i32_e32 vcc, v0, v6
	s_and_b64 exec, exec, vcc
	s_cbranch_execz .LBB64_4
; %bb.2:
	s_load_dwordx2 s[6:7], s[0:1], 0x30
	s_load_dword s5, s[0:1], 0x18
	s_load_dwordx2 s[8:9], s[0:1], 0x20
	s_load_dwordx2 s[2:3], s[0:1], 0x10
	v_ashrrev_i32_e32 v1, 31, v0
	s_mov_b64 s[0:1], 0
	s_waitcnt lgkmcnt(0)
	v_mul_lo_u32 v2, s5, v2
	v_subrev_u32_e32 v7, s4, v2
	v_lshl_add_u64 v[2:3], v[0:1], 2, s[6:7]
	v_lshl_add_u64 v[4:5], v[0:1], 4, s[8:9]
	s_mov_b64 s[4:5], 0x100
	s_mov_b64 s[6:7], 0x400
.LBB64_3:                               ; =>This Inner Loop Header: Depth=1
	global_load_dword v1, v[2:3], off
	v_add_u32_e32 v0, 64, v0
	v_cmp_ge_i32_e32 vcc, v0, v6
	v_lshl_add_u64 v[2:3], v[2:3], 0, s[4:5]
	s_or_b64 s[0:1], vcc, s[0:1]
	s_waitcnt vmcnt(0)
	v_add_u32_e32 v8, v7, v1
	v_ashrrev_i32_e32 v9, 31, v8
	v_lshl_add_u64 v[8:9], v[8:9], 4, s[2:3]
	global_load_dwordx4 v[8:11], v[8:9], off
	s_waitcnt vmcnt(0)
	global_store_dwordx4 v[4:5], v[8:11], off
	v_lshl_add_u64 v[4:5], v[4:5], 0, s[6:7]
	s_andn2_b64 exec, exec, s[0:1]
	s_cbranch_execnz .LBB64_3
.LBB64_4:
	s_endpgm
	.section	.rodata,"a",@progbits
	.p2align	6, 0x0
	.amdhsa_kernel _ZN9rocsparseL23sddmm_csx_sample_kernelILi512ELi64EL20rocsparse_direction_1E21rocsparse_complex_numIdEiiS3_EEvT4_S4_T3_PKT5_S4_PS6_PKS5_PKS4_21rocsparse_index_base_
		.amdhsa_group_segment_fixed_size 0
		.amdhsa_private_segment_fixed_size 0
		.amdhsa_kernarg_size 60
		.amdhsa_user_sgpr_count 2
		.amdhsa_user_sgpr_dispatch_ptr 0
		.amdhsa_user_sgpr_queue_ptr 0
		.amdhsa_user_sgpr_kernarg_segment_ptr 1
		.amdhsa_user_sgpr_dispatch_id 0
		.amdhsa_user_sgpr_kernarg_preload_length 0
		.amdhsa_user_sgpr_kernarg_preload_offset 0
		.amdhsa_user_sgpr_private_segment_size 0
		.amdhsa_uses_dynamic_stack 0
		.amdhsa_enable_private_segment 0
		.amdhsa_system_sgpr_workgroup_id_x 1
		.amdhsa_system_sgpr_workgroup_id_y 0
		.amdhsa_system_sgpr_workgroup_id_z 0
		.amdhsa_system_sgpr_workgroup_info 0
		.amdhsa_system_vgpr_workitem_id 0
		.amdhsa_next_free_vgpr 12
		.amdhsa_next_free_sgpr 10
		.amdhsa_accum_offset 12
		.amdhsa_reserve_vcc 1
		.amdhsa_float_round_mode_32 0
		.amdhsa_float_round_mode_16_64 0
		.amdhsa_float_denorm_mode_32 3
		.amdhsa_float_denorm_mode_16_64 3
		.amdhsa_dx10_clamp 1
		.amdhsa_ieee_mode 1
		.amdhsa_fp16_overflow 0
		.amdhsa_tg_split 0
		.amdhsa_exception_fp_ieee_invalid_op 0
		.amdhsa_exception_fp_denorm_src 0
		.amdhsa_exception_fp_ieee_div_zero 0
		.amdhsa_exception_fp_ieee_overflow 0
		.amdhsa_exception_fp_ieee_underflow 0
		.amdhsa_exception_fp_ieee_inexact 0
		.amdhsa_exception_int_div_zero 0
	.end_amdhsa_kernel
	.section	.text._ZN9rocsparseL23sddmm_csx_sample_kernelILi512ELi64EL20rocsparse_direction_1E21rocsparse_complex_numIdEiiS3_EEvT4_S4_T3_PKT5_S4_PS6_PKS5_PKS4_21rocsparse_index_base_,"axG",@progbits,_ZN9rocsparseL23sddmm_csx_sample_kernelILi512ELi64EL20rocsparse_direction_1E21rocsparse_complex_numIdEiiS3_EEvT4_S4_T3_PKT5_S4_PS6_PKS5_PKS4_21rocsparse_index_base_,comdat
.Lfunc_end64:
	.size	_ZN9rocsparseL23sddmm_csx_sample_kernelILi512ELi64EL20rocsparse_direction_1E21rocsparse_complex_numIdEiiS3_EEvT4_S4_T3_PKT5_S4_PS6_PKS5_PKS4_21rocsparse_index_base_, .Lfunc_end64-_ZN9rocsparseL23sddmm_csx_sample_kernelILi512ELi64EL20rocsparse_direction_1E21rocsparse_complex_numIdEiiS3_EEvT4_S4_T3_PKT5_S4_PS6_PKS5_PKS4_21rocsparse_index_base_
                                        ; -- End function
	.set _ZN9rocsparseL23sddmm_csx_sample_kernelILi512ELi64EL20rocsparse_direction_1E21rocsparse_complex_numIdEiiS3_EEvT4_S4_T3_PKT5_S4_PS6_PKS5_PKS4_21rocsparse_index_base_.num_vgpr, 12
	.set _ZN9rocsparseL23sddmm_csx_sample_kernelILi512ELi64EL20rocsparse_direction_1E21rocsparse_complex_numIdEiiS3_EEvT4_S4_T3_PKT5_S4_PS6_PKS5_PKS4_21rocsparse_index_base_.num_agpr, 0
	.set _ZN9rocsparseL23sddmm_csx_sample_kernelILi512ELi64EL20rocsparse_direction_1E21rocsparse_complex_numIdEiiS3_EEvT4_S4_T3_PKT5_S4_PS6_PKS5_PKS4_21rocsparse_index_base_.numbered_sgpr, 10
	.set _ZN9rocsparseL23sddmm_csx_sample_kernelILi512ELi64EL20rocsparse_direction_1E21rocsparse_complex_numIdEiiS3_EEvT4_S4_T3_PKT5_S4_PS6_PKS5_PKS4_21rocsparse_index_base_.num_named_barrier, 0
	.set _ZN9rocsparseL23sddmm_csx_sample_kernelILi512ELi64EL20rocsparse_direction_1E21rocsparse_complex_numIdEiiS3_EEvT4_S4_T3_PKT5_S4_PS6_PKS5_PKS4_21rocsparse_index_base_.private_seg_size, 0
	.set _ZN9rocsparseL23sddmm_csx_sample_kernelILi512ELi64EL20rocsparse_direction_1E21rocsparse_complex_numIdEiiS3_EEvT4_S4_T3_PKT5_S4_PS6_PKS5_PKS4_21rocsparse_index_base_.uses_vcc, 1
	.set _ZN9rocsparseL23sddmm_csx_sample_kernelILi512ELi64EL20rocsparse_direction_1E21rocsparse_complex_numIdEiiS3_EEvT4_S4_T3_PKT5_S4_PS6_PKS5_PKS4_21rocsparse_index_base_.uses_flat_scratch, 0
	.set _ZN9rocsparseL23sddmm_csx_sample_kernelILi512ELi64EL20rocsparse_direction_1E21rocsparse_complex_numIdEiiS3_EEvT4_S4_T3_PKT5_S4_PS6_PKS5_PKS4_21rocsparse_index_base_.has_dyn_sized_stack, 0
	.set _ZN9rocsparseL23sddmm_csx_sample_kernelILi512ELi64EL20rocsparse_direction_1E21rocsparse_complex_numIdEiiS3_EEvT4_S4_T3_PKT5_S4_PS6_PKS5_PKS4_21rocsparse_index_base_.has_recursion, 0
	.set _ZN9rocsparseL23sddmm_csx_sample_kernelILi512ELi64EL20rocsparse_direction_1E21rocsparse_complex_numIdEiiS3_EEvT4_S4_T3_PKT5_S4_PS6_PKS5_PKS4_21rocsparse_index_base_.has_indirect_call, 0
	.section	.AMDGPU.csdata,"",@progbits
; Kernel info:
; codeLenInByte = 284
; TotalNumSgprs: 16
; NumVgprs: 12
; NumAgprs: 0
; TotalNumVgprs: 12
; ScratchSize: 0
; MemoryBound: 0
; FloatMode: 240
; IeeeMode: 1
; LDSByteSize: 0 bytes/workgroup (compile time only)
; SGPRBlocks: 1
; VGPRBlocks: 1
; NumSGPRsForWavesPerEU: 16
; NumVGPRsForWavesPerEU: 12
; AccumOffset: 12
; Occupancy: 8
; WaveLimiterHint : 0
; COMPUTE_PGM_RSRC2:SCRATCH_EN: 0
; COMPUTE_PGM_RSRC2:USER_SGPR: 2
; COMPUTE_PGM_RSRC2:TRAP_HANDLER: 0
; COMPUTE_PGM_RSRC2:TGID_X_EN: 1
; COMPUTE_PGM_RSRC2:TGID_Y_EN: 0
; COMPUTE_PGM_RSRC2:TGID_Z_EN: 0
; COMPUTE_PGM_RSRC2:TIDIG_COMP_CNT: 0
; COMPUTE_PGM_RSRC3_GFX90A:ACCUM_OFFSET: 2
; COMPUTE_PGM_RSRC3_GFX90A:TG_SPLIT: 0
	.section	.text._ZN9rocsparseL23sddmm_csx_sample_kernelILi512ELi32EL20rocsparse_direction_1E21rocsparse_complex_numIdEiiS3_EEvT4_S4_T3_PKT5_S4_PS6_PKS5_PKS4_21rocsparse_index_base_,"axG",@progbits,_ZN9rocsparseL23sddmm_csx_sample_kernelILi512ELi32EL20rocsparse_direction_1E21rocsparse_complex_numIdEiiS3_EEvT4_S4_T3_PKT5_S4_PS6_PKS5_PKS4_21rocsparse_index_base_,comdat
	.globl	_ZN9rocsparseL23sddmm_csx_sample_kernelILi512ELi32EL20rocsparse_direction_1E21rocsparse_complex_numIdEiiS3_EEvT4_S4_T3_PKT5_S4_PS6_PKS5_PKS4_21rocsparse_index_base_ ; -- Begin function _ZN9rocsparseL23sddmm_csx_sample_kernelILi512ELi32EL20rocsparse_direction_1E21rocsparse_complex_numIdEiiS3_EEvT4_S4_T3_PKT5_S4_PS6_PKS5_PKS4_21rocsparse_index_base_
	.p2align	8
	.type	_ZN9rocsparseL23sddmm_csx_sample_kernelILi512ELi32EL20rocsparse_direction_1E21rocsparse_complex_numIdEiiS3_EEvT4_S4_T3_PKT5_S4_PS6_PKS5_PKS4_21rocsparse_index_base_,@function
_ZN9rocsparseL23sddmm_csx_sample_kernelILi512ELi32EL20rocsparse_direction_1E21rocsparse_complex_numIdEiiS3_EEvT4_S4_T3_PKT5_S4_PS6_PKS5_PKS4_21rocsparse_index_base_: ; @_ZN9rocsparseL23sddmm_csx_sample_kernelILi512ELi32EL20rocsparse_direction_1E21rocsparse_complex_numIdEiiS3_EEvT4_S4_T3_PKT5_S4_PS6_PKS5_PKS4_21rocsparse_index_base_
; %bb.0:
	s_load_dword s3, s[0:1], 0x4
	v_lshrrev_b32_e32 v1, 5, v0
	v_lshl_or_b32 v2, s2, 4, v1
	s_waitcnt lgkmcnt(0)
	v_cmp_gt_u32_e32 vcc, s3, v2
	s_and_saveexec_b64 s[2:3], vcc
	s_cbranch_execz .LBB65_4
; %bb.1:
	s_load_dwordx2 s[2:3], s[0:1], 0x28
	s_load_dword s4, s[0:1], 0x38
	v_mov_b32_e32 v3, 0
	v_and_b32_e32 v0, 31, v0
	s_waitcnt lgkmcnt(0)
	v_lshl_add_u64 v[4:5], v[2:3], 2, s[2:3]
	global_load_dwordx2 v[4:5], v[4:5], off
	v_subrev_u32_e32 v0, s4, v0
	s_waitcnt vmcnt(0)
	v_add_u32_e32 v0, v0, v4
	v_subrev_u32_e32 v6, s4, v5
	v_cmp_lt_i32_e32 vcc, v0, v6
	s_and_b64 exec, exec, vcc
	s_cbranch_execz .LBB65_4
; %bb.2:
	s_load_dwordx2 s[6:7], s[0:1], 0x30
	s_load_dword s5, s[0:1], 0x18
	s_load_dwordx2 s[8:9], s[0:1], 0x20
	s_load_dwordx2 s[2:3], s[0:1], 0x10
	v_ashrrev_i32_e32 v1, 31, v0
	s_mov_b64 s[0:1], 0
	s_waitcnt lgkmcnt(0)
	v_mul_lo_u32 v2, s5, v2
	v_subrev_u32_e32 v7, s4, v2
	v_lshl_add_u64 v[2:3], v[0:1], 2, s[6:7]
	v_lshl_add_u64 v[4:5], v[0:1], 4, s[8:9]
	s_mov_b64 s[4:5], 0x80
	s_mov_b64 s[6:7], 0x200
.LBB65_3:                               ; =>This Inner Loop Header: Depth=1
	global_load_dword v1, v[2:3], off
	v_add_u32_e32 v0, 32, v0
	v_cmp_ge_i32_e32 vcc, v0, v6
	v_lshl_add_u64 v[2:3], v[2:3], 0, s[4:5]
	s_or_b64 s[0:1], vcc, s[0:1]
	s_waitcnt vmcnt(0)
	v_add_u32_e32 v8, v7, v1
	v_ashrrev_i32_e32 v9, 31, v8
	v_lshl_add_u64 v[8:9], v[8:9], 4, s[2:3]
	global_load_dwordx4 v[8:11], v[8:9], off
	s_waitcnt vmcnt(0)
	global_store_dwordx4 v[4:5], v[8:11], off
	v_lshl_add_u64 v[4:5], v[4:5], 0, s[6:7]
	s_andn2_b64 exec, exec, s[0:1]
	s_cbranch_execnz .LBB65_3
.LBB65_4:
	s_endpgm
	.section	.rodata,"a",@progbits
	.p2align	6, 0x0
	.amdhsa_kernel _ZN9rocsparseL23sddmm_csx_sample_kernelILi512ELi32EL20rocsparse_direction_1E21rocsparse_complex_numIdEiiS3_EEvT4_S4_T3_PKT5_S4_PS6_PKS5_PKS4_21rocsparse_index_base_
		.amdhsa_group_segment_fixed_size 0
		.amdhsa_private_segment_fixed_size 0
		.amdhsa_kernarg_size 60
		.amdhsa_user_sgpr_count 2
		.amdhsa_user_sgpr_dispatch_ptr 0
		.amdhsa_user_sgpr_queue_ptr 0
		.amdhsa_user_sgpr_kernarg_segment_ptr 1
		.amdhsa_user_sgpr_dispatch_id 0
		.amdhsa_user_sgpr_kernarg_preload_length 0
		.amdhsa_user_sgpr_kernarg_preload_offset 0
		.amdhsa_user_sgpr_private_segment_size 0
		.amdhsa_uses_dynamic_stack 0
		.amdhsa_enable_private_segment 0
		.amdhsa_system_sgpr_workgroup_id_x 1
		.amdhsa_system_sgpr_workgroup_id_y 0
		.amdhsa_system_sgpr_workgroup_id_z 0
		.amdhsa_system_sgpr_workgroup_info 0
		.amdhsa_system_vgpr_workitem_id 0
		.amdhsa_next_free_vgpr 12
		.amdhsa_next_free_sgpr 10
		.amdhsa_accum_offset 12
		.amdhsa_reserve_vcc 1
		.amdhsa_float_round_mode_32 0
		.amdhsa_float_round_mode_16_64 0
		.amdhsa_float_denorm_mode_32 3
		.amdhsa_float_denorm_mode_16_64 3
		.amdhsa_dx10_clamp 1
		.amdhsa_ieee_mode 1
		.amdhsa_fp16_overflow 0
		.amdhsa_tg_split 0
		.amdhsa_exception_fp_ieee_invalid_op 0
		.amdhsa_exception_fp_denorm_src 0
		.amdhsa_exception_fp_ieee_div_zero 0
		.amdhsa_exception_fp_ieee_overflow 0
		.amdhsa_exception_fp_ieee_underflow 0
		.amdhsa_exception_fp_ieee_inexact 0
		.amdhsa_exception_int_div_zero 0
	.end_amdhsa_kernel
	.section	.text._ZN9rocsparseL23sddmm_csx_sample_kernelILi512ELi32EL20rocsparse_direction_1E21rocsparse_complex_numIdEiiS3_EEvT4_S4_T3_PKT5_S4_PS6_PKS5_PKS4_21rocsparse_index_base_,"axG",@progbits,_ZN9rocsparseL23sddmm_csx_sample_kernelILi512ELi32EL20rocsparse_direction_1E21rocsparse_complex_numIdEiiS3_EEvT4_S4_T3_PKT5_S4_PS6_PKS5_PKS4_21rocsparse_index_base_,comdat
.Lfunc_end65:
	.size	_ZN9rocsparseL23sddmm_csx_sample_kernelILi512ELi32EL20rocsparse_direction_1E21rocsparse_complex_numIdEiiS3_EEvT4_S4_T3_PKT5_S4_PS6_PKS5_PKS4_21rocsparse_index_base_, .Lfunc_end65-_ZN9rocsparseL23sddmm_csx_sample_kernelILi512ELi32EL20rocsparse_direction_1E21rocsparse_complex_numIdEiiS3_EEvT4_S4_T3_PKT5_S4_PS6_PKS5_PKS4_21rocsparse_index_base_
                                        ; -- End function
	.set _ZN9rocsparseL23sddmm_csx_sample_kernelILi512ELi32EL20rocsparse_direction_1E21rocsparse_complex_numIdEiiS3_EEvT4_S4_T3_PKT5_S4_PS6_PKS5_PKS4_21rocsparse_index_base_.num_vgpr, 12
	.set _ZN9rocsparseL23sddmm_csx_sample_kernelILi512ELi32EL20rocsparse_direction_1E21rocsparse_complex_numIdEiiS3_EEvT4_S4_T3_PKT5_S4_PS6_PKS5_PKS4_21rocsparse_index_base_.num_agpr, 0
	.set _ZN9rocsparseL23sddmm_csx_sample_kernelILi512ELi32EL20rocsparse_direction_1E21rocsparse_complex_numIdEiiS3_EEvT4_S4_T3_PKT5_S4_PS6_PKS5_PKS4_21rocsparse_index_base_.numbered_sgpr, 10
	.set _ZN9rocsparseL23sddmm_csx_sample_kernelILi512ELi32EL20rocsparse_direction_1E21rocsparse_complex_numIdEiiS3_EEvT4_S4_T3_PKT5_S4_PS6_PKS5_PKS4_21rocsparse_index_base_.num_named_barrier, 0
	.set _ZN9rocsparseL23sddmm_csx_sample_kernelILi512ELi32EL20rocsparse_direction_1E21rocsparse_complex_numIdEiiS3_EEvT4_S4_T3_PKT5_S4_PS6_PKS5_PKS4_21rocsparse_index_base_.private_seg_size, 0
	.set _ZN9rocsparseL23sddmm_csx_sample_kernelILi512ELi32EL20rocsparse_direction_1E21rocsparse_complex_numIdEiiS3_EEvT4_S4_T3_PKT5_S4_PS6_PKS5_PKS4_21rocsparse_index_base_.uses_vcc, 1
	.set _ZN9rocsparseL23sddmm_csx_sample_kernelILi512ELi32EL20rocsparse_direction_1E21rocsparse_complex_numIdEiiS3_EEvT4_S4_T3_PKT5_S4_PS6_PKS5_PKS4_21rocsparse_index_base_.uses_flat_scratch, 0
	.set _ZN9rocsparseL23sddmm_csx_sample_kernelILi512ELi32EL20rocsparse_direction_1E21rocsparse_complex_numIdEiiS3_EEvT4_S4_T3_PKT5_S4_PS6_PKS5_PKS4_21rocsparse_index_base_.has_dyn_sized_stack, 0
	.set _ZN9rocsparseL23sddmm_csx_sample_kernelILi512ELi32EL20rocsparse_direction_1E21rocsparse_complex_numIdEiiS3_EEvT4_S4_T3_PKT5_S4_PS6_PKS5_PKS4_21rocsparse_index_base_.has_recursion, 0
	.set _ZN9rocsparseL23sddmm_csx_sample_kernelILi512ELi32EL20rocsparse_direction_1E21rocsparse_complex_numIdEiiS3_EEvT4_S4_T3_PKT5_S4_PS6_PKS5_PKS4_21rocsparse_index_base_.has_indirect_call, 0
	.section	.AMDGPU.csdata,"",@progbits
; Kernel info:
; codeLenInByte = 284
; TotalNumSgprs: 16
; NumVgprs: 12
; NumAgprs: 0
; TotalNumVgprs: 12
; ScratchSize: 0
; MemoryBound: 0
; FloatMode: 240
; IeeeMode: 1
; LDSByteSize: 0 bytes/workgroup (compile time only)
; SGPRBlocks: 1
; VGPRBlocks: 1
; NumSGPRsForWavesPerEU: 16
; NumVGPRsForWavesPerEU: 12
; AccumOffset: 12
; Occupancy: 8
; WaveLimiterHint : 0
; COMPUTE_PGM_RSRC2:SCRATCH_EN: 0
; COMPUTE_PGM_RSRC2:USER_SGPR: 2
; COMPUTE_PGM_RSRC2:TRAP_HANDLER: 0
; COMPUTE_PGM_RSRC2:TGID_X_EN: 1
; COMPUTE_PGM_RSRC2:TGID_Y_EN: 0
; COMPUTE_PGM_RSRC2:TGID_Z_EN: 0
; COMPUTE_PGM_RSRC2:TIDIG_COMP_CNT: 0
; COMPUTE_PGM_RSRC3_GFX90A:ACCUM_OFFSET: 2
; COMPUTE_PGM_RSRC3_GFX90A:TG_SPLIT: 0
	.section	.text._ZN9rocsparseL23sddmm_csx_sample_kernelILi512ELi16EL20rocsparse_direction_1E21rocsparse_complex_numIdEiiS3_EEvT4_S4_T3_PKT5_S4_PS6_PKS5_PKS4_21rocsparse_index_base_,"axG",@progbits,_ZN9rocsparseL23sddmm_csx_sample_kernelILi512ELi16EL20rocsparse_direction_1E21rocsparse_complex_numIdEiiS3_EEvT4_S4_T3_PKT5_S4_PS6_PKS5_PKS4_21rocsparse_index_base_,comdat
	.globl	_ZN9rocsparseL23sddmm_csx_sample_kernelILi512ELi16EL20rocsparse_direction_1E21rocsparse_complex_numIdEiiS3_EEvT4_S4_T3_PKT5_S4_PS6_PKS5_PKS4_21rocsparse_index_base_ ; -- Begin function _ZN9rocsparseL23sddmm_csx_sample_kernelILi512ELi16EL20rocsparse_direction_1E21rocsparse_complex_numIdEiiS3_EEvT4_S4_T3_PKT5_S4_PS6_PKS5_PKS4_21rocsparse_index_base_
	.p2align	8
	.type	_ZN9rocsparseL23sddmm_csx_sample_kernelILi512ELi16EL20rocsparse_direction_1E21rocsparse_complex_numIdEiiS3_EEvT4_S4_T3_PKT5_S4_PS6_PKS5_PKS4_21rocsparse_index_base_,@function
_ZN9rocsparseL23sddmm_csx_sample_kernelILi512ELi16EL20rocsparse_direction_1E21rocsparse_complex_numIdEiiS3_EEvT4_S4_T3_PKT5_S4_PS6_PKS5_PKS4_21rocsparse_index_base_: ; @_ZN9rocsparseL23sddmm_csx_sample_kernelILi512ELi16EL20rocsparse_direction_1E21rocsparse_complex_numIdEiiS3_EEvT4_S4_T3_PKT5_S4_PS6_PKS5_PKS4_21rocsparse_index_base_
; %bb.0:
	s_load_dword s3, s[0:1], 0x4
	v_lshrrev_b32_e32 v1, 4, v0
	v_lshl_or_b32 v2, s2, 5, v1
	s_waitcnt lgkmcnt(0)
	v_cmp_gt_u32_e32 vcc, s3, v2
	s_and_saveexec_b64 s[2:3], vcc
	s_cbranch_execz .LBB66_4
; %bb.1:
	s_load_dwordx2 s[2:3], s[0:1], 0x28
	s_load_dword s4, s[0:1], 0x38
	v_mov_b32_e32 v3, 0
	v_and_b32_e32 v0, 15, v0
	s_waitcnt lgkmcnt(0)
	v_lshl_add_u64 v[4:5], v[2:3], 2, s[2:3]
	global_load_dwordx2 v[4:5], v[4:5], off
	v_subrev_u32_e32 v0, s4, v0
	s_waitcnt vmcnt(0)
	v_add_u32_e32 v0, v0, v4
	v_subrev_u32_e32 v6, s4, v5
	v_cmp_lt_i32_e32 vcc, v0, v6
	s_and_b64 exec, exec, vcc
	s_cbranch_execz .LBB66_4
; %bb.2:
	s_load_dwordx2 s[6:7], s[0:1], 0x30
	s_load_dword s5, s[0:1], 0x18
	s_load_dwordx2 s[8:9], s[0:1], 0x20
	s_load_dwordx2 s[2:3], s[0:1], 0x10
	v_ashrrev_i32_e32 v1, 31, v0
	s_mov_b64 s[0:1], 0
	s_waitcnt lgkmcnt(0)
	v_mul_lo_u32 v2, s5, v2
	v_subrev_u32_e32 v7, s4, v2
	v_lshl_add_u64 v[2:3], v[0:1], 2, s[6:7]
	v_lshl_add_u64 v[4:5], v[0:1], 4, s[8:9]
	s_mov_b64 s[4:5], 0x100
.LBB66_3:                               ; =>This Inner Loop Header: Depth=1
	global_load_dword v1, v[2:3], off
	v_add_u32_e32 v0, 16, v0
	v_cmp_ge_i32_e32 vcc, v0, v6
	v_lshl_add_u64 v[2:3], v[2:3], 0, 64
	s_or_b64 s[0:1], vcc, s[0:1]
	s_waitcnt vmcnt(0)
	v_add_u32_e32 v8, v7, v1
	v_ashrrev_i32_e32 v9, 31, v8
	v_lshl_add_u64 v[8:9], v[8:9], 4, s[2:3]
	global_load_dwordx4 v[8:11], v[8:9], off
	s_waitcnt vmcnt(0)
	global_store_dwordx4 v[4:5], v[8:11], off
	v_lshl_add_u64 v[4:5], v[4:5], 0, s[4:5]
	s_andn2_b64 exec, exec, s[0:1]
	s_cbranch_execnz .LBB66_3
.LBB66_4:
	s_endpgm
	.section	.rodata,"a",@progbits
	.p2align	6, 0x0
	.amdhsa_kernel _ZN9rocsparseL23sddmm_csx_sample_kernelILi512ELi16EL20rocsparse_direction_1E21rocsparse_complex_numIdEiiS3_EEvT4_S4_T3_PKT5_S4_PS6_PKS5_PKS4_21rocsparse_index_base_
		.amdhsa_group_segment_fixed_size 0
		.amdhsa_private_segment_fixed_size 0
		.amdhsa_kernarg_size 60
		.amdhsa_user_sgpr_count 2
		.amdhsa_user_sgpr_dispatch_ptr 0
		.amdhsa_user_sgpr_queue_ptr 0
		.amdhsa_user_sgpr_kernarg_segment_ptr 1
		.amdhsa_user_sgpr_dispatch_id 0
		.amdhsa_user_sgpr_kernarg_preload_length 0
		.amdhsa_user_sgpr_kernarg_preload_offset 0
		.amdhsa_user_sgpr_private_segment_size 0
		.amdhsa_uses_dynamic_stack 0
		.amdhsa_enable_private_segment 0
		.amdhsa_system_sgpr_workgroup_id_x 1
		.amdhsa_system_sgpr_workgroup_id_y 0
		.amdhsa_system_sgpr_workgroup_id_z 0
		.amdhsa_system_sgpr_workgroup_info 0
		.amdhsa_system_vgpr_workitem_id 0
		.amdhsa_next_free_vgpr 12
		.amdhsa_next_free_sgpr 10
		.amdhsa_accum_offset 12
		.amdhsa_reserve_vcc 1
		.amdhsa_float_round_mode_32 0
		.amdhsa_float_round_mode_16_64 0
		.amdhsa_float_denorm_mode_32 3
		.amdhsa_float_denorm_mode_16_64 3
		.amdhsa_dx10_clamp 1
		.amdhsa_ieee_mode 1
		.amdhsa_fp16_overflow 0
		.amdhsa_tg_split 0
		.amdhsa_exception_fp_ieee_invalid_op 0
		.amdhsa_exception_fp_denorm_src 0
		.amdhsa_exception_fp_ieee_div_zero 0
		.amdhsa_exception_fp_ieee_overflow 0
		.amdhsa_exception_fp_ieee_underflow 0
		.amdhsa_exception_fp_ieee_inexact 0
		.amdhsa_exception_int_div_zero 0
	.end_amdhsa_kernel
	.section	.text._ZN9rocsparseL23sddmm_csx_sample_kernelILi512ELi16EL20rocsparse_direction_1E21rocsparse_complex_numIdEiiS3_EEvT4_S4_T3_PKT5_S4_PS6_PKS5_PKS4_21rocsparse_index_base_,"axG",@progbits,_ZN9rocsparseL23sddmm_csx_sample_kernelILi512ELi16EL20rocsparse_direction_1E21rocsparse_complex_numIdEiiS3_EEvT4_S4_T3_PKT5_S4_PS6_PKS5_PKS4_21rocsparse_index_base_,comdat
.Lfunc_end66:
	.size	_ZN9rocsparseL23sddmm_csx_sample_kernelILi512ELi16EL20rocsparse_direction_1E21rocsparse_complex_numIdEiiS3_EEvT4_S4_T3_PKT5_S4_PS6_PKS5_PKS4_21rocsparse_index_base_, .Lfunc_end66-_ZN9rocsparseL23sddmm_csx_sample_kernelILi512ELi16EL20rocsparse_direction_1E21rocsparse_complex_numIdEiiS3_EEvT4_S4_T3_PKT5_S4_PS6_PKS5_PKS4_21rocsparse_index_base_
                                        ; -- End function
	.set _ZN9rocsparseL23sddmm_csx_sample_kernelILi512ELi16EL20rocsparse_direction_1E21rocsparse_complex_numIdEiiS3_EEvT4_S4_T3_PKT5_S4_PS6_PKS5_PKS4_21rocsparse_index_base_.num_vgpr, 12
	.set _ZN9rocsparseL23sddmm_csx_sample_kernelILi512ELi16EL20rocsparse_direction_1E21rocsparse_complex_numIdEiiS3_EEvT4_S4_T3_PKT5_S4_PS6_PKS5_PKS4_21rocsparse_index_base_.num_agpr, 0
	.set _ZN9rocsparseL23sddmm_csx_sample_kernelILi512ELi16EL20rocsparse_direction_1E21rocsparse_complex_numIdEiiS3_EEvT4_S4_T3_PKT5_S4_PS6_PKS5_PKS4_21rocsparse_index_base_.numbered_sgpr, 10
	.set _ZN9rocsparseL23sddmm_csx_sample_kernelILi512ELi16EL20rocsparse_direction_1E21rocsparse_complex_numIdEiiS3_EEvT4_S4_T3_PKT5_S4_PS6_PKS5_PKS4_21rocsparse_index_base_.num_named_barrier, 0
	.set _ZN9rocsparseL23sddmm_csx_sample_kernelILi512ELi16EL20rocsparse_direction_1E21rocsparse_complex_numIdEiiS3_EEvT4_S4_T3_PKT5_S4_PS6_PKS5_PKS4_21rocsparse_index_base_.private_seg_size, 0
	.set _ZN9rocsparseL23sddmm_csx_sample_kernelILi512ELi16EL20rocsparse_direction_1E21rocsparse_complex_numIdEiiS3_EEvT4_S4_T3_PKT5_S4_PS6_PKS5_PKS4_21rocsparse_index_base_.uses_vcc, 1
	.set _ZN9rocsparseL23sddmm_csx_sample_kernelILi512ELi16EL20rocsparse_direction_1E21rocsparse_complex_numIdEiiS3_EEvT4_S4_T3_PKT5_S4_PS6_PKS5_PKS4_21rocsparse_index_base_.uses_flat_scratch, 0
	.set _ZN9rocsparseL23sddmm_csx_sample_kernelILi512ELi16EL20rocsparse_direction_1E21rocsparse_complex_numIdEiiS3_EEvT4_S4_T3_PKT5_S4_PS6_PKS5_PKS4_21rocsparse_index_base_.has_dyn_sized_stack, 0
	.set _ZN9rocsparseL23sddmm_csx_sample_kernelILi512ELi16EL20rocsparse_direction_1E21rocsparse_complex_numIdEiiS3_EEvT4_S4_T3_PKT5_S4_PS6_PKS5_PKS4_21rocsparse_index_base_.has_recursion, 0
	.set _ZN9rocsparseL23sddmm_csx_sample_kernelILi512ELi16EL20rocsparse_direction_1E21rocsparse_complex_numIdEiiS3_EEvT4_S4_T3_PKT5_S4_PS6_PKS5_PKS4_21rocsparse_index_base_.has_indirect_call, 0
	.section	.AMDGPU.csdata,"",@progbits
; Kernel info:
; codeLenInByte = 276
; TotalNumSgprs: 16
; NumVgprs: 12
; NumAgprs: 0
; TotalNumVgprs: 12
; ScratchSize: 0
; MemoryBound: 0
; FloatMode: 240
; IeeeMode: 1
; LDSByteSize: 0 bytes/workgroup (compile time only)
; SGPRBlocks: 1
; VGPRBlocks: 1
; NumSGPRsForWavesPerEU: 16
; NumVGPRsForWavesPerEU: 12
; AccumOffset: 12
; Occupancy: 8
; WaveLimiterHint : 0
; COMPUTE_PGM_RSRC2:SCRATCH_EN: 0
; COMPUTE_PGM_RSRC2:USER_SGPR: 2
; COMPUTE_PGM_RSRC2:TRAP_HANDLER: 0
; COMPUTE_PGM_RSRC2:TGID_X_EN: 1
; COMPUTE_PGM_RSRC2:TGID_Y_EN: 0
; COMPUTE_PGM_RSRC2:TGID_Z_EN: 0
; COMPUTE_PGM_RSRC2:TIDIG_COMP_CNT: 0
; COMPUTE_PGM_RSRC3_GFX90A:ACCUM_OFFSET: 2
; COMPUTE_PGM_RSRC3_GFX90A:TG_SPLIT: 0
	.section	.text._ZN9rocsparseL23sddmm_csx_sample_kernelILi512ELi8EL20rocsparse_direction_1E21rocsparse_complex_numIdEiiS3_EEvT4_S4_T3_PKT5_S4_PS6_PKS5_PKS4_21rocsparse_index_base_,"axG",@progbits,_ZN9rocsparseL23sddmm_csx_sample_kernelILi512ELi8EL20rocsparse_direction_1E21rocsparse_complex_numIdEiiS3_EEvT4_S4_T3_PKT5_S4_PS6_PKS5_PKS4_21rocsparse_index_base_,comdat
	.globl	_ZN9rocsparseL23sddmm_csx_sample_kernelILi512ELi8EL20rocsparse_direction_1E21rocsparse_complex_numIdEiiS3_EEvT4_S4_T3_PKT5_S4_PS6_PKS5_PKS4_21rocsparse_index_base_ ; -- Begin function _ZN9rocsparseL23sddmm_csx_sample_kernelILi512ELi8EL20rocsparse_direction_1E21rocsparse_complex_numIdEiiS3_EEvT4_S4_T3_PKT5_S4_PS6_PKS5_PKS4_21rocsparse_index_base_
	.p2align	8
	.type	_ZN9rocsparseL23sddmm_csx_sample_kernelILi512ELi8EL20rocsparse_direction_1E21rocsparse_complex_numIdEiiS3_EEvT4_S4_T3_PKT5_S4_PS6_PKS5_PKS4_21rocsparse_index_base_,@function
_ZN9rocsparseL23sddmm_csx_sample_kernelILi512ELi8EL20rocsparse_direction_1E21rocsparse_complex_numIdEiiS3_EEvT4_S4_T3_PKT5_S4_PS6_PKS5_PKS4_21rocsparse_index_base_: ; @_ZN9rocsparseL23sddmm_csx_sample_kernelILi512ELi8EL20rocsparse_direction_1E21rocsparse_complex_numIdEiiS3_EEvT4_S4_T3_PKT5_S4_PS6_PKS5_PKS4_21rocsparse_index_base_
; %bb.0:
	s_load_dword s3, s[0:1], 0x4
	v_lshrrev_b32_e32 v1, 3, v0
	v_lshl_or_b32 v2, s2, 6, v1
	s_waitcnt lgkmcnt(0)
	v_cmp_gt_u32_e32 vcc, s3, v2
	s_and_saveexec_b64 s[2:3], vcc
	s_cbranch_execz .LBB67_4
; %bb.1:
	s_load_dwordx2 s[2:3], s[0:1], 0x28
	s_load_dword s4, s[0:1], 0x38
	v_mov_b32_e32 v3, 0
	v_and_b32_e32 v0, 7, v0
	s_waitcnt lgkmcnt(0)
	v_lshl_add_u64 v[4:5], v[2:3], 2, s[2:3]
	global_load_dwordx2 v[4:5], v[4:5], off
	v_subrev_u32_e32 v0, s4, v0
	s_waitcnt vmcnt(0)
	v_add_u32_e32 v0, v0, v4
	v_subrev_u32_e32 v6, s4, v5
	v_cmp_lt_i32_e32 vcc, v0, v6
	s_and_b64 exec, exec, vcc
	s_cbranch_execz .LBB67_4
; %bb.2:
	s_load_dwordx2 s[6:7], s[0:1], 0x30
	s_load_dword s5, s[0:1], 0x18
	s_load_dwordx2 s[8:9], s[0:1], 0x20
	s_load_dwordx2 s[2:3], s[0:1], 0x10
	v_ashrrev_i32_e32 v1, 31, v0
	s_mov_b64 s[0:1], 0
	s_waitcnt lgkmcnt(0)
	v_mul_lo_u32 v2, s5, v2
	v_subrev_u32_e32 v7, s4, v2
	v_lshl_add_u64 v[2:3], v[0:1], 2, s[6:7]
	v_lshl_add_u64 v[4:5], v[0:1], 4, s[8:9]
	s_mov_b64 s[4:5], 0x80
.LBB67_3:                               ; =>This Inner Loop Header: Depth=1
	global_load_dword v1, v[2:3], off
	v_add_u32_e32 v0, 8, v0
	v_cmp_ge_i32_e32 vcc, v0, v6
	v_lshl_add_u64 v[2:3], v[2:3], 0, 32
	s_or_b64 s[0:1], vcc, s[0:1]
	s_waitcnt vmcnt(0)
	v_add_u32_e32 v8, v7, v1
	v_ashrrev_i32_e32 v9, 31, v8
	v_lshl_add_u64 v[8:9], v[8:9], 4, s[2:3]
	global_load_dwordx4 v[8:11], v[8:9], off
	s_waitcnt vmcnt(0)
	global_store_dwordx4 v[4:5], v[8:11], off
	v_lshl_add_u64 v[4:5], v[4:5], 0, s[4:5]
	s_andn2_b64 exec, exec, s[0:1]
	s_cbranch_execnz .LBB67_3
.LBB67_4:
	s_endpgm
	.section	.rodata,"a",@progbits
	.p2align	6, 0x0
	.amdhsa_kernel _ZN9rocsparseL23sddmm_csx_sample_kernelILi512ELi8EL20rocsparse_direction_1E21rocsparse_complex_numIdEiiS3_EEvT4_S4_T3_PKT5_S4_PS6_PKS5_PKS4_21rocsparse_index_base_
		.amdhsa_group_segment_fixed_size 0
		.amdhsa_private_segment_fixed_size 0
		.amdhsa_kernarg_size 60
		.amdhsa_user_sgpr_count 2
		.amdhsa_user_sgpr_dispatch_ptr 0
		.amdhsa_user_sgpr_queue_ptr 0
		.amdhsa_user_sgpr_kernarg_segment_ptr 1
		.amdhsa_user_sgpr_dispatch_id 0
		.amdhsa_user_sgpr_kernarg_preload_length 0
		.amdhsa_user_sgpr_kernarg_preload_offset 0
		.amdhsa_user_sgpr_private_segment_size 0
		.amdhsa_uses_dynamic_stack 0
		.amdhsa_enable_private_segment 0
		.amdhsa_system_sgpr_workgroup_id_x 1
		.amdhsa_system_sgpr_workgroup_id_y 0
		.amdhsa_system_sgpr_workgroup_id_z 0
		.amdhsa_system_sgpr_workgroup_info 0
		.amdhsa_system_vgpr_workitem_id 0
		.amdhsa_next_free_vgpr 12
		.amdhsa_next_free_sgpr 10
		.amdhsa_accum_offset 12
		.amdhsa_reserve_vcc 1
		.amdhsa_float_round_mode_32 0
		.amdhsa_float_round_mode_16_64 0
		.amdhsa_float_denorm_mode_32 3
		.amdhsa_float_denorm_mode_16_64 3
		.amdhsa_dx10_clamp 1
		.amdhsa_ieee_mode 1
		.amdhsa_fp16_overflow 0
		.amdhsa_tg_split 0
		.amdhsa_exception_fp_ieee_invalid_op 0
		.amdhsa_exception_fp_denorm_src 0
		.amdhsa_exception_fp_ieee_div_zero 0
		.amdhsa_exception_fp_ieee_overflow 0
		.amdhsa_exception_fp_ieee_underflow 0
		.amdhsa_exception_fp_ieee_inexact 0
		.amdhsa_exception_int_div_zero 0
	.end_amdhsa_kernel
	.section	.text._ZN9rocsparseL23sddmm_csx_sample_kernelILi512ELi8EL20rocsparse_direction_1E21rocsparse_complex_numIdEiiS3_EEvT4_S4_T3_PKT5_S4_PS6_PKS5_PKS4_21rocsparse_index_base_,"axG",@progbits,_ZN9rocsparseL23sddmm_csx_sample_kernelILi512ELi8EL20rocsparse_direction_1E21rocsparse_complex_numIdEiiS3_EEvT4_S4_T3_PKT5_S4_PS6_PKS5_PKS4_21rocsparse_index_base_,comdat
.Lfunc_end67:
	.size	_ZN9rocsparseL23sddmm_csx_sample_kernelILi512ELi8EL20rocsparse_direction_1E21rocsparse_complex_numIdEiiS3_EEvT4_S4_T3_PKT5_S4_PS6_PKS5_PKS4_21rocsparse_index_base_, .Lfunc_end67-_ZN9rocsparseL23sddmm_csx_sample_kernelILi512ELi8EL20rocsparse_direction_1E21rocsparse_complex_numIdEiiS3_EEvT4_S4_T3_PKT5_S4_PS6_PKS5_PKS4_21rocsparse_index_base_
                                        ; -- End function
	.set _ZN9rocsparseL23sddmm_csx_sample_kernelILi512ELi8EL20rocsparse_direction_1E21rocsparse_complex_numIdEiiS3_EEvT4_S4_T3_PKT5_S4_PS6_PKS5_PKS4_21rocsparse_index_base_.num_vgpr, 12
	.set _ZN9rocsparseL23sddmm_csx_sample_kernelILi512ELi8EL20rocsparse_direction_1E21rocsparse_complex_numIdEiiS3_EEvT4_S4_T3_PKT5_S4_PS6_PKS5_PKS4_21rocsparse_index_base_.num_agpr, 0
	.set _ZN9rocsparseL23sddmm_csx_sample_kernelILi512ELi8EL20rocsparse_direction_1E21rocsparse_complex_numIdEiiS3_EEvT4_S4_T3_PKT5_S4_PS6_PKS5_PKS4_21rocsparse_index_base_.numbered_sgpr, 10
	.set _ZN9rocsparseL23sddmm_csx_sample_kernelILi512ELi8EL20rocsparse_direction_1E21rocsparse_complex_numIdEiiS3_EEvT4_S4_T3_PKT5_S4_PS6_PKS5_PKS4_21rocsparse_index_base_.num_named_barrier, 0
	.set _ZN9rocsparseL23sddmm_csx_sample_kernelILi512ELi8EL20rocsparse_direction_1E21rocsparse_complex_numIdEiiS3_EEvT4_S4_T3_PKT5_S4_PS6_PKS5_PKS4_21rocsparse_index_base_.private_seg_size, 0
	.set _ZN9rocsparseL23sddmm_csx_sample_kernelILi512ELi8EL20rocsparse_direction_1E21rocsparse_complex_numIdEiiS3_EEvT4_S4_T3_PKT5_S4_PS6_PKS5_PKS4_21rocsparse_index_base_.uses_vcc, 1
	.set _ZN9rocsparseL23sddmm_csx_sample_kernelILi512ELi8EL20rocsparse_direction_1E21rocsparse_complex_numIdEiiS3_EEvT4_S4_T3_PKT5_S4_PS6_PKS5_PKS4_21rocsparse_index_base_.uses_flat_scratch, 0
	.set _ZN9rocsparseL23sddmm_csx_sample_kernelILi512ELi8EL20rocsparse_direction_1E21rocsparse_complex_numIdEiiS3_EEvT4_S4_T3_PKT5_S4_PS6_PKS5_PKS4_21rocsparse_index_base_.has_dyn_sized_stack, 0
	.set _ZN9rocsparseL23sddmm_csx_sample_kernelILi512ELi8EL20rocsparse_direction_1E21rocsparse_complex_numIdEiiS3_EEvT4_S4_T3_PKT5_S4_PS6_PKS5_PKS4_21rocsparse_index_base_.has_recursion, 0
	.set _ZN9rocsparseL23sddmm_csx_sample_kernelILi512ELi8EL20rocsparse_direction_1E21rocsparse_complex_numIdEiiS3_EEvT4_S4_T3_PKT5_S4_PS6_PKS5_PKS4_21rocsparse_index_base_.has_indirect_call, 0
	.section	.AMDGPU.csdata,"",@progbits
; Kernel info:
; codeLenInByte = 276
; TotalNumSgprs: 16
; NumVgprs: 12
; NumAgprs: 0
; TotalNumVgprs: 12
; ScratchSize: 0
; MemoryBound: 0
; FloatMode: 240
; IeeeMode: 1
; LDSByteSize: 0 bytes/workgroup (compile time only)
; SGPRBlocks: 1
; VGPRBlocks: 1
; NumSGPRsForWavesPerEU: 16
; NumVGPRsForWavesPerEU: 12
; AccumOffset: 12
; Occupancy: 8
; WaveLimiterHint : 0
; COMPUTE_PGM_RSRC2:SCRATCH_EN: 0
; COMPUTE_PGM_RSRC2:USER_SGPR: 2
; COMPUTE_PGM_RSRC2:TRAP_HANDLER: 0
; COMPUTE_PGM_RSRC2:TGID_X_EN: 1
; COMPUTE_PGM_RSRC2:TGID_Y_EN: 0
; COMPUTE_PGM_RSRC2:TGID_Z_EN: 0
; COMPUTE_PGM_RSRC2:TIDIG_COMP_CNT: 0
; COMPUTE_PGM_RSRC3_GFX90A:ACCUM_OFFSET: 2
; COMPUTE_PGM_RSRC3_GFX90A:TG_SPLIT: 0
	.section	.text._ZN9rocsparseL23sddmm_csx_sample_kernelILi512ELi4EL20rocsparse_direction_1E21rocsparse_complex_numIdEiiS3_EEvT4_S4_T3_PKT5_S4_PS6_PKS5_PKS4_21rocsparse_index_base_,"axG",@progbits,_ZN9rocsparseL23sddmm_csx_sample_kernelILi512ELi4EL20rocsparse_direction_1E21rocsparse_complex_numIdEiiS3_EEvT4_S4_T3_PKT5_S4_PS6_PKS5_PKS4_21rocsparse_index_base_,comdat
	.globl	_ZN9rocsparseL23sddmm_csx_sample_kernelILi512ELi4EL20rocsparse_direction_1E21rocsparse_complex_numIdEiiS3_EEvT4_S4_T3_PKT5_S4_PS6_PKS5_PKS4_21rocsparse_index_base_ ; -- Begin function _ZN9rocsparseL23sddmm_csx_sample_kernelILi512ELi4EL20rocsparse_direction_1E21rocsparse_complex_numIdEiiS3_EEvT4_S4_T3_PKT5_S4_PS6_PKS5_PKS4_21rocsparse_index_base_
	.p2align	8
	.type	_ZN9rocsparseL23sddmm_csx_sample_kernelILi512ELi4EL20rocsparse_direction_1E21rocsparse_complex_numIdEiiS3_EEvT4_S4_T3_PKT5_S4_PS6_PKS5_PKS4_21rocsparse_index_base_,@function
_ZN9rocsparseL23sddmm_csx_sample_kernelILi512ELi4EL20rocsparse_direction_1E21rocsparse_complex_numIdEiiS3_EEvT4_S4_T3_PKT5_S4_PS6_PKS5_PKS4_21rocsparse_index_base_: ; @_ZN9rocsparseL23sddmm_csx_sample_kernelILi512ELi4EL20rocsparse_direction_1E21rocsparse_complex_numIdEiiS3_EEvT4_S4_T3_PKT5_S4_PS6_PKS5_PKS4_21rocsparse_index_base_
; %bb.0:
	s_load_dword s3, s[0:1], 0x4
	v_lshrrev_b32_e32 v1, 2, v0
	v_lshl_or_b32 v2, s2, 7, v1
	s_waitcnt lgkmcnt(0)
	v_cmp_gt_u32_e32 vcc, s3, v2
	s_and_saveexec_b64 s[2:3], vcc
	s_cbranch_execz .LBB68_4
; %bb.1:
	s_load_dwordx2 s[2:3], s[0:1], 0x28
	s_load_dword s4, s[0:1], 0x38
	v_mov_b32_e32 v3, 0
	v_and_b32_e32 v0, 3, v0
	s_waitcnt lgkmcnt(0)
	v_lshl_add_u64 v[4:5], v[2:3], 2, s[2:3]
	global_load_dwordx2 v[4:5], v[4:5], off
	v_subrev_u32_e32 v0, s4, v0
	s_waitcnt vmcnt(0)
	v_add_u32_e32 v0, v0, v4
	v_subrev_u32_e32 v6, s4, v5
	v_cmp_lt_i32_e32 vcc, v0, v6
	s_and_b64 exec, exec, vcc
	s_cbranch_execz .LBB68_4
; %bb.2:
	s_load_dwordx2 s[6:7], s[0:1], 0x30
	s_load_dword s5, s[0:1], 0x18
	s_load_dwordx2 s[8:9], s[0:1], 0x20
	s_load_dwordx2 s[2:3], s[0:1], 0x10
	v_ashrrev_i32_e32 v1, 31, v0
	s_mov_b64 s[0:1], 0
	s_waitcnt lgkmcnt(0)
	v_mul_lo_u32 v2, s5, v2
	v_subrev_u32_e32 v7, s4, v2
	v_lshl_add_u64 v[2:3], v[0:1], 2, s[6:7]
	v_lshl_add_u64 v[4:5], v[0:1], 4, s[8:9]
.LBB68_3:                               ; =>This Inner Loop Header: Depth=1
	global_load_dword v1, v[2:3], off
	v_add_u32_e32 v0, 4, v0
	v_cmp_ge_i32_e32 vcc, v0, v6
	v_lshl_add_u64 v[2:3], v[2:3], 0, 16
	s_or_b64 s[0:1], vcc, s[0:1]
	s_waitcnt vmcnt(0)
	v_add_u32_e32 v8, v7, v1
	v_ashrrev_i32_e32 v9, 31, v8
	v_lshl_add_u64 v[8:9], v[8:9], 4, s[2:3]
	global_load_dwordx4 v[8:11], v[8:9], off
	s_waitcnt vmcnt(0)
	global_store_dwordx4 v[4:5], v[8:11], off
	v_lshl_add_u64 v[4:5], v[4:5], 0, 64
	s_andn2_b64 exec, exec, s[0:1]
	s_cbranch_execnz .LBB68_3
.LBB68_4:
	s_endpgm
	.section	.rodata,"a",@progbits
	.p2align	6, 0x0
	.amdhsa_kernel _ZN9rocsparseL23sddmm_csx_sample_kernelILi512ELi4EL20rocsparse_direction_1E21rocsparse_complex_numIdEiiS3_EEvT4_S4_T3_PKT5_S4_PS6_PKS5_PKS4_21rocsparse_index_base_
		.amdhsa_group_segment_fixed_size 0
		.amdhsa_private_segment_fixed_size 0
		.amdhsa_kernarg_size 60
		.amdhsa_user_sgpr_count 2
		.amdhsa_user_sgpr_dispatch_ptr 0
		.amdhsa_user_sgpr_queue_ptr 0
		.amdhsa_user_sgpr_kernarg_segment_ptr 1
		.amdhsa_user_sgpr_dispatch_id 0
		.amdhsa_user_sgpr_kernarg_preload_length 0
		.amdhsa_user_sgpr_kernarg_preload_offset 0
		.amdhsa_user_sgpr_private_segment_size 0
		.amdhsa_uses_dynamic_stack 0
		.amdhsa_enable_private_segment 0
		.amdhsa_system_sgpr_workgroup_id_x 1
		.amdhsa_system_sgpr_workgroup_id_y 0
		.amdhsa_system_sgpr_workgroup_id_z 0
		.amdhsa_system_sgpr_workgroup_info 0
		.amdhsa_system_vgpr_workitem_id 0
		.amdhsa_next_free_vgpr 12
		.amdhsa_next_free_sgpr 10
		.amdhsa_accum_offset 12
		.amdhsa_reserve_vcc 1
		.amdhsa_float_round_mode_32 0
		.amdhsa_float_round_mode_16_64 0
		.amdhsa_float_denorm_mode_32 3
		.amdhsa_float_denorm_mode_16_64 3
		.amdhsa_dx10_clamp 1
		.amdhsa_ieee_mode 1
		.amdhsa_fp16_overflow 0
		.amdhsa_tg_split 0
		.amdhsa_exception_fp_ieee_invalid_op 0
		.amdhsa_exception_fp_denorm_src 0
		.amdhsa_exception_fp_ieee_div_zero 0
		.amdhsa_exception_fp_ieee_overflow 0
		.amdhsa_exception_fp_ieee_underflow 0
		.amdhsa_exception_fp_ieee_inexact 0
		.amdhsa_exception_int_div_zero 0
	.end_amdhsa_kernel
	.section	.text._ZN9rocsparseL23sddmm_csx_sample_kernelILi512ELi4EL20rocsparse_direction_1E21rocsparse_complex_numIdEiiS3_EEvT4_S4_T3_PKT5_S4_PS6_PKS5_PKS4_21rocsparse_index_base_,"axG",@progbits,_ZN9rocsparseL23sddmm_csx_sample_kernelILi512ELi4EL20rocsparse_direction_1E21rocsparse_complex_numIdEiiS3_EEvT4_S4_T3_PKT5_S4_PS6_PKS5_PKS4_21rocsparse_index_base_,comdat
.Lfunc_end68:
	.size	_ZN9rocsparseL23sddmm_csx_sample_kernelILi512ELi4EL20rocsparse_direction_1E21rocsparse_complex_numIdEiiS3_EEvT4_S4_T3_PKT5_S4_PS6_PKS5_PKS4_21rocsparse_index_base_, .Lfunc_end68-_ZN9rocsparseL23sddmm_csx_sample_kernelILi512ELi4EL20rocsparse_direction_1E21rocsparse_complex_numIdEiiS3_EEvT4_S4_T3_PKT5_S4_PS6_PKS5_PKS4_21rocsparse_index_base_
                                        ; -- End function
	.set _ZN9rocsparseL23sddmm_csx_sample_kernelILi512ELi4EL20rocsparse_direction_1E21rocsparse_complex_numIdEiiS3_EEvT4_S4_T3_PKT5_S4_PS6_PKS5_PKS4_21rocsparse_index_base_.num_vgpr, 12
	.set _ZN9rocsparseL23sddmm_csx_sample_kernelILi512ELi4EL20rocsparse_direction_1E21rocsparse_complex_numIdEiiS3_EEvT4_S4_T3_PKT5_S4_PS6_PKS5_PKS4_21rocsparse_index_base_.num_agpr, 0
	.set _ZN9rocsparseL23sddmm_csx_sample_kernelILi512ELi4EL20rocsparse_direction_1E21rocsparse_complex_numIdEiiS3_EEvT4_S4_T3_PKT5_S4_PS6_PKS5_PKS4_21rocsparse_index_base_.numbered_sgpr, 10
	.set _ZN9rocsparseL23sddmm_csx_sample_kernelILi512ELi4EL20rocsparse_direction_1E21rocsparse_complex_numIdEiiS3_EEvT4_S4_T3_PKT5_S4_PS6_PKS5_PKS4_21rocsparse_index_base_.num_named_barrier, 0
	.set _ZN9rocsparseL23sddmm_csx_sample_kernelILi512ELi4EL20rocsparse_direction_1E21rocsparse_complex_numIdEiiS3_EEvT4_S4_T3_PKT5_S4_PS6_PKS5_PKS4_21rocsparse_index_base_.private_seg_size, 0
	.set _ZN9rocsparseL23sddmm_csx_sample_kernelILi512ELi4EL20rocsparse_direction_1E21rocsparse_complex_numIdEiiS3_EEvT4_S4_T3_PKT5_S4_PS6_PKS5_PKS4_21rocsparse_index_base_.uses_vcc, 1
	.set _ZN9rocsparseL23sddmm_csx_sample_kernelILi512ELi4EL20rocsparse_direction_1E21rocsparse_complex_numIdEiiS3_EEvT4_S4_T3_PKT5_S4_PS6_PKS5_PKS4_21rocsparse_index_base_.uses_flat_scratch, 0
	.set _ZN9rocsparseL23sddmm_csx_sample_kernelILi512ELi4EL20rocsparse_direction_1E21rocsparse_complex_numIdEiiS3_EEvT4_S4_T3_PKT5_S4_PS6_PKS5_PKS4_21rocsparse_index_base_.has_dyn_sized_stack, 0
	.set _ZN9rocsparseL23sddmm_csx_sample_kernelILi512ELi4EL20rocsparse_direction_1E21rocsparse_complex_numIdEiiS3_EEvT4_S4_T3_PKT5_S4_PS6_PKS5_PKS4_21rocsparse_index_base_.has_recursion, 0
	.set _ZN9rocsparseL23sddmm_csx_sample_kernelILi512ELi4EL20rocsparse_direction_1E21rocsparse_complex_numIdEiiS3_EEvT4_S4_T3_PKT5_S4_PS6_PKS5_PKS4_21rocsparse_index_base_.has_indirect_call, 0
	.section	.AMDGPU.csdata,"",@progbits
; Kernel info:
; codeLenInByte = 268
; TotalNumSgprs: 16
; NumVgprs: 12
; NumAgprs: 0
; TotalNumVgprs: 12
; ScratchSize: 0
; MemoryBound: 0
; FloatMode: 240
; IeeeMode: 1
; LDSByteSize: 0 bytes/workgroup (compile time only)
; SGPRBlocks: 1
; VGPRBlocks: 1
; NumSGPRsForWavesPerEU: 16
; NumVGPRsForWavesPerEU: 12
; AccumOffset: 12
; Occupancy: 8
; WaveLimiterHint : 0
; COMPUTE_PGM_RSRC2:SCRATCH_EN: 0
; COMPUTE_PGM_RSRC2:USER_SGPR: 2
; COMPUTE_PGM_RSRC2:TRAP_HANDLER: 0
; COMPUTE_PGM_RSRC2:TGID_X_EN: 1
; COMPUTE_PGM_RSRC2:TGID_Y_EN: 0
; COMPUTE_PGM_RSRC2:TGID_Z_EN: 0
; COMPUTE_PGM_RSRC2:TIDIG_COMP_CNT: 0
; COMPUTE_PGM_RSRC3_GFX90A:ACCUM_OFFSET: 2
; COMPUTE_PGM_RSRC3_GFX90A:TG_SPLIT: 0
	.section	.text._ZN9rocsparseL23sddmm_csx_sample_kernelILi512ELi2EL20rocsparse_direction_1E21rocsparse_complex_numIdEiiS3_EEvT4_S4_T3_PKT5_S4_PS6_PKS5_PKS4_21rocsparse_index_base_,"axG",@progbits,_ZN9rocsparseL23sddmm_csx_sample_kernelILi512ELi2EL20rocsparse_direction_1E21rocsparse_complex_numIdEiiS3_EEvT4_S4_T3_PKT5_S4_PS6_PKS5_PKS4_21rocsparse_index_base_,comdat
	.globl	_ZN9rocsparseL23sddmm_csx_sample_kernelILi512ELi2EL20rocsparse_direction_1E21rocsparse_complex_numIdEiiS3_EEvT4_S4_T3_PKT5_S4_PS6_PKS5_PKS4_21rocsparse_index_base_ ; -- Begin function _ZN9rocsparseL23sddmm_csx_sample_kernelILi512ELi2EL20rocsparse_direction_1E21rocsparse_complex_numIdEiiS3_EEvT4_S4_T3_PKT5_S4_PS6_PKS5_PKS4_21rocsparse_index_base_
	.p2align	8
	.type	_ZN9rocsparseL23sddmm_csx_sample_kernelILi512ELi2EL20rocsparse_direction_1E21rocsparse_complex_numIdEiiS3_EEvT4_S4_T3_PKT5_S4_PS6_PKS5_PKS4_21rocsparse_index_base_,@function
_ZN9rocsparseL23sddmm_csx_sample_kernelILi512ELi2EL20rocsparse_direction_1E21rocsparse_complex_numIdEiiS3_EEvT4_S4_T3_PKT5_S4_PS6_PKS5_PKS4_21rocsparse_index_base_: ; @_ZN9rocsparseL23sddmm_csx_sample_kernelILi512ELi2EL20rocsparse_direction_1E21rocsparse_complex_numIdEiiS3_EEvT4_S4_T3_PKT5_S4_PS6_PKS5_PKS4_21rocsparse_index_base_
; %bb.0:
	s_load_dword s3, s[0:1], 0x4
	v_lshrrev_b32_e32 v1, 1, v0
	v_lshl_or_b32 v2, s2, 8, v1
	s_waitcnt lgkmcnt(0)
	v_cmp_gt_u32_e32 vcc, s3, v2
	s_and_saveexec_b64 s[2:3], vcc
	s_cbranch_execz .LBB69_4
; %bb.1:
	s_load_dwordx2 s[2:3], s[0:1], 0x28
	s_load_dword s4, s[0:1], 0x38
	v_mov_b32_e32 v3, 0
	v_and_b32_e32 v0, 1, v0
	s_waitcnt lgkmcnt(0)
	v_lshl_add_u64 v[4:5], v[2:3], 2, s[2:3]
	global_load_dwordx2 v[4:5], v[4:5], off
	v_subrev_u32_e32 v0, s4, v0
	s_waitcnt vmcnt(0)
	v_add_u32_e32 v0, v0, v4
	v_subrev_u32_e32 v6, s4, v5
	v_cmp_lt_i32_e32 vcc, v0, v6
	s_and_b64 exec, exec, vcc
	s_cbranch_execz .LBB69_4
; %bb.2:
	s_load_dwordx2 s[6:7], s[0:1], 0x30
	s_load_dword s5, s[0:1], 0x18
	s_load_dwordx2 s[8:9], s[0:1], 0x20
	s_load_dwordx2 s[2:3], s[0:1], 0x10
	v_ashrrev_i32_e32 v1, 31, v0
	s_mov_b64 s[0:1], 0
	s_waitcnt lgkmcnt(0)
	v_mul_lo_u32 v2, s5, v2
	v_subrev_u32_e32 v7, s4, v2
	v_lshl_add_u64 v[2:3], v[0:1], 2, s[6:7]
	v_lshl_add_u64 v[4:5], v[0:1], 4, s[8:9]
.LBB69_3:                               ; =>This Inner Loop Header: Depth=1
	global_load_dword v1, v[2:3], off
	v_add_u32_e32 v0, 2, v0
	v_cmp_ge_i32_e32 vcc, v0, v6
	v_lshl_add_u64 v[2:3], v[2:3], 0, 8
	s_or_b64 s[0:1], vcc, s[0:1]
	s_waitcnt vmcnt(0)
	v_add_u32_e32 v8, v7, v1
	v_ashrrev_i32_e32 v9, 31, v8
	v_lshl_add_u64 v[8:9], v[8:9], 4, s[2:3]
	global_load_dwordx4 v[8:11], v[8:9], off
	s_waitcnt vmcnt(0)
	global_store_dwordx4 v[4:5], v[8:11], off
	v_lshl_add_u64 v[4:5], v[4:5], 0, 32
	s_andn2_b64 exec, exec, s[0:1]
	s_cbranch_execnz .LBB69_3
.LBB69_4:
	s_endpgm
	.section	.rodata,"a",@progbits
	.p2align	6, 0x0
	.amdhsa_kernel _ZN9rocsparseL23sddmm_csx_sample_kernelILi512ELi2EL20rocsparse_direction_1E21rocsparse_complex_numIdEiiS3_EEvT4_S4_T3_PKT5_S4_PS6_PKS5_PKS4_21rocsparse_index_base_
		.amdhsa_group_segment_fixed_size 0
		.amdhsa_private_segment_fixed_size 0
		.amdhsa_kernarg_size 60
		.amdhsa_user_sgpr_count 2
		.amdhsa_user_sgpr_dispatch_ptr 0
		.amdhsa_user_sgpr_queue_ptr 0
		.amdhsa_user_sgpr_kernarg_segment_ptr 1
		.amdhsa_user_sgpr_dispatch_id 0
		.amdhsa_user_sgpr_kernarg_preload_length 0
		.amdhsa_user_sgpr_kernarg_preload_offset 0
		.amdhsa_user_sgpr_private_segment_size 0
		.amdhsa_uses_dynamic_stack 0
		.amdhsa_enable_private_segment 0
		.amdhsa_system_sgpr_workgroup_id_x 1
		.amdhsa_system_sgpr_workgroup_id_y 0
		.amdhsa_system_sgpr_workgroup_id_z 0
		.amdhsa_system_sgpr_workgroup_info 0
		.amdhsa_system_vgpr_workitem_id 0
		.amdhsa_next_free_vgpr 12
		.amdhsa_next_free_sgpr 10
		.amdhsa_accum_offset 12
		.amdhsa_reserve_vcc 1
		.amdhsa_float_round_mode_32 0
		.amdhsa_float_round_mode_16_64 0
		.amdhsa_float_denorm_mode_32 3
		.amdhsa_float_denorm_mode_16_64 3
		.amdhsa_dx10_clamp 1
		.amdhsa_ieee_mode 1
		.amdhsa_fp16_overflow 0
		.amdhsa_tg_split 0
		.amdhsa_exception_fp_ieee_invalid_op 0
		.amdhsa_exception_fp_denorm_src 0
		.amdhsa_exception_fp_ieee_div_zero 0
		.amdhsa_exception_fp_ieee_overflow 0
		.amdhsa_exception_fp_ieee_underflow 0
		.amdhsa_exception_fp_ieee_inexact 0
		.amdhsa_exception_int_div_zero 0
	.end_amdhsa_kernel
	.section	.text._ZN9rocsparseL23sddmm_csx_sample_kernelILi512ELi2EL20rocsparse_direction_1E21rocsparse_complex_numIdEiiS3_EEvT4_S4_T3_PKT5_S4_PS6_PKS5_PKS4_21rocsparse_index_base_,"axG",@progbits,_ZN9rocsparseL23sddmm_csx_sample_kernelILi512ELi2EL20rocsparse_direction_1E21rocsparse_complex_numIdEiiS3_EEvT4_S4_T3_PKT5_S4_PS6_PKS5_PKS4_21rocsparse_index_base_,comdat
.Lfunc_end69:
	.size	_ZN9rocsparseL23sddmm_csx_sample_kernelILi512ELi2EL20rocsparse_direction_1E21rocsparse_complex_numIdEiiS3_EEvT4_S4_T3_PKT5_S4_PS6_PKS5_PKS4_21rocsparse_index_base_, .Lfunc_end69-_ZN9rocsparseL23sddmm_csx_sample_kernelILi512ELi2EL20rocsparse_direction_1E21rocsparse_complex_numIdEiiS3_EEvT4_S4_T3_PKT5_S4_PS6_PKS5_PKS4_21rocsparse_index_base_
                                        ; -- End function
	.set _ZN9rocsparseL23sddmm_csx_sample_kernelILi512ELi2EL20rocsparse_direction_1E21rocsparse_complex_numIdEiiS3_EEvT4_S4_T3_PKT5_S4_PS6_PKS5_PKS4_21rocsparse_index_base_.num_vgpr, 12
	.set _ZN9rocsparseL23sddmm_csx_sample_kernelILi512ELi2EL20rocsparse_direction_1E21rocsparse_complex_numIdEiiS3_EEvT4_S4_T3_PKT5_S4_PS6_PKS5_PKS4_21rocsparse_index_base_.num_agpr, 0
	.set _ZN9rocsparseL23sddmm_csx_sample_kernelILi512ELi2EL20rocsparse_direction_1E21rocsparse_complex_numIdEiiS3_EEvT4_S4_T3_PKT5_S4_PS6_PKS5_PKS4_21rocsparse_index_base_.numbered_sgpr, 10
	.set _ZN9rocsparseL23sddmm_csx_sample_kernelILi512ELi2EL20rocsparse_direction_1E21rocsparse_complex_numIdEiiS3_EEvT4_S4_T3_PKT5_S4_PS6_PKS5_PKS4_21rocsparse_index_base_.num_named_barrier, 0
	.set _ZN9rocsparseL23sddmm_csx_sample_kernelILi512ELi2EL20rocsparse_direction_1E21rocsparse_complex_numIdEiiS3_EEvT4_S4_T3_PKT5_S4_PS6_PKS5_PKS4_21rocsparse_index_base_.private_seg_size, 0
	.set _ZN9rocsparseL23sddmm_csx_sample_kernelILi512ELi2EL20rocsparse_direction_1E21rocsparse_complex_numIdEiiS3_EEvT4_S4_T3_PKT5_S4_PS6_PKS5_PKS4_21rocsparse_index_base_.uses_vcc, 1
	.set _ZN9rocsparseL23sddmm_csx_sample_kernelILi512ELi2EL20rocsparse_direction_1E21rocsparse_complex_numIdEiiS3_EEvT4_S4_T3_PKT5_S4_PS6_PKS5_PKS4_21rocsparse_index_base_.uses_flat_scratch, 0
	.set _ZN9rocsparseL23sddmm_csx_sample_kernelILi512ELi2EL20rocsparse_direction_1E21rocsparse_complex_numIdEiiS3_EEvT4_S4_T3_PKT5_S4_PS6_PKS5_PKS4_21rocsparse_index_base_.has_dyn_sized_stack, 0
	.set _ZN9rocsparseL23sddmm_csx_sample_kernelILi512ELi2EL20rocsparse_direction_1E21rocsparse_complex_numIdEiiS3_EEvT4_S4_T3_PKT5_S4_PS6_PKS5_PKS4_21rocsparse_index_base_.has_recursion, 0
	.set _ZN9rocsparseL23sddmm_csx_sample_kernelILi512ELi2EL20rocsparse_direction_1E21rocsparse_complex_numIdEiiS3_EEvT4_S4_T3_PKT5_S4_PS6_PKS5_PKS4_21rocsparse_index_base_.has_indirect_call, 0
	.section	.AMDGPU.csdata,"",@progbits
; Kernel info:
; codeLenInByte = 268
; TotalNumSgprs: 16
; NumVgprs: 12
; NumAgprs: 0
; TotalNumVgprs: 12
; ScratchSize: 0
; MemoryBound: 0
; FloatMode: 240
; IeeeMode: 1
; LDSByteSize: 0 bytes/workgroup (compile time only)
; SGPRBlocks: 1
; VGPRBlocks: 1
; NumSGPRsForWavesPerEU: 16
; NumVGPRsForWavesPerEU: 12
; AccumOffset: 12
; Occupancy: 8
; WaveLimiterHint : 0
; COMPUTE_PGM_RSRC2:SCRATCH_EN: 0
; COMPUTE_PGM_RSRC2:USER_SGPR: 2
; COMPUTE_PGM_RSRC2:TRAP_HANDLER: 0
; COMPUTE_PGM_RSRC2:TGID_X_EN: 1
; COMPUTE_PGM_RSRC2:TGID_Y_EN: 0
; COMPUTE_PGM_RSRC2:TGID_Z_EN: 0
; COMPUTE_PGM_RSRC2:TIDIG_COMP_CNT: 0
; COMPUTE_PGM_RSRC3_GFX90A:ACCUM_OFFSET: 2
; COMPUTE_PGM_RSRC3_GFX90A:TG_SPLIT: 0
	.section	.text._ZN9rocsparseL23sddmm_csx_sample_kernelILi512ELi1EL20rocsparse_direction_1E21rocsparse_complex_numIdEiiS3_EEvT4_S4_T3_PKT5_S4_PS6_PKS5_PKS4_21rocsparse_index_base_,"axG",@progbits,_ZN9rocsparseL23sddmm_csx_sample_kernelILi512ELi1EL20rocsparse_direction_1E21rocsparse_complex_numIdEiiS3_EEvT4_S4_T3_PKT5_S4_PS6_PKS5_PKS4_21rocsparse_index_base_,comdat
	.globl	_ZN9rocsparseL23sddmm_csx_sample_kernelILi512ELi1EL20rocsparse_direction_1E21rocsparse_complex_numIdEiiS3_EEvT4_S4_T3_PKT5_S4_PS6_PKS5_PKS4_21rocsparse_index_base_ ; -- Begin function _ZN9rocsparseL23sddmm_csx_sample_kernelILi512ELi1EL20rocsparse_direction_1E21rocsparse_complex_numIdEiiS3_EEvT4_S4_T3_PKT5_S4_PS6_PKS5_PKS4_21rocsparse_index_base_
	.p2align	8
	.type	_ZN9rocsparseL23sddmm_csx_sample_kernelILi512ELi1EL20rocsparse_direction_1E21rocsparse_complex_numIdEiiS3_EEvT4_S4_T3_PKT5_S4_PS6_PKS5_PKS4_21rocsparse_index_base_,@function
_ZN9rocsparseL23sddmm_csx_sample_kernelILi512ELi1EL20rocsparse_direction_1E21rocsparse_complex_numIdEiiS3_EEvT4_S4_T3_PKT5_S4_PS6_PKS5_PKS4_21rocsparse_index_base_: ; @_ZN9rocsparseL23sddmm_csx_sample_kernelILi512ELi1EL20rocsparse_direction_1E21rocsparse_complex_numIdEiiS3_EEvT4_S4_T3_PKT5_S4_PS6_PKS5_PKS4_21rocsparse_index_base_
; %bb.0:
	s_load_dword s3, s[0:1], 0x4
	v_lshl_or_b32 v2, s2, 9, v0
	s_waitcnt lgkmcnt(0)
	v_cmp_gt_u32_e32 vcc, s3, v2
	s_and_saveexec_b64 s[2:3], vcc
	s_cbranch_execz .LBB70_4
; %bb.1:
	s_load_dwordx2 s[2:3], s[0:1], 0x28
	v_mov_b32_e32 v3, 0
	s_waitcnt lgkmcnt(0)
	v_lshl_add_u64 v[0:1], v[2:3], 2, s[2:3]
	global_load_dwordx2 v[0:1], v[0:1], off
	s_waitcnt vmcnt(0)
	v_cmp_lt_i32_e32 vcc, v0, v1
	s_and_b64 exec, exec, vcc
	s_cbranch_execz .LBB70_4
; %bb.2:
	s_load_dword s8, s[0:1], 0x38
	s_load_dwordx2 s[4:5], s[0:1], 0x30
	s_load_dword s9, s[0:1], 0x18
	s_load_dwordx2 s[6:7], s[0:1], 0x20
	s_load_dwordx2 s[2:3], s[0:1], 0x10
	s_waitcnt lgkmcnt(0)
	v_subrev_u32_e32 v6, s8, v1
	v_subrev_u32_e32 v0, s8, v0
	v_mul_lo_u32 v1, s9, v2
	v_subrev_u32_e32 v7, s8, v1
	v_ashrrev_i32_e32 v1, 31, v0
	v_lshl_add_u64 v[2:3], v[0:1], 2, s[4:5]
	v_lshl_add_u64 v[4:5], v[0:1], 4, s[6:7]
	s_mov_b64 s[0:1], 0
.LBB70_3:                               ; =>This Inner Loop Header: Depth=1
	global_load_dword v1, v[2:3], off
	v_add_u32_e32 v0, 1, v0
	v_cmp_ge_i32_e32 vcc, v0, v6
	v_lshl_add_u64 v[2:3], v[2:3], 0, 4
	s_or_b64 s[0:1], vcc, s[0:1]
	s_waitcnt vmcnt(0)
	v_add_u32_e32 v8, v7, v1
	v_ashrrev_i32_e32 v9, 31, v8
	v_lshl_add_u64 v[8:9], v[8:9], 4, s[2:3]
	global_load_dwordx4 v[8:11], v[8:9], off
	s_waitcnt vmcnt(0)
	global_store_dwordx4 v[4:5], v[8:11], off
	v_lshl_add_u64 v[4:5], v[4:5], 0, 16
	s_andn2_b64 exec, exec, s[0:1]
	s_cbranch_execnz .LBB70_3
.LBB70_4:
	s_endpgm
	.section	.rodata,"a",@progbits
	.p2align	6, 0x0
	.amdhsa_kernel _ZN9rocsparseL23sddmm_csx_sample_kernelILi512ELi1EL20rocsparse_direction_1E21rocsparse_complex_numIdEiiS3_EEvT4_S4_T3_PKT5_S4_PS6_PKS5_PKS4_21rocsparse_index_base_
		.amdhsa_group_segment_fixed_size 0
		.amdhsa_private_segment_fixed_size 0
		.amdhsa_kernarg_size 60
		.amdhsa_user_sgpr_count 2
		.amdhsa_user_sgpr_dispatch_ptr 0
		.amdhsa_user_sgpr_queue_ptr 0
		.amdhsa_user_sgpr_kernarg_segment_ptr 1
		.amdhsa_user_sgpr_dispatch_id 0
		.amdhsa_user_sgpr_kernarg_preload_length 0
		.amdhsa_user_sgpr_kernarg_preload_offset 0
		.amdhsa_user_sgpr_private_segment_size 0
		.amdhsa_uses_dynamic_stack 0
		.amdhsa_enable_private_segment 0
		.amdhsa_system_sgpr_workgroup_id_x 1
		.amdhsa_system_sgpr_workgroup_id_y 0
		.amdhsa_system_sgpr_workgroup_id_z 0
		.amdhsa_system_sgpr_workgroup_info 0
		.amdhsa_system_vgpr_workitem_id 0
		.amdhsa_next_free_vgpr 12
		.amdhsa_next_free_sgpr 10
		.amdhsa_accum_offset 12
		.amdhsa_reserve_vcc 1
		.amdhsa_float_round_mode_32 0
		.amdhsa_float_round_mode_16_64 0
		.amdhsa_float_denorm_mode_32 3
		.amdhsa_float_denorm_mode_16_64 3
		.amdhsa_dx10_clamp 1
		.amdhsa_ieee_mode 1
		.amdhsa_fp16_overflow 0
		.amdhsa_tg_split 0
		.amdhsa_exception_fp_ieee_invalid_op 0
		.amdhsa_exception_fp_denorm_src 0
		.amdhsa_exception_fp_ieee_div_zero 0
		.amdhsa_exception_fp_ieee_overflow 0
		.amdhsa_exception_fp_ieee_underflow 0
		.amdhsa_exception_fp_ieee_inexact 0
		.amdhsa_exception_int_div_zero 0
	.end_amdhsa_kernel
	.section	.text._ZN9rocsparseL23sddmm_csx_sample_kernelILi512ELi1EL20rocsparse_direction_1E21rocsparse_complex_numIdEiiS3_EEvT4_S4_T3_PKT5_S4_PS6_PKS5_PKS4_21rocsparse_index_base_,"axG",@progbits,_ZN9rocsparseL23sddmm_csx_sample_kernelILi512ELi1EL20rocsparse_direction_1E21rocsparse_complex_numIdEiiS3_EEvT4_S4_T3_PKT5_S4_PS6_PKS5_PKS4_21rocsparse_index_base_,comdat
.Lfunc_end70:
	.size	_ZN9rocsparseL23sddmm_csx_sample_kernelILi512ELi1EL20rocsparse_direction_1E21rocsparse_complex_numIdEiiS3_EEvT4_S4_T3_PKT5_S4_PS6_PKS5_PKS4_21rocsparse_index_base_, .Lfunc_end70-_ZN9rocsparseL23sddmm_csx_sample_kernelILi512ELi1EL20rocsparse_direction_1E21rocsparse_complex_numIdEiiS3_EEvT4_S4_T3_PKT5_S4_PS6_PKS5_PKS4_21rocsparse_index_base_
                                        ; -- End function
	.set _ZN9rocsparseL23sddmm_csx_sample_kernelILi512ELi1EL20rocsparse_direction_1E21rocsparse_complex_numIdEiiS3_EEvT4_S4_T3_PKT5_S4_PS6_PKS5_PKS4_21rocsparse_index_base_.num_vgpr, 12
	.set _ZN9rocsparseL23sddmm_csx_sample_kernelILi512ELi1EL20rocsparse_direction_1E21rocsparse_complex_numIdEiiS3_EEvT4_S4_T3_PKT5_S4_PS6_PKS5_PKS4_21rocsparse_index_base_.num_agpr, 0
	.set _ZN9rocsparseL23sddmm_csx_sample_kernelILi512ELi1EL20rocsparse_direction_1E21rocsparse_complex_numIdEiiS3_EEvT4_S4_T3_PKT5_S4_PS6_PKS5_PKS4_21rocsparse_index_base_.numbered_sgpr, 10
	.set _ZN9rocsparseL23sddmm_csx_sample_kernelILi512ELi1EL20rocsparse_direction_1E21rocsparse_complex_numIdEiiS3_EEvT4_S4_T3_PKT5_S4_PS6_PKS5_PKS4_21rocsparse_index_base_.num_named_barrier, 0
	.set _ZN9rocsparseL23sddmm_csx_sample_kernelILi512ELi1EL20rocsparse_direction_1E21rocsparse_complex_numIdEiiS3_EEvT4_S4_T3_PKT5_S4_PS6_PKS5_PKS4_21rocsparse_index_base_.private_seg_size, 0
	.set _ZN9rocsparseL23sddmm_csx_sample_kernelILi512ELi1EL20rocsparse_direction_1E21rocsparse_complex_numIdEiiS3_EEvT4_S4_T3_PKT5_S4_PS6_PKS5_PKS4_21rocsparse_index_base_.uses_vcc, 1
	.set _ZN9rocsparseL23sddmm_csx_sample_kernelILi512ELi1EL20rocsparse_direction_1E21rocsparse_complex_numIdEiiS3_EEvT4_S4_T3_PKT5_S4_PS6_PKS5_PKS4_21rocsparse_index_base_.uses_flat_scratch, 0
	.set _ZN9rocsparseL23sddmm_csx_sample_kernelILi512ELi1EL20rocsparse_direction_1E21rocsparse_complex_numIdEiiS3_EEvT4_S4_T3_PKT5_S4_PS6_PKS5_PKS4_21rocsparse_index_base_.has_dyn_sized_stack, 0
	.set _ZN9rocsparseL23sddmm_csx_sample_kernelILi512ELi1EL20rocsparse_direction_1E21rocsparse_complex_numIdEiiS3_EEvT4_S4_T3_PKT5_S4_PS6_PKS5_PKS4_21rocsparse_index_base_.has_recursion, 0
	.set _ZN9rocsparseL23sddmm_csx_sample_kernelILi512ELi1EL20rocsparse_direction_1E21rocsparse_complex_numIdEiiS3_EEvT4_S4_T3_PKT5_S4_PS6_PKS5_PKS4_21rocsparse_index_base_.has_indirect_call, 0
	.section	.AMDGPU.csdata,"",@progbits
; Kernel info:
; codeLenInByte = 256
; TotalNumSgprs: 16
; NumVgprs: 12
; NumAgprs: 0
; TotalNumVgprs: 12
; ScratchSize: 0
; MemoryBound: 0
; FloatMode: 240
; IeeeMode: 1
; LDSByteSize: 0 bytes/workgroup (compile time only)
; SGPRBlocks: 1
; VGPRBlocks: 1
; NumSGPRsForWavesPerEU: 16
; NumVGPRsForWavesPerEU: 12
; AccumOffset: 12
; Occupancy: 8
; WaveLimiterHint : 0
; COMPUTE_PGM_RSRC2:SCRATCH_EN: 0
; COMPUTE_PGM_RSRC2:USER_SGPR: 2
; COMPUTE_PGM_RSRC2:TRAP_HANDLER: 0
; COMPUTE_PGM_RSRC2:TGID_X_EN: 1
; COMPUTE_PGM_RSRC2:TGID_Y_EN: 0
; COMPUTE_PGM_RSRC2:TGID_Z_EN: 0
; COMPUTE_PGM_RSRC2:TIDIG_COMP_CNT: 0
; COMPUTE_PGM_RSRC3_GFX90A:ACCUM_OFFSET: 2
; COMPUTE_PGM_RSRC3_GFX90A:TG_SPLIT: 0
	.section	.text._ZN9rocsparseL16sddmm_csx_kernelILi512ELi8EL20rocsparse_direction_0E21rocsparse_complex_numIdEiiS3_S3_S3_EEv20rocsparse_operation_S4_16rocsparse_order_S5_T4_S6_S6_T3_NS_24const_host_device_scalarIT2_EEPKT5_lPKT6_lSA_PT7_PKS7_PKS6_21rocsparse_index_base_b,"axG",@progbits,_ZN9rocsparseL16sddmm_csx_kernelILi512ELi8EL20rocsparse_direction_0E21rocsparse_complex_numIdEiiS3_S3_S3_EEv20rocsparse_operation_S4_16rocsparse_order_S5_T4_S6_S6_T3_NS_24const_host_device_scalarIT2_EEPKT5_lPKT6_lSA_PT7_PKS7_PKS6_21rocsparse_index_base_b,comdat
	.globl	_ZN9rocsparseL16sddmm_csx_kernelILi512ELi8EL20rocsparse_direction_0E21rocsparse_complex_numIdEiiS3_S3_S3_EEv20rocsparse_operation_S4_16rocsparse_order_S5_T4_S6_S6_T3_NS_24const_host_device_scalarIT2_EEPKT5_lPKT6_lSA_PT7_PKS7_PKS6_21rocsparse_index_base_b ; -- Begin function _ZN9rocsparseL16sddmm_csx_kernelILi512ELi8EL20rocsparse_direction_0E21rocsparse_complex_numIdEiiS3_S3_S3_EEv20rocsparse_operation_S4_16rocsparse_order_S5_T4_S6_S6_T3_NS_24const_host_device_scalarIT2_EEPKT5_lPKT6_lSA_PT7_PKS7_PKS6_21rocsparse_index_base_b
	.p2align	8
	.type	_ZN9rocsparseL16sddmm_csx_kernelILi512ELi8EL20rocsparse_direction_0E21rocsparse_complex_numIdEiiS3_S3_S3_EEv20rocsparse_operation_S4_16rocsparse_order_S5_T4_S6_S6_T3_NS_24const_host_device_scalarIT2_EEPKT5_lPKT6_lSA_PT7_PKS7_PKS6_21rocsparse_index_base_b,@function
_ZN9rocsparseL16sddmm_csx_kernelILi512ELi8EL20rocsparse_direction_0E21rocsparse_complex_numIdEiiS3_S3_S3_EEv20rocsparse_operation_S4_16rocsparse_order_S5_T4_S6_S6_T3_NS_24const_host_device_scalarIT2_EEPKT5_lPKT6_lSA_PT7_PKS7_PKS6_21rocsparse_index_base_b: ; @_ZN9rocsparseL16sddmm_csx_kernelILi512ELi8EL20rocsparse_direction_0E21rocsparse_complex_numIdEiiS3_S3_S3_EEv20rocsparse_operation_S4_16rocsparse_order_S5_T4_S6_S6_T3_NS_24const_host_device_scalarIT2_EEPKT5_lPKT6_lSA_PT7_PKS7_PKS6_21rocsparse_index_base_b
; %bb.0:
	s_load_dwordx2 s[4:5], s[0:1], 0x20
	s_load_dwordx4 s[12:15], s[0:1], 0x48
	s_load_dwordx2 s[16:17], s[0:1], 0x78
	s_add_u32 s3, s0, 32
	s_addc_u32 s6, s1, 0
	s_add_u32 s7, s0, 0x50
	s_addc_u32 s8, s1, 0
	s_waitcnt lgkmcnt(0)
	s_bitcmp1_b32 s17, 0
	s_cselect_b32 s5, s6, s5
	s_cselect_b32 s3, s3, s4
	v_mov_b32_e32 v2, s3
	v_mov_b32_e32 v3, s5
	flat_load_dwordx4 v[2:5], v[2:3]
	s_cselect_b32 s3, s8, s15
	s_cselect_b32 s4, s7, s14
	v_mov_b32_e32 v6, s4
	v_mov_b32_e32 v7, s3
	flat_load_dwordx4 v[6:9], v[6:7]
	s_waitcnt vmcnt(0) lgkmcnt(0)
	v_cmp_eq_f64_e32 vcc, 0, v[2:3]
	v_cmp_eq_f64_e64 s[4:5], 0, v[4:5]
	s_and_b64 s[8:9], vcc, s[4:5]
	s_mov_b64 s[4:5], -1
	s_and_saveexec_b64 s[6:7], s[8:9]
; %bb.1:
	v_cmp_neq_f64_e32 vcc, 1.0, v[6:7]
	v_cmp_neq_f64_e64 s[4:5], 0, v[8:9]
	s_or_b64 s[4:5], vcc, s[4:5]
	s_orn2_b64 s[4:5], s[4:5], exec
; %bb.2:
	s_or_b64 exec, exec, s[6:7]
	s_and_saveexec_b64 s[6:7], s[4:5]
	s_cbranch_execz .LBB71_34
; %bb.3:
	s_load_dword s3, s[0:1], 0x10
	v_lshrrev_b32_e32 v1, 3, v0
	v_lshl_or_b32 v12, s2, 6, v1
	s_waitcnt lgkmcnt(0)
	v_cmp_gt_i32_e32 vcc, s3, v12
	s_and_b64 exec, exec, vcc
	s_cbranch_execz .LBB71_34
; %bb.4:
	s_load_dwordx4 s[4:7], s[0:1], 0x0
	s_load_dwordx2 s[14:15], s[0:1], 0x68
	s_load_dwordx2 s[2:3], s[0:1], 0x38
	v_ashrrev_i32_e32 v13, 31, v12
	s_waitcnt lgkmcnt(0)
	s_cmp_eq_u32 s6, 1
	s_cselect_b64 s[8:9], -1, 0
	s_cmpk_eq_i32 s4, 0x6f
	s_cselect_b64 s[10:11], -1, 0
	s_cmpk_lg_i32 s4, 0x6f
	s_cselect_b64 s[18:19], -1, 0
	s_cmp_lg_u32 s6, 1
	s_cbranch_scc0 .LBB71_8
; %bb.5:
	s_andn2_b64 vcc, exec, s[10:11]
	v_mov_b64_e32 v[10:11], v[12:13]
	s_cbranch_vccnz .LBB71_7
; %bb.6:
	v_mul_lo_u32 v14, s3, v12
	v_mul_lo_u32 v15, s2, v13
	v_mad_u64_u32 v[10:11], s[20:21], s2, v12, 0
	v_add3_u32 v11, v11, v15, v14
.LBB71_7:
	s_cbranch_execz .LBB71_9
	s_branch .LBB71_11
.LBB71_8:
                                        ; implicit-def: $vgpr10_vgpr11
.LBB71_9:
	s_andn2_b64 vcc, exec, s[18:19]
	v_mov_b64_e32 v[10:11], v[12:13]
	s_cbranch_vccnz .LBB71_11
; %bb.10:
	v_mul_lo_u32 v14, s3, v12
	v_mul_lo_u32 v15, s2, v13
	v_mad_u64_u32 v[10:11], s[18:19], s2, v12, 0
	v_add3_u32 v11, v11, v15, v14
.LBB71_11:
	v_lshl_add_u64 v[12:13], v[12:13], 2, s[14:15]
	global_load_dwordx2 v[12:13], v[12:13], off
	s_waitcnt vmcnt(0)
	v_cmp_lt_i32_e32 vcc, v12, v13
	s_and_b64 exec, exec, vcc
	s_cbranch_execz .LBB71_34
; %bb.12:
	s_xor_b64 s[8:9], s[10:11], s[8:9]
	s_and_b64 s[8:9], s[8:9], exec
	s_cselect_b32 s9, 0, s3
	s_cselect_b32 s8, 1, s2
	s_cmp_lg_u32 s7, 1
	s_cselect_b64 s[18:19], -1, 0
	s_cmp_eq_u32 s7, 1
	s_cselect_b64 s[2:3], -1, 0
	s_cmpk_eq_i32 s5, 0x6f
	s_cselect_b64 s[6:7], -1, 0
	s_cmpk_lg_i32 s5, 0x6f
	s_cselect_b64 s[10:11], -1, 0
	s_xor_b64 s[2:3], s[6:7], s[2:3]
	s_and_b64 s[2:3], s[2:3], exec
	s_cselect_b32 s26, s12, 1
	v_and_b32_e32 v22, 7, v0
	v_subrev_u32_e32 v0, s16, v12
	v_subrev_u32_e32 v25, s16, v13
	v_mad_u64_u32 v[12:13], s[28:29], s26, v22, 0
	s_load_dwordx2 s[20:21], s[0:1], 0x60
	s_load_dwordx2 s[22:23], s[0:1], 0x40
	;; [unrolled: 1-line block ×3, first 2 shown]
	s_load_dword s17, s[0:1], 0x18
	s_cselect_b32 s27, s13, 0
	v_mov_b32_e32 v14, v13
	v_mad_u64_u32 v[14:15], s[28:29], s27, v22, v[14:15]
	v_mov_b32_e32 v13, v14
	s_waitcnt lgkmcnt(0)
	v_lshl_add_u64 v[12:13], v[12:13], 4, s[22:23]
	v_lshl_add_u64 v[14:15], v[12:13], 0, 8
	s_lshl_b64 s[22:23], s[26:27], 7
	v_mad_u64_u32 v[12:13], s[26:27], s8, v22, 0
	v_mov_b32_e32 v16, v13
	s_load_dwordx2 s[14:15], s[0:1], 0x70
	v_mad_u64_u32 v[16:17], s[26:27], s9, v22, v[16:17]
	v_mov_b32_e32 v13, v16
	v_lshlrev_b64 v[10:11], 4, v[10:11]
	v_lshl_add_u64 v[10:11], v[12:13], 4, v[10:11]
	v_cndmask_b32_e64 v18, 0, 1, s[6:7]
	v_lshlrev_b32_e32 v23, 7, v1
	v_lshl_add_u64 v[10:11], s[24:25], 0, v[10:11]
	v_cndmask_b32_e64 v1, 0, 1, s[10:11]
	v_cmp_gt_i32_e64 s[0:1], s17, v22
	v_lshl_or_b32 v24, v22, 4, v23
	v_cmp_eq_u32_e64 s[2:3], 0, v22
	v_cmp_gt_u32_e64 s[4:5], 4, v22
	v_cmp_gt_u32_e64 s[6:7], 2, v22
	v_lshl_add_u64 v[16:17], v[10:11], 0, 8
	s_lshl_b64 s[24:25], s[8:9], 7
	s_mov_b64 s[26:27], 0
	v_cmp_ne_u32_e64 s[8:9], 1, v1
	v_cmp_ne_u32_e64 s[10:11], 1, v18
	s_branch .LBB71_14
.LBB71_13:                              ;   in Loop: Header=BB71_14 Depth=1
	s_or_b64 exec, exec, s[28:29]
	v_add_u32_e32 v0, 1, v0
	v_cmp_ge_i32_e32 vcc, v0, v25
	s_or_b64 s[26:27], vcc, s[26:27]
	s_andn2_b64 exec, exec, s[26:27]
	s_cbranch_execz .LBB71_34
.LBB71_14:                              ; =>This Loop Header: Depth=1
                                        ;     Child Loop BB71_24 Depth 2
	v_ashrrev_i32_e32 v1, 31, v0
	s_waitcnt lgkmcnt(0)
	v_lshl_add_u64 v[10:11], v[0:1], 2, s[14:15]
	global_load_dword v10, v[10:11], off
	s_mov_b64 s[28:29], -1
	s_and_b64 vcc, exec, s[18:19]
                                        ; implicit-def: $vgpr18_vgpr19
	s_waitcnt vmcnt(0)
	v_subrev_u32_e32 v10, s16, v10
	v_ashrrev_i32_e32 v11, 31, v10
	s_cbranch_vccnz .LBB71_17
; %bb.15:                               ;   in Loop: Header=BB71_14 Depth=1
	s_andn2_b64 vcc, exec, s[28:29]
	s_cbranch_vccz .LBB71_20
.LBB71_16:                              ;   in Loop: Header=BB71_14 Depth=1
	v_mov_b64_e32 v[12:13], 0
	v_mov_b64_e32 v[10:11], 0
	s_and_saveexec_b64 s[28:29], s[0:1]
	s_cbranch_execnz .LBB71_23
	s_branch .LBB71_26
.LBB71_17:                              ;   in Loop: Header=BB71_14 Depth=1
	s_and_b64 vcc, exec, s[8:9]
	v_mov_b64_e32 v[18:19], v[10:11]
	s_cbranch_vccnz .LBB71_19
; %bb.18:                               ;   in Loop: Header=BB71_14 Depth=1
	v_mul_lo_u32 v12, s13, v10
	v_mul_lo_u32 v13, s12, v11
	v_mad_u64_u32 v[18:19], s[28:29], s12, v10, 0
	v_add3_u32 v19, v19, v13, v12
.LBB71_19:                              ;   in Loop: Header=BB71_14 Depth=1
	s_cbranch_execnz .LBB71_16
.LBB71_20:                              ;   in Loop: Header=BB71_14 Depth=1
	s_and_b64 vcc, exec, s[10:11]
	s_cbranch_vccnz .LBB71_22
; %bb.21:                               ;   in Loop: Header=BB71_14 Depth=1
	v_mul_lo_u32 v12, s13, v10
	v_mul_lo_u32 v13, s12, v11
	v_mad_u64_u32 v[10:11], s[28:29], s12, v10, 0
	v_add3_u32 v11, v11, v13, v12
.LBB71_22:                              ;   in Loop: Header=BB71_14 Depth=1
	v_mov_b64_e32 v[18:19], v[10:11]
	v_mov_b64_e32 v[12:13], 0
	v_mov_b64_e32 v[10:11], 0
	s_and_saveexec_b64 s[28:29], s[0:1]
	s_cbranch_execz .LBB71_26
.LBB71_23:                              ;   in Loop: Header=BB71_14 Depth=1
	v_mov_b64_e32 v[12:13], 0
	v_lshl_add_u64 v[18:19], v[18:19], 4, v[14:15]
	s_mov_b64 s[30:31], 0
	v_mov_b64_e32 v[20:21], v[16:17]
	v_mov_b32_e32 v26, v22
	v_mov_b64_e32 v[10:11], v[12:13]
.LBB71_24:                              ;   Parent Loop BB71_14 Depth=1
                                        ; =>  This Inner Loop Header: Depth=2
	global_load_dwordx4 v[28:31], v[18:19], off offset:-8
	global_load_dwordx4 v[32:35], v[20:21], off offset:-8
	v_add_u32_e32 v26, 8, v26
	v_cmp_le_i32_e32 vcc, s17, v26
	v_lshl_add_u64 v[18:19], v[18:19], 0, s[22:23]
	v_lshl_add_u64 v[20:21], v[20:21], 0, s[24:25]
	s_or_b64 s[30:31], vcc, s[30:31]
	s_waitcnt vmcnt(0)
	v_mul_f64 v[36:37], v[30:31], -v[34:35]
	v_mul_f64 v[30:31], v[30:31], v[32:33]
	v_fmac_f64_e32 v[36:37], v[32:33], v[28:29]
	v_fmac_f64_e32 v[30:31], v[34:35], v[28:29]
	v_add_f64 v[10:11], v[10:11], v[36:37]
	v_add_f64 v[12:13], v[12:13], v[30:31]
	s_andn2_b64 exec, exec, s[30:31]
	s_cbranch_execnz .LBB71_24
; %bb.25:                               ;   in Loop: Header=BB71_14 Depth=1
	s_or_b64 exec, exec, s[30:31]
.LBB71_26:                              ;   in Loop: Header=BB71_14 Depth=1
	s_or_b64 exec, exec, s[28:29]
	ds_write_b128 v24, v[10:13]
	s_waitcnt lgkmcnt(0)
	s_barrier
	s_and_saveexec_b64 s[28:29], s[4:5]
	s_cbranch_execz .LBB71_28
; %bb.27:                               ;   in Loop: Header=BB71_14 Depth=1
	ds_read_b128 v[10:13], v24 offset:64
	ds_read_b128 v[18:21], v24
	s_waitcnt lgkmcnt(0)
	v_add_f64 v[10:11], v[10:11], v[18:19]
	v_add_f64 v[12:13], v[12:13], v[20:21]
	ds_write_b128 v24, v[10:13]
.LBB71_28:                              ;   in Loop: Header=BB71_14 Depth=1
	s_or_b64 exec, exec, s[28:29]
	s_waitcnt lgkmcnt(0)
	s_barrier
	s_and_saveexec_b64 s[28:29], s[6:7]
	s_cbranch_execz .LBB71_30
; %bb.29:                               ;   in Loop: Header=BB71_14 Depth=1
	ds_read_b128 v[10:13], v24
	ds_read_b128 v[18:21], v24 offset:32
	s_waitcnt lgkmcnt(0)
	v_add_f64 v[10:11], v[18:19], v[10:11]
	v_add_f64 v[12:13], v[20:21], v[12:13]
	ds_write_b128 v24, v[10:13]
.LBB71_30:                              ;   in Loop: Header=BB71_14 Depth=1
	s_or_b64 exec, exec, s[28:29]
	s_waitcnt lgkmcnt(0)
	s_barrier
	s_and_saveexec_b64 s[28:29], s[2:3]
	s_cbranch_execz .LBB71_32
; %bb.31:                               ;   in Loop: Header=BB71_14 Depth=1
	ds_read_b128 v[10:13], v24
	ds_read_b128 v[18:21], v24 offset:16
	s_waitcnt lgkmcnt(0)
	v_add_f64 v[10:11], v[18:19], v[10:11]
	v_add_f64 v[12:13], v[20:21], v[12:13]
	ds_write_b128 v24, v[10:13]
.LBB71_32:                              ;   in Loop: Header=BB71_14 Depth=1
	s_or_b64 exec, exec, s[28:29]
	s_waitcnt lgkmcnt(0)
	s_barrier
	s_and_saveexec_b64 s[28:29], s[2:3]
	s_cbranch_execz .LBB71_13
; %bb.33:                               ;   in Loop: Header=BB71_14 Depth=1
	v_lshl_add_u64 v[26:27], v[0:1], 4, s[20:21]
	global_load_dwordx4 v[10:13], v[26:27], off
	ds_read_b128 v[18:21], v23
	s_waitcnt lgkmcnt(0)
	v_mul_f64 v[28:29], v[20:21], -v[4:5]
	v_mul_f64 v[20:21], v[2:3], v[20:21]
	v_fmac_f64_e32 v[28:29], v[2:3], v[18:19]
	v_fmac_f64_e32 v[20:21], v[4:5], v[18:19]
	s_waitcnt vmcnt(0)
	v_mul_f64 v[18:19], v[8:9], -v[12:13]
	v_mul_f64 v[30:31], v[8:9], v[10:11]
	v_fmac_f64_e32 v[18:19], v[10:11], v[6:7]
	v_fmac_f64_e32 v[30:31], v[12:13], v[6:7]
	v_add_f64 v[10:11], v[18:19], v[28:29]
	v_add_f64 v[12:13], v[30:31], v[20:21]
	global_store_dwordx4 v[26:27], v[10:13], off
	s_branch .LBB71_13
.LBB71_34:
	s_endpgm
	.section	.rodata,"a",@progbits
	.p2align	6, 0x0
	.amdhsa_kernel _ZN9rocsparseL16sddmm_csx_kernelILi512ELi8EL20rocsparse_direction_0E21rocsparse_complex_numIdEiiS3_S3_S3_EEv20rocsparse_operation_S4_16rocsparse_order_S5_T4_S6_S6_T3_NS_24const_host_device_scalarIT2_EEPKT5_lPKT6_lSA_PT7_PKS7_PKS6_21rocsparse_index_base_b
		.amdhsa_group_segment_fixed_size 8192
		.amdhsa_private_segment_fixed_size 0
		.amdhsa_kernarg_size 128
		.amdhsa_user_sgpr_count 2
		.amdhsa_user_sgpr_dispatch_ptr 0
		.amdhsa_user_sgpr_queue_ptr 0
		.amdhsa_user_sgpr_kernarg_segment_ptr 1
		.amdhsa_user_sgpr_dispatch_id 0
		.amdhsa_user_sgpr_kernarg_preload_length 0
		.amdhsa_user_sgpr_kernarg_preload_offset 0
		.amdhsa_user_sgpr_private_segment_size 0
		.amdhsa_uses_dynamic_stack 0
		.amdhsa_enable_private_segment 0
		.amdhsa_system_sgpr_workgroup_id_x 1
		.amdhsa_system_sgpr_workgroup_id_y 0
		.amdhsa_system_sgpr_workgroup_id_z 0
		.amdhsa_system_sgpr_workgroup_info 0
		.amdhsa_system_vgpr_workitem_id 0
		.amdhsa_next_free_vgpr 38
		.amdhsa_next_free_sgpr 32
		.amdhsa_accum_offset 40
		.amdhsa_reserve_vcc 1
		.amdhsa_float_round_mode_32 0
		.amdhsa_float_round_mode_16_64 0
		.amdhsa_float_denorm_mode_32 3
		.amdhsa_float_denorm_mode_16_64 3
		.amdhsa_dx10_clamp 1
		.amdhsa_ieee_mode 1
		.amdhsa_fp16_overflow 0
		.amdhsa_tg_split 0
		.amdhsa_exception_fp_ieee_invalid_op 0
		.amdhsa_exception_fp_denorm_src 0
		.amdhsa_exception_fp_ieee_div_zero 0
		.amdhsa_exception_fp_ieee_overflow 0
		.amdhsa_exception_fp_ieee_underflow 0
		.amdhsa_exception_fp_ieee_inexact 0
		.amdhsa_exception_int_div_zero 0
	.end_amdhsa_kernel
	.section	.text._ZN9rocsparseL16sddmm_csx_kernelILi512ELi8EL20rocsparse_direction_0E21rocsparse_complex_numIdEiiS3_S3_S3_EEv20rocsparse_operation_S4_16rocsparse_order_S5_T4_S6_S6_T3_NS_24const_host_device_scalarIT2_EEPKT5_lPKT6_lSA_PT7_PKS7_PKS6_21rocsparse_index_base_b,"axG",@progbits,_ZN9rocsparseL16sddmm_csx_kernelILi512ELi8EL20rocsparse_direction_0E21rocsparse_complex_numIdEiiS3_S3_S3_EEv20rocsparse_operation_S4_16rocsparse_order_S5_T4_S6_S6_T3_NS_24const_host_device_scalarIT2_EEPKT5_lPKT6_lSA_PT7_PKS7_PKS6_21rocsparse_index_base_b,comdat
.Lfunc_end71:
	.size	_ZN9rocsparseL16sddmm_csx_kernelILi512ELi8EL20rocsparse_direction_0E21rocsparse_complex_numIdEiiS3_S3_S3_EEv20rocsparse_operation_S4_16rocsparse_order_S5_T4_S6_S6_T3_NS_24const_host_device_scalarIT2_EEPKT5_lPKT6_lSA_PT7_PKS7_PKS6_21rocsparse_index_base_b, .Lfunc_end71-_ZN9rocsparseL16sddmm_csx_kernelILi512ELi8EL20rocsparse_direction_0E21rocsparse_complex_numIdEiiS3_S3_S3_EEv20rocsparse_operation_S4_16rocsparse_order_S5_T4_S6_S6_T3_NS_24const_host_device_scalarIT2_EEPKT5_lPKT6_lSA_PT7_PKS7_PKS6_21rocsparse_index_base_b
                                        ; -- End function
	.set _ZN9rocsparseL16sddmm_csx_kernelILi512ELi8EL20rocsparse_direction_0E21rocsparse_complex_numIdEiiS3_S3_S3_EEv20rocsparse_operation_S4_16rocsparse_order_S5_T4_S6_S6_T3_NS_24const_host_device_scalarIT2_EEPKT5_lPKT6_lSA_PT7_PKS7_PKS6_21rocsparse_index_base_b.num_vgpr, 38
	.set _ZN9rocsparseL16sddmm_csx_kernelILi512ELi8EL20rocsparse_direction_0E21rocsparse_complex_numIdEiiS3_S3_S3_EEv20rocsparse_operation_S4_16rocsparse_order_S5_T4_S6_S6_T3_NS_24const_host_device_scalarIT2_EEPKT5_lPKT6_lSA_PT7_PKS7_PKS6_21rocsparse_index_base_b.num_agpr, 0
	.set _ZN9rocsparseL16sddmm_csx_kernelILi512ELi8EL20rocsparse_direction_0E21rocsparse_complex_numIdEiiS3_S3_S3_EEv20rocsparse_operation_S4_16rocsparse_order_S5_T4_S6_S6_T3_NS_24const_host_device_scalarIT2_EEPKT5_lPKT6_lSA_PT7_PKS7_PKS6_21rocsparse_index_base_b.numbered_sgpr, 32
	.set _ZN9rocsparseL16sddmm_csx_kernelILi512ELi8EL20rocsparse_direction_0E21rocsparse_complex_numIdEiiS3_S3_S3_EEv20rocsparse_operation_S4_16rocsparse_order_S5_T4_S6_S6_T3_NS_24const_host_device_scalarIT2_EEPKT5_lPKT6_lSA_PT7_PKS7_PKS6_21rocsparse_index_base_b.num_named_barrier, 0
	.set _ZN9rocsparseL16sddmm_csx_kernelILi512ELi8EL20rocsparse_direction_0E21rocsparse_complex_numIdEiiS3_S3_S3_EEv20rocsparse_operation_S4_16rocsparse_order_S5_T4_S6_S6_T3_NS_24const_host_device_scalarIT2_EEPKT5_lPKT6_lSA_PT7_PKS7_PKS6_21rocsparse_index_base_b.private_seg_size, 0
	.set _ZN9rocsparseL16sddmm_csx_kernelILi512ELi8EL20rocsparse_direction_0E21rocsparse_complex_numIdEiiS3_S3_S3_EEv20rocsparse_operation_S4_16rocsparse_order_S5_T4_S6_S6_T3_NS_24const_host_device_scalarIT2_EEPKT5_lPKT6_lSA_PT7_PKS7_PKS6_21rocsparse_index_base_b.uses_vcc, 1
	.set _ZN9rocsparseL16sddmm_csx_kernelILi512ELi8EL20rocsparse_direction_0E21rocsparse_complex_numIdEiiS3_S3_S3_EEv20rocsparse_operation_S4_16rocsparse_order_S5_T4_S6_S6_T3_NS_24const_host_device_scalarIT2_EEPKT5_lPKT6_lSA_PT7_PKS7_PKS6_21rocsparse_index_base_b.uses_flat_scratch, 0
	.set _ZN9rocsparseL16sddmm_csx_kernelILi512ELi8EL20rocsparse_direction_0E21rocsparse_complex_numIdEiiS3_S3_S3_EEv20rocsparse_operation_S4_16rocsparse_order_S5_T4_S6_S6_T3_NS_24const_host_device_scalarIT2_EEPKT5_lPKT6_lSA_PT7_PKS7_PKS6_21rocsparse_index_base_b.has_dyn_sized_stack, 0
	.set _ZN9rocsparseL16sddmm_csx_kernelILi512ELi8EL20rocsparse_direction_0E21rocsparse_complex_numIdEiiS3_S3_S3_EEv20rocsparse_operation_S4_16rocsparse_order_S5_T4_S6_S6_T3_NS_24const_host_device_scalarIT2_EEPKT5_lPKT6_lSA_PT7_PKS7_PKS6_21rocsparse_index_base_b.has_recursion, 0
	.set _ZN9rocsparseL16sddmm_csx_kernelILi512ELi8EL20rocsparse_direction_0E21rocsparse_complex_numIdEiiS3_S3_S3_EEv20rocsparse_operation_S4_16rocsparse_order_S5_T4_S6_S6_T3_NS_24const_host_device_scalarIT2_EEPKT5_lPKT6_lSA_PT7_PKS7_PKS6_21rocsparse_index_base_b.has_indirect_call, 0
	.section	.AMDGPU.csdata,"",@progbits
; Kernel info:
; codeLenInByte = 1364
; TotalNumSgprs: 38
; NumVgprs: 38
; NumAgprs: 0
; TotalNumVgprs: 38
; ScratchSize: 0
; MemoryBound: 0
; FloatMode: 240
; IeeeMode: 1
; LDSByteSize: 8192 bytes/workgroup (compile time only)
; SGPRBlocks: 4
; VGPRBlocks: 4
; NumSGPRsForWavesPerEU: 38
; NumVGPRsForWavesPerEU: 38
; AccumOffset: 40
; Occupancy: 8
; WaveLimiterHint : 0
; COMPUTE_PGM_RSRC2:SCRATCH_EN: 0
; COMPUTE_PGM_RSRC2:USER_SGPR: 2
; COMPUTE_PGM_RSRC2:TRAP_HANDLER: 0
; COMPUTE_PGM_RSRC2:TGID_X_EN: 1
; COMPUTE_PGM_RSRC2:TGID_Y_EN: 0
; COMPUTE_PGM_RSRC2:TGID_Z_EN: 0
; COMPUTE_PGM_RSRC2:TIDIG_COMP_CNT: 0
; COMPUTE_PGM_RSRC3_GFX90A:ACCUM_OFFSET: 9
; COMPUTE_PGM_RSRC3_GFX90A:TG_SPLIT: 0
	.section	.text._ZN9rocsparseL16sddmm_csx_kernelILi512ELi4EL20rocsparse_direction_0E21rocsparse_complex_numIdEiiS3_S3_S3_EEv20rocsparse_operation_S4_16rocsparse_order_S5_T4_S6_S6_T3_NS_24const_host_device_scalarIT2_EEPKT5_lPKT6_lSA_PT7_PKS7_PKS6_21rocsparse_index_base_b,"axG",@progbits,_ZN9rocsparseL16sddmm_csx_kernelILi512ELi4EL20rocsparse_direction_0E21rocsparse_complex_numIdEiiS3_S3_S3_EEv20rocsparse_operation_S4_16rocsparse_order_S5_T4_S6_S6_T3_NS_24const_host_device_scalarIT2_EEPKT5_lPKT6_lSA_PT7_PKS7_PKS6_21rocsparse_index_base_b,comdat
	.globl	_ZN9rocsparseL16sddmm_csx_kernelILi512ELi4EL20rocsparse_direction_0E21rocsparse_complex_numIdEiiS3_S3_S3_EEv20rocsparse_operation_S4_16rocsparse_order_S5_T4_S6_S6_T3_NS_24const_host_device_scalarIT2_EEPKT5_lPKT6_lSA_PT7_PKS7_PKS6_21rocsparse_index_base_b ; -- Begin function _ZN9rocsparseL16sddmm_csx_kernelILi512ELi4EL20rocsparse_direction_0E21rocsparse_complex_numIdEiiS3_S3_S3_EEv20rocsparse_operation_S4_16rocsparse_order_S5_T4_S6_S6_T3_NS_24const_host_device_scalarIT2_EEPKT5_lPKT6_lSA_PT7_PKS7_PKS6_21rocsparse_index_base_b
	.p2align	8
	.type	_ZN9rocsparseL16sddmm_csx_kernelILi512ELi4EL20rocsparse_direction_0E21rocsparse_complex_numIdEiiS3_S3_S3_EEv20rocsparse_operation_S4_16rocsparse_order_S5_T4_S6_S6_T3_NS_24const_host_device_scalarIT2_EEPKT5_lPKT6_lSA_PT7_PKS7_PKS6_21rocsparse_index_base_b,@function
_ZN9rocsparseL16sddmm_csx_kernelILi512ELi4EL20rocsparse_direction_0E21rocsparse_complex_numIdEiiS3_S3_S3_EEv20rocsparse_operation_S4_16rocsparse_order_S5_T4_S6_S6_T3_NS_24const_host_device_scalarIT2_EEPKT5_lPKT6_lSA_PT7_PKS7_PKS6_21rocsparse_index_base_b: ; @_ZN9rocsparseL16sddmm_csx_kernelILi512ELi4EL20rocsparse_direction_0E21rocsparse_complex_numIdEiiS3_S3_S3_EEv20rocsparse_operation_S4_16rocsparse_order_S5_T4_S6_S6_T3_NS_24const_host_device_scalarIT2_EEPKT5_lPKT6_lSA_PT7_PKS7_PKS6_21rocsparse_index_base_b
; %bb.0:
	s_load_dwordx2 s[4:5], s[0:1], 0x20
	s_load_dwordx4 s[12:15], s[0:1], 0x48
	s_load_dwordx2 s[10:11], s[0:1], 0x78
	s_add_u32 s3, s0, 32
	s_addc_u32 s6, s1, 0
	s_add_u32 s7, s0, 0x50
	s_addc_u32 s8, s1, 0
	s_waitcnt lgkmcnt(0)
	s_bitcmp1_b32 s11, 0
	s_cselect_b32 s5, s6, s5
	s_cselect_b32 s3, s3, s4
	v_mov_b32_e32 v2, s3
	v_mov_b32_e32 v3, s5
	flat_load_dwordx4 v[2:5], v[2:3]
	s_cselect_b32 s3, s8, s15
	s_cselect_b32 s4, s7, s14
	v_mov_b32_e32 v6, s4
	v_mov_b32_e32 v7, s3
	flat_load_dwordx4 v[6:9], v[6:7]
	s_waitcnt vmcnt(0) lgkmcnt(0)
	v_cmp_eq_f64_e32 vcc, 0, v[2:3]
	v_cmp_eq_f64_e64 s[4:5], 0, v[4:5]
	s_and_b64 s[8:9], vcc, s[4:5]
	s_mov_b64 s[4:5], -1
	s_and_saveexec_b64 s[6:7], s[8:9]
; %bb.1:
	v_cmp_neq_f64_e32 vcc, 1.0, v[6:7]
	v_cmp_neq_f64_e64 s[4:5], 0, v[8:9]
	s_or_b64 s[4:5], vcc, s[4:5]
	s_orn2_b64 s[4:5], s[4:5], exec
; %bb.2:
	s_or_b64 exec, exec, s[6:7]
	s_and_saveexec_b64 s[6:7], s[4:5]
	s_cbranch_execz .LBB72_32
; %bb.3:
	s_load_dword s3, s[0:1], 0x10
	v_lshrrev_b32_e32 v1, 2, v0
	v_lshl_or_b32 v12, s2, 7, v1
	s_waitcnt lgkmcnt(0)
	v_cmp_gt_i32_e32 vcc, s3, v12
	s_and_b64 exec, exec, vcc
	s_cbranch_execz .LBB72_32
; %bb.4:
	s_load_dwordx4 s[4:7], s[0:1], 0x0
	s_load_dwordx2 s[14:15], s[0:1], 0x68
	s_load_dwordx2 s[2:3], s[0:1], 0x38
	v_ashrrev_i32_e32 v13, 31, v12
	s_waitcnt lgkmcnt(0)
	s_cmp_eq_u32 s6, 1
	s_cselect_b64 s[8:9], -1, 0
	s_cmpk_eq_i32 s4, 0x6f
	s_cselect_b64 s[16:17], -1, 0
	s_cmpk_lg_i32 s4, 0x6f
	s_cselect_b64 s[18:19], -1, 0
	s_cmp_lg_u32 s6, 1
	s_cbranch_scc0 .LBB72_8
; %bb.5:
	s_andn2_b64 vcc, exec, s[16:17]
	v_mov_b64_e32 v[10:11], v[12:13]
	s_cbranch_vccnz .LBB72_7
; %bb.6:
	v_mul_lo_u32 v14, s3, v12
	v_mul_lo_u32 v15, s2, v13
	v_mad_u64_u32 v[10:11], s[20:21], s2, v12, 0
	v_add3_u32 v11, v11, v15, v14
.LBB72_7:
	s_cbranch_execz .LBB72_9
	s_branch .LBB72_11
.LBB72_8:
                                        ; implicit-def: $vgpr10_vgpr11
.LBB72_9:
	s_andn2_b64 vcc, exec, s[18:19]
	v_mov_b64_e32 v[10:11], v[12:13]
	s_cbranch_vccnz .LBB72_11
; %bb.10:
	v_mul_lo_u32 v14, s3, v12
	v_mul_lo_u32 v15, s2, v13
	v_mad_u64_u32 v[10:11], s[18:19], s2, v12, 0
	v_add3_u32 v11, v11, v15, v14
.LBB72_11:
	v_lshl_add_u64 v[12:13], v[12:13], 2, s[14:15]
	global_load_dwordx2 v[12:13], v[12:13], off
	s_waitcnt vmcnt(0)
	v_cmp_lt_i32_e32 vcc, v12, v13
	s_and_b64 exec, exec, vcc
	s_cbranch_execz .LBB72_32
; %bb.12:
	s_xor_b64 s[8:9], s[16:17], s[8:9]
	s_and_b64 s[8:9], s[8:9], exec
	s_cselect_b32 s9, 0, s3
	s_cselect_b32 s8, 1, s2
	s_cmp_lg_u32 s7, 1
	s_cselect_b64 s[16:17], -1, 0
	s_cmp_eq_u32 s7, 1
	s_cselect_b64 s[2:3], -1, 0
	s_cmpk_eq_i32 s5, 0x6f
	s_cselect_b64 s[6:7], -1, 0
	s_cmpk_lg_i32 s5, 0x6f
	s_cselect_b64 s[26:27], -1, 0
	s_xor_b64 s[2:3], s[6:7], s[2:3]
	s_and_b64 s[2:3], s[2:3], exec
	s_cselect_b32 s20, s12, 1
	v_and_b32_e32 v22, 3, v0
	v_subrev_u32_e32 v0, s10, v12
	v_subrev_u32_e32 v25, s10, v13
	v_mad_u64_u32 v[12:13], s[24:25], s20, v22, 0
	v_cndmask_b32_e64 v18, 0, 1, s[6:7]
	s_load_dwordx2 s[18:19], s[0:1], 0x60
	s_load_dwordx2 s[6:7], s[0:1], 0x40
	s_load_dwordx2 s[22:23], s[0:1], 0x30
	s_load_dword s11, s[0:1], 0x18
	s_cselect_b32 s21, s13, 0
	v_mov_b32_e32 v14, v13
	v_mad_u64_u32 v[14:15], s[24:25], s21, v22, v[14:15]
	v_mov_b32_e32 v13, v14
	s_waitcnt lgkmcnt(0)
	v_lshl_add_u64 v[12:13], v[12:13], 4, s[6:7]
	v_lshl_add_u64 v[14:15], v[12:13], 0, 8
	v_mad_u64_u32 v[12:13], s[6:7], s8, v22, 0
	v_mov_b32_e32 v16, v13
	s_load_dwordx2 s[14:15], s[0:1], 0x70
	v_mad_u64_u32 v[16:17], s[6:7], s9, v22, v[16:17]
	v_mov_b32_e32 v13, v16
	v_lshlrev_b64 v[10:11], 4, v[10:11]
	v_lshl_add_u64 v[10:11], v[12:13], 4, v[10:11]
	v_lshlrev_b32_e32 v23, 6, v1
	v_lshl_add_u64 v[10:11], s[22:23], 0, v[10:11]
	v_cndmask_b32_e64 v1, 0, 1, s[26:27]
	v_cmp_gt_i32_e64 s[0:1], s11, v22
	v_lshl_or_b32 v24, v22, 4, v23
	v_cmp_eq_u32_e64 s[2:3], 0, v22
	v_cmp_gt_u32_e64 s[4:5], 2, v22
	s_lshl_b64 s[20:21], s[20:21], 6
	v_lshl_add_u64 v[16:17], v[10:11], 0, 8
	s_lshl_b64 s[22:23], s[8:9], 6
	s_mov_b64 s[24:25], 0
	v_cmp_ne_u32_e64 s[6:7], 1, v1
	v_cmp_ne_u32_e64 s[8:9], 1, v18
	s_branch .LBB72_14
.LBB72_13:                              ;   in Loop: Header=BB72_14 Depth=1
	s_or_b64 exec, exec, s[26:27]
	v_add_u32_e32 v0, 1, v0
	v_cmp_ge_i32_e32 vcc, v0, v25
	s_or_b64 s[24:25], vcc, s[24:25]
	s_andn2_b64 exec, exec, s[24:25]
	s_cbranch_execz .LBB72_32
.LBB72_14:                              ; =>This Loop Header: Depth=1
                                        ;     Child Loop BB72_24 Depth 2
	v_ashrrev_i32_e32 v1, 31, v0
	s_waitcnt lgkmcnt(0)
	v_lshl_add_u64 v[10:11], v[0:1], 2, s[14:15]
	global_load_dword v10, v[10:11], off
	s_mov_b64 s[26:27], -1
	s_and_b64 vcc, exec, s[16:17]
                                        ; implicit-def: $vgpr18_vgpr19
	s_waitcnt vmcnt(0)
	v_subrev_u32_e32 v10, s10, v10
	v_ashrrev_i32_e32 v11, 31, v10
	s_cbranch_vccnz .LBB72_17
; %bb.15:                               ;   in Loop: Header=BB72_14 Depth=1
	s_andn2_b64 vcc, exec, s[26:27]
	s_cbranch_vccz .LBB72_20
.LBB72_16:                              ;   in Loop: Header=BB72_14 Depth=1
	v_mov_b64_e32 v[12:13], 0
	v_mov_b64_e32 v[10:11], 0
	s_and_saveexec_b64 s[26:27], s[0:1]
	s_cbranch_execnz .LBB72_23
	s_branch .LBB72_26
.LBB72_17:                              ;   in Loop: Header=BB72_14 Depth=1
	s_and_b64 vcc, exec, s[6:7]
	v_mov_b64_e32 v[18:19], v[10:11]
	s_cbranch_vccnz .LBB72_19
; %bb.18:                               ;   in Loop: Header=BB72_14 Depth=1
	v_mul_lo_u32 v12, s13, v10
	v_mul_lo_u32 v13, s12, v11
	v_mad_u64_u32 v[18:19], s[26:27], s12, v10, 0
	v_add3_u32 v19, v19, v13, v12
.LBB72_19:                              ;   in Loop: Header=BB72_14 Depth=1
	s_cbranch_execnz .LBB72_16
.LBB72_20:                              ;   in Loop: Header=BB72_14 Depth=1
	s_and_b64 vcc, exec, s[8:9]
	s_cbranch_vccnz .LBB72_22
; %bb.21:                               ;   in Loop: Header=BB72_14 Depth=1
	v_mul_lo_u32 v12, s13, v10
	v_mul_lo_u32 v13, s12, v11
	v_mad_u64_u32 v[10:11], s[26:27], s12, v10, 0
	v_add3_u32 v11, v11, v13, v12
.LBB72_22:                              ;   in Loop: Header=BB72_14 Depth=1
	v_mov_b64_e32 v[18:19], v[10:11]
	v_mov_b64_e32 v[12:13], 0
	v_mov_b64_e32 v[10:11], 0
	s_and_saveexec_b64 s[26:27], s[0:1]
	s_cbranch_execz .LBB72_26
.LBB72_23:                              ;   in Loop: Header=BB72_14 Depth=1
	v_mov_b64_e32 v[12:13], 0
	v_lshl_add_u64 v[18:19], v[18:19], 4, v[14:15]
	s_mov_b64 s[28:29], 0
	v_mov_b64_e32 v[20:21], v[16:17]
	v_mov_b32_e32 v26, v22
	v_mov_b64_e32 v[10:11], v[12:13]
.LBB72_24:                              ;   Parent Loop BB72_14 Depth=1
                                        ; =>  This Inner Loop Header: Depth=2
	global_load_dwordx4 v[28:31], v[18:19], off offset:-8
	global_load_dwordx4 v[32:35], v[20:21], off offset:-8
	v_add_u32_e32 v26, 4, v26
	v_cmp_le_i32_e32 vcc, s11, v26
	v_lshl_add_u64 v[18:19], v[18:19], 0, s[20:21]
	v_lshl_add_u64 v[20:21], v[20:21], 0, s[22:23]
	s_or_b64 s[28:29], vcc, s[28:29]
	s_waitcnt vmcnt(0)
	v_mul_f64 v[36:37], v[30:31], -v[34:35]
	v_mul_f64 v[30:31], v[30:31], v[32:33]
	v_fmac_f64_e32 v[36:37], v[32:33], v[28:29]
	v_fmac_f64_e32 v[30:31], v[34:35], v[28:29]
	v_add_f64 v[10:11], v[10:11], v[36:37]
	v_add_f64 v[12:13], v[12:13], v[30:31]
	s_andn2_b64 exec, exec, s[28:29]
	s_cbranch_execnz .LBB72_24
; %bb.25:                               ;   in Loop: Header=BB72_14 Depth=1
	s_or_b64 exec, exec, s[28:29]
.LBB72_26:                              ;   in Loop: Header=BB72_14 Depth=1
	s_or_b64 exec, exec, s[26:27]
	ds_write_b128 v24, v[10:13]
	s_waitcnt lgkmcnt(0)
	s_barrier
	s_and_saveexec_b64 s[26:27], s[4:5]
	s_cbranch_execz .LBB72_28
; %bb.27:                               ;   in Loop: Header=BB72_14 Depth=1
	ds_read_b128 v[10:13], v24
	ds_read_b128 v[18:21], v24 offset:32
	s_waitcnt lgkmcnt(0)
	v_add_f64 v[10:11], v[18:19], v[10:11]
	v_add_f64 v[12:13], v[20:21], v[12:13]
	ds_write_b128 v24, v[10:13]
.LBB72_28:                              ;   in Loop: Header=BB72_14 Depth=1
	s_or_b64 exec, exec, s[26:27]
	s_waitcnt lgkmcnt(0)
	s_barrier
	s_and_saveexec_b64 s[26:27], s[2:3]
	s_cbranch_execz .LBB72_30
; %bb.29:                               ;   in Loop: Header=BB72_14 Depth=1
	ds_read_b128 v[10:13], v24
	ds_read_b128 v[18:21], v24 offset:16
	s_waitcnt lgkmcnt(0)
	v_add_f64 v[10:11], v[18:19], v[10:11]
	v_add_f64 v[12:13], v[20:21], v[12:13]
	ds_write_b128 v24, v[10:13]
.LBB72_30:                              ;   in Loop: Header=BB72_14 Depth=1
	s_or_b64 exec, exec, s[26:27]
	s_waitcnt lgkmcnt(0)
	s_barrier
	s_and_saveexec_b64 s[26:27], s[2:3]
	s_cbranch_execz .LBB72_13
; %bb.31:                               ;   in Loop: Header=BB72_14 Depth=1
	v_lshl_add_u64 v[26:27], v[0:1], 4, s[18:19]
	global_load_dwordx4 v[10:13], v[26:27], off
	ds_read_b128 v[18:21], v23
	s_waitcnt lgkmcnt(0)
	v_mul_f64 v[28:29], v[20:21], -v[4:5]
	v_mul_f64 v[20:21], v[2:3], v[20:21]
	v_fmac_f64_e32 v[28:29], v[2:3], v[18:19]
	v_fmac_f64_e32 v[20:21], v[4:5], v[18:19]
	s_waitcnt vmcnt(0)
	v_mul_f64 v[18:19], v[8:9], -v[12:13]
	v_mul_f64 v[30:31], v[8:9], v[10:11]
	v_fmac_f64_e32 v[18:19], v[10:11], v[6:7]
	v_fmac_f64_e32 v[30:31], v[12:13], v[6:7]
	v_add_f64 v[10:11], v[18:19], v[28:29]
	v_add_f64 v[12:13], v[30:31], v[20:21]
	global_store_dwordx4 v[26:27], v[10:13], off
	s_branch .LBB72_13
.LBB72_32:
	s_endpgm
	.section	.rodata,"a",@progbits
	.p2align	6, 0x0
	.amdhsa_kernel _ZN9rocsparseL16sddmm_csx_kernelILi512ELi4EL20rocsparse_direction_0E21rocsparse_complex_numIdEiiS3_S3_S3_EEv20rocsparse_operation_S4_16rocsparse_order_S5_T4_S6_S6_T3_NS_24const_host_device_scalarIT2_EEPKT5_lPKT6_lSA_PT7_PKS7_PKS6_21rocsparse_index_base_b
		.amdhsa_group_segment_fixed_size 8192
		.amdhsa_private_segment_fixed_size 0
		.amdhsa_kernarg_size 128
		.amdhsa_user_sgpr_count 2
		.amdhsa_user_sgpr_dispatch_ptr 0
		.amdhsa_user_sgpr_queue_ptr 0
		.amdhsa_user_sgpr_kernarg_segment_ptr 1
		.amdhsa_user_sgpr_dispatch_id 0
		.amdhsa_user_sgpr_kernarg_preload_length 0
		.amdhsa_user_sgpr_kernarg_preload_offset 0
		.amdhsa_user_sgpr_private_segment_size 0
		.amdhsa_uses_dynamic_stack 0
		.amdhsa_enable_private_segment 0
		.amdhsa_system_sgpr_workgroup_id_x 1
		.amdhsa_system_sgpr_workgroup_id_y 0
		.amdhsa_system_sgpr_workgroup_id_z 0
		.amdhsa_system_sgpr_workgroup_info 0
		.amdhsa_system_vgpr_workitem_id 0
		.amdhsa_next_free_vgpr 38
		.amdhsa_next_free_sgpr 30
		.amdhsa_accum_offset 40
		.amdhsa_reserve_vcc 1
		.amdhsa_float_round_mode_32 0
		.amdhsa_float_round_mode_16_64 0
		.amdhsa_float_denorm_mode_32 3
		.amdhsa_float_denorm_mode_16_64 3
		.amdhsa_dx10_clamp 1
		.amdhsa_ieee_mode 1
		.amdhsa_fp16_overflow 0
		.amdhsa_tg_split 0
		.amdhsa_exception_fp_ieee_invalid_op 0
		.amdhsa_exception_fp_denorm_src 0
		.amdhsa_exception_fp_ieee_div_zero 0
		.amdhsa_exception_fp_ieee_overflow 0
		.amdhsa_exception_fp_ieee_underflow 0
		.amdhsa_exception_fp_ieee_inexact 0
		.amdhsa_exception_int_div_zero 0
	.end_amdhsa_kernel
	.section	.text._ZN9rocsparseL16sddmm_csx_kernelILi512ELi4EL20rocsparse_direction_0E21rocsparse_complex_numIdEiiS3_S3_S3_EEv20rocsparse_operation_S4_16rocsparse_order_S5_T4_S6_S6_T3_NS_24const_host_device_scalarIT2_EEPKT5_lPKT6_lSA_PT7_PKS7_PKS6_21rocsparse_index_base_b,"axG",@progbits,_ZN9rocsparseL16sddmm_csx_kernelILi512ELi4EL20rocsparse_direction_0E21rocsparse_complex_numIdEiiS3_S3_S3_EEv20rocsparse_operation_S4_16rocsparse_order_S5_T4_S6_S6_T3_NS_24const_host_device_scalarIT2_EEPKT5_lPKT6_lSA_PT7_PKS7_PKS6_21rocsparse_index_base_b,comdat
.Lfunc_end72:
	.size	_ZN9rocsparseL16sddmm_csx_kernelILi512ELi4EL20rocsparse_direction_0E21rocsparse_complex_numIdEiiS3_S3_S3_EEv20rocsparse_operation_S4_16rocsparse_order_S5_T4_S6_S6_T3_NS_24const_host_device_scalarIT2_EEPKT5_lPKT6_lSA_PT7_PKS7_PKS6_21rocsparse_index_base_b, .Lfunc_end72-_ZN9rocsparseL16sddmm_csx_kernelILi512ELi4EL20rocsparse_direction_0E21rocsparse_complex_numIdEiiS3_S3_S3_EEv20rocsparse_operation_S4_16rocsparse_order_S5_T4_S6_S6_T3_NS_24const_host_device_scalarIT2_EEPKT5_lPKT6_lSA_PT7_PKS7_PKS6_21rocsparse_index_base_b
                                        ; -- End function
	.set _ZN9rocsparseL16sddmm_csx_kernelILi512ELi4EL20rocsparse_direction_0E21rocsparse_complex_numIdEiiS3_S3_S3_EEv20rocsparse_operation_S4_16rocsparse_order_S5_T4_S6_S6_T3_NS_24const_host_device_scalarIT2_EEPKT5_lPKT6_lSA_PT7_PKS7_PKS6_21rocsparse_index_base_b.num_vgpr, 38
	.set _ZN9rocsparseL16sddmm_csx_kernelILi512ELi4EL20rocsparse_direction_0E21rocsparse_complex_numIdEiiS3_S3_S3_EEv20rocsparse_operation_S4_16rocsparse_order_S5_T4_S6_S6_T3_NS_24const_host_device_scalarIT2_EEPKT5_lPKT6_lSA_PT7_PKS7_PKS6_21rocsparse_index_base_b.num_agpr, 0
	.set _ZN9rocsparseL16sddmm_csx_kernelILi512ELi4EL20rocsparse_direction_0E21rocsparse_complex_numIdEiiS3_S3_S3_EEv20rocsparse_operation_S4_16rocsparse_order_S5_T4_S6_S6_T3_NS_24const_host_device_scalarIT2_EEPKT5_lPKT6_lSA_PT7_PKS7_PKS6_21rocsparse_index_base_b.numbered_sgpr, 30
	.set _ZN9rocsparseL16sddmm_csx_kernelILi512ELi4EL20rocsparse_direction_0E21rocsparse_complex_numIdEiiS3_S3_S3_EEv20rocsparse_operation_S4_16rocsparse_order_S5_T4_S6_S6_T3_NS_24const_host_device_scalarIT2_EEPKT5_lPKT6_lSA_PT7_PKS7_PKS6_21rocsparse_index_base_b.num_named_barrier, 0
	.set _ZN9rocsparseL16sddmm_csx_kernelILi512ELi4EL20rocsparse_direction_0E21rocsparse_complex_numIdEiiS3_S3_S3_EEv20rocsparse_operation_S4_16rocsparse_order_S5_T4_S6_S6_T3_NS_24const_host_device_scalarIT2_EEPKT5_lPKT6_lSA_PT7_PKS7_PKS6_21rocsparse_index_base_b.private_seg_size, 0
	.set _ZN9rocsparseL16sddmm_csx_kernelILi512ELi4EL20rocsparse_direction_0E21rocsparse_complex_numIdEiiS3_S3_S3_EEv20rocsparse_operation_S4_16rocsparse_order_S5_T4_S6_S6_T3_NS_24const_host_device_scalarIT2_EEPKT5_lPKT6_lSA_PT7_PKS7_PKS6_21rocsparse_index_base_b.uses_vcc, 1
	.set _ZN9rocsparseL16sddmm_csx_kernelILi512ELi4EL20rocsparse_direction_0E21rocsparse_complex_numIdEiiS3_S3_S3_EEv20rocsparse_operation_S4_16rocsparse_order_S5_T4_S6_S6_T3_NS_24const_host_device_scalarIT2_EEPKT5_lPKT6_lSA_PT7_PKS7_PKS6_21rocsparse_index_base_b.uses_flat_scratch, 0
	.set _ZN9rocsparseL16sddmm_csx_kernelILi512ELi4EL20rocsparse_direction_0E21rocsparse_complex_numIdEiiS3_S3_S3_EEv20rocsparse_operation_S4_16rocsparse_order_S5_T4_S6_S6_T3_NS_24const_host_device_scalarIT2_EEPKT5_lPKT6_lSA_PT7_PKS7_PKS6_21rocsparse_index_base_b.has_dyn_sized_stack, 0
	.set _ZN9rocsparseL16sddmm_csx_kernelILi512ELi4EL20rocsparse_direction_0E21rocsparse_complex_numIdEiiS3_S3_S3_EEv20rocsparse_operation_S4_16rocsparse_order_S5_T4_S6_S6_T3_NS_24const_host_device_scalarIT2_EEPKT5_lPKT6_lSA_PT7_PKS7_PKS6_21rocsparse_index_base_b.has_recursion, 0
	.set _ZN9rocsparseL16sddmm_csx_kernelILi512ELi4EL20rocsparse_direction_0E21rocsparse_complex_numIdEiiS3_S3_S3_EEv20rocsparse_operation_S4_16rocsparse_order_S5_T4_S6_S6_T3_NS_24const_host_device_scalarIT2_EEPKT5_lPKT6_lSA_PT7_PKS7_PKS6_21rocsparse_index_base_b.has_indirect_call, 0
	.section	.AMDGPU.csdata,"",@progbits
; Kernel info:
; codeLenInByte = 1292
; TotalNumSgprs: 36
; NumVgprs: 38
; NumAgprs: 0
; TotalNumVgprs: 38
; ScratchSize: 0
; MemoryBound: 0
; FloatMode: 240
; IeeeMode: 1
; LDSByteSize: 8192 bytes/workgroup (compile time only)
; SGPRBlocks: 4
; VGPRBlocks: 4
; NumSGPRsForWavesPerEU: 36
; NumVGPRsForWavesPerEU: 38
; AccumOffset: 40
; Occupancy: 8
; WaveLimiterHint : 0
; COMPUTE_PGM_RSRC2:SCRATCH_EN: 0
; COMPUTE_PGM_RSRC2:USER_SGPR: 2
; COMPUTE_PGM_RSRC2:TRAP_HANDLER: 0
; COMPUTE_PGM_RSRC2:TGID_X_EN: 1
; COMPUTE_PGM_RSRC2:TGID_Y_EN: 0
; COMPUTE_PGM_RSRC2:TGID_Z_EN: 0
; COMPUTE_PGM_RSRC2:TIDIG_COMP_CNT: 0
; COMPUTE_PGM_RSRC3_GFX90A:ACCUM_OFFSET: 9
; COMPUTE_PGM_RSRC3_GFX90A:TG_SPLIT: 0
	.section	.text._ZN9rocsparseL16sddmm_csx_kernelILi512ELi2EL20rocsparse_direction_0E21rocsparse_complex_numIdEiiS3_S3_S3_EEv20rocsparse_operation_S4_16rocsparse_order_S5_T4_S6_S6_T3_NS_24const_host_device_scalarIT2_EEPKT5_lPKT6_lSA_PT7_PKS7_PKS6_21rocsparse_index_base_b,"axG",@progbits,_ZN9rocsparseL16sddmm_csx_kernelILi512ELi2EL20rocsparse_direction_0E21rocsparse_complex_numIdEiiS3_S3_S3_EEv20rocsparse_operation_S4_16rocsparse_order_S5_T4_S6_S6_T3_NS_24const_host_device_scalarIT2_EEPKT5_lPKT6_lSA_PT7_PKS7_PKS6_21rocsparse_index_base_b,comdat
	.globl	_ZN9rocsparseL16sddmm_csx_kernelILi512ELi2EL20rocsparse_direction_0E21rocsparse_complex_numIdEiiS3_S3_S3_EEv20rocsparse_operation_S4_16rocsparse_order_S5_T4_S6_S6_T3_NS_24const_host_device_scalarIT2_EEPKT5_lPKT6_lSA_PT7_PKS7_PKS6_21rocsparse_index_base_b ; -- Begin function _ZN9rocsparseL16sddmm_csx_kernelILi512ELi2EL20rocsparse_direction_0E21rocsparse_complex_numIdEiiS3_S3_S3_EEv20rocsparse_operation_S4_16rocsparse_order_S5_T4_S6_S6_T3_NS_24const_host_device_scalarIT2_EEPKT5_lPKT6_lSA_PT7_PKS7_PKS6_21rocsparse_index_base_b
	.p2align	8
	.type	_ZN9rocsparseL16sddmm_csx_kernelILi512ELi2EL20rocsparse_direction_0E21rocsparse_complex_numIdEiiS3_S3_S3_EEv20rocsparse_operation_S4_16rocsparse_order_S5_T4_S6_S6_T3_NS_24const_host_device_scalarIT2_EEPKT5_lPKT6_lSA_PT7_PKS7_PKS6_21rocsparse_index_base_b,@function
_ZN9rocsparseL16sddmm_csx_kernelILi512ELi2EL20rocsparse_direction_0E21rocsparse_complex_numIdEiiS3_S3_S3_EEv20rocsparse_operation_S4_16rocsparse_order_S5_T4_S6_S6_T3_NS_24const_host_device_scalarIT2_EEPKT5_lPKT6_lSA_PT7_PKS7_PKS6_21rocsparse_index_base_b: ; @_ZN9rocsparseL16sddmm_csx_kernelILi512ELi2EL20rocsparse_direction_0E21rocsparse_complex_numIdEiiS3_S3_S3_EEv20rocsparse_operation_S4_16rocsparse_order_S5_T4_S6_S6_T3_NS_24const_host_device_scalarIT2_EEPKT5_lPKT6_lSA_PT7_PKS7_PKS6_21rocsparse_index_base_b
; %bb.0:
	s_load_dwordx2 s[4:5], s[0:1], 0x20
	s_load_dwordx4 s[8:11], s[0:1], 0x48
	s_load_dwordx2 s[12:13], s[0:1], 0x78
	s_add_u32 s3, s0, 32
	s_addc_u32 s6, s1, 0
	s_add_u32 s7, s0, 0x50
	s_addc_u32 s14, s1, 0
	s_waitcnt lgkmcnt(0)
	s_bitcmp1_b32 s13, 0
	s_cselect_b32 s5, s6, s5
	s_cselect_b32 s3, s3, s4
	v_mov_b32_e32 v2, s3
	v_mov_b32_e32 v3, s5
	flat_load_dwordx4 v[2:5], v[2:3]
	s_cselect_b32 s3, s14, s11
	s_cselect_b32 s4, s7, s10
	v_mov_b32_e32 v6, s4
	v_mov_b32_e32 v7, s3
	flat_load_dwordx4 v[6:9], v[6:7]
	s_waitcnt vmcnt(0) lgkmcnt(0)
	v_cmp_eq_f64_e32 vcc, 0, v[2:3]
	v_cmp_eq_f64_e64 s[4:5], 0, v[4:5]
	s_and_b64 s[10:11], vcc, s[4:5]
	s_mov_b64 s[4:5], -1
	s_and_saveexec_b64 s[6:7], s[10:11]
; %bb.1:
	v_cmp_neq_f64_e32 vcc, 1.0, v[6:7]
	v_cmp_neq_f64_e64 s[4:5], 0, v[8:9]
	s_or_b64 s[4:5], vcc, s[4:5]
	s_orn2_b64 s[4:5], s[4:5], exec
; %bb.2:
	s_or_b64 exec, exec, s[6:7]
	s_and_saveexec_b64 s[6:7], s[4:5]
	s_cbranch_execz .LBB73_30
; %bb.3:
	s_load_dword s3, s[0:1], 0x10
	v_lshrrev_b32_e32 v1, 1, v0
	v_lshl_or_b32 v12, s2, 8, v1
	s_waitcnt lgkmcnt(0)
	v_cmp_gt_i32_e32 vcc, s3, v12
	s_and_b64 exec, exec, vcc
	s_cbranch_execz .LBB73_30
; %bb.4:
	s_load_dwordx4 s[4:7], s[0:1], 0x0
	s_load_dwordx2 s[10:11], s[0:1], 0x68
	s_load_dwordx2 s[2:3], s[0:1], 0x38
	v_ashrrev_i32_e32 v13, 31, v12
	s_waitcnt lgkmcnt(0)
	s_cmp_eq_u32 s6, 1
	s_cselect_b64 s[14:15], -1, 0
	s_cmpk_eq_i32 s4, 0x6f
	s_cselect_b64 s[16:17], -1, 0
	s_cmpk_lg_i32 s4, 0x6f
	s_cselect_b64 s[18:19], -1, 0
	s_cmp_lg_u32 s6, 1
	s_cbranch_scc0 .LBB73_8
; %bb.5:
	s_andn2_b64 vcc, exec, s[16:17]
	v_mov_b64_e32 v[10:11], v[12:13]
	s_cbranch_vccnz .LBB73_7
; %bb.6:
	v_mul_lo_u32 v14, s3, v12
	v_mul_lo_u32 v15, s2, v13
	v_mad_u64_u32 v[10:11], s[20:21], s2, v12, 0
	v_add3_u32 v11, v11, v15, v14
.LBB73_7:
	s_cbranch_execz .LBB73_9
	s_branch .LBB73_11
.LBB73_8:
                                        ; implicit-def: $vgpr10_vgpr11
.LBB73_9:
	s_andn2_b64 vcc, exec, s[18:19]
	v_mov_b64_e32 v[10:11], v[12:13]
	s_cbranch_vccnz .LBB73_11
; %bb.10:
	v_mul_lo_u32 v14, s3, v12
	v_mul_lo_u32 v15, s2, v13
	v_mad_u64_u32 v[10:11], s[18:19], s2, v12, 0
	v_add3_u32 v11, v11, v15, v14
.LBB73_11:
	v_lshl_add_u64 v[12:13], v[12:13], 2, s[10:11]
	global_load_dwordx2 v[12:13], v[12:13], off
	s_waitcnt vmcnt(0)
	v_cmp_lt_i32_e32 vcc, v12, v13
	s_and_b64 exec, exec, vcc
	s_cbranch_execz .LBB73_30
; %bb.12:
	s_xor_b64 s[14:15], s[16:17], s[14:15]
	s_and_b64 s[14:15], s[14:15], exec
	s_cselect_b32 s21, 0, s3
	s_cselect_b32 s20, 1, s2
	s_cmp_lg_u32 s7, 1
	s_cselect_b64 s[14:15], -1, 0
	s_cmp_eq_u32 s7, 1
	s_cselect_b64 s[2:3], -1, 0
	s_cmpk_eq_i32 s5, 0x6f
	s_cselect_b64 s[6:7], -1, 0
	s_cmpk_lg_i32 s5, 0x6f
	s_cselect_b64 s[4:5], -1, 0
	s_xor_b64 s[2:3], s[6:7], s[2:3]
	v_cndmask_b32_e64 v18, 0, 1, s[6:7]
	s_and_b64 s[2:3], s[2:3], exec
	s_load_dwordx2 s[16:17], s[0:1], 0x60
	s_load_dwordx2 s[6:7], s[0:1], 0x40
	;; [unrolled: 1-line block ×3, first 2 shown]
	s_load_dword s13, s[0:1], 0x18
	s_cselect_b32 s19, s9, 0
	s_cselect_b32 s18, s8, 1
	v_and_b32_e32 v22, 1, v0
	v_subrev_u32_e32 v0, s12, v12
	v_subrev_u32_e32 v25, s12, v13
	v_mul_lo_u32 v13, s19, v22
	v_mul_lo_u32 v12, s18, v22
	s_load_dwordx2 s[10:11], s[0:1], 0x70
	s_waitcnt lgkmcnt(0)
	v_lshl_add_u64 v[12:13], v[12:13], 4, s[6:7]
	v_lshl_add_u64 v[14:15], v[12:13], 0, 8
	v_mul_lo_u32 v13, s21, v22
	v_mul_lo_u32 v12, s20, v22
	v_lshlrev_b64 v[10:11], 4, v[10:11]
	v_lshl_add_u64 v[10:11], v[12:13], 4, v[10:11]
	v_lshlrev_b32_e32 v23, 5, v1
	v_lshl_add_u64 v[10:11], s[22:23], 0, v[10:11]
	v_cndmask_b32_e64 v1, 0, 1, s[4:5]
	v_cmp_gt_i32_e64 s[0:1], s13, v22
	v_lshl_or_b32 v24, v22, 4, v23
	v_cmp_eq_u32_e64 s[2:3], 0, v22
	s_lshl_b64 s[18:19], s[18:19], 5
	v_lshl_add_u64 v[16:17], v[10:11], 0, 8
	s_lshl_b64 s[20:21], s[20:21], 5
	s_mov_b64 s[22:23], 0
	v_cmp_ne_u32_e64 s[4:5], 1, v1
	v_cmp_ne_u32_e64 s[6:7], 1, v18
	s_branch .LBB73_14
.LBB73_13:                              ;   in Loop: Header=BB73_14 Depth=1
	s_or_b64 exec, exec, s[24:25]
	v_add_u32_e32 v0, 1, v0
	v_cmp_ge_i32_e32 vcc, v0, v25
	s_or_b64 s[22:23], vcc, s[22:23]
	s_andn2_b64 exec, exec, s[22:23]
	s_cbranch_execz .LBB73_30
.LBB73_14:                              ; =>This Loop Header: Depth=1
                                        ;     Child Loop BB73_24 Depth 2
	v_ashrrev_i32_e32 v1, 31, v0
	v_lshl_add_u64 v[10:11], v[0:1], 2, s[10:11]
	global_load_dword v10, v[10:11], off
	s_mov_b64 s[24:25], -1
	s_and_b64 vcc, exec, s[14:15]
                                        ; implicit-def: $vgpr18_vgpr19
	s_waitcnt vmcnt(0)
	v_subrev_u32_e32 v10, s12, v10
	v_ashrrev_i32_e32 v11, 31, v10
	s_cbranch_vccnz .LBB73_17
; %bb.15:                               ;   in Loop: Header=BB73_14 Depth=1
	s_andn2_b64 vcc, exec, s[24:25]
	s_cbranch_vccz .LBB73_20
.LBB73_16:                              ;   in Loop: Header=BB73_14 Depth=1
	v_mov_b64_e32 v[12:13], 0
	v_mov_b64_e32 v[10:11], 0
	s_and_saveexec_b64 s[24:25], s[0:1]
	s_cbranch_execnz .LBB73_23
	s_branch .LBB73_26
.LBB73_17:                              ;   in Loop: Header=BB73_14 Depth=1
	s_and_b64 vcc, exec, s[4:5]
	v_mov_b64_e32 v[18:19], v[10:11]
	s_cbranch_vccnz .LBB73_19
; %bb.18:                               ;   in Loop: Header=BB73_14 Depth=1
	v_mul_lo_u32 v12, s9, v10
	v_mul_lo_u32 v13, s8, v11
	v_mad_u64_u32 v[18:19], s[24:25], s8, v10, 0
	v_add3_u32 v19, v19, v13, v12
.LBB73_19:                              ;   in Loop: Header=BB73_14 Depth=1
	s_cbranch_execnz .LBB73_16
.LBB73_20:                              ;   in Loop: Header=BB73_14 Depth=1
	s_and_b64 vcc, exec, s[6:7]
	s_cbranch_vccnz .LBB73_22
; %bb.21:                               ;   in Loop: Header=BB73_14 Depth=1
	v_mul_lo_u32 v12, s9, v10
	v_mul_lo_u32 v13, s8, v11
	v_mad_u64_u32 v[10:11], s[24:25], s8, v10, 0
	v_add3_u32 v11, v11, v13, v12
.LBB73_22:                              ;   in Loop: Header=BB73_14 Depth=1
	v_mov_b64_e32 v[18:19], v[10:11]
	v_mov_b64_e32 v[12:13], 0
	;; [unrolled: 1-line block ×3, first 2 shown]
	s_and_saveexec_b64 s[24:25], s[0:1]
	s_cbranch_execz .LBB73_26
.LBB73_23:                              ;   in Loop: Header=BB73_14 Depth=1
	v_mov_b64_e32 v[12:13], 0
	v_lshl_add_u64 v[18:19], v[18:19], 4, v[14:15]
	s_mov_b64 s[26:27], 0
	v_mov_b64_e32 v[20:21], v[16:17]
	v_mov_b32_e32 v26, v22
	v_mov_b64_e32 v[10:11], v[12:13]
.LBB73_24:                              ;   Parent Loop BB73_14 Depth=1
                                        ; =>  This Inner Loop Header: Depth=2
	global_load_dwordx4 v[28:31], v[18:19], off offset:-8
	global_load_dwordx4 v[32:35], v[20:21], off offset:-8
	v_add_u32_e32 v26, 2, v26
	v_cmp_le_i32_e32 vcc, s13, v26
	v_lshl_add_u64 v[18:19], v[18:19], 0, s[18:19]
	v_lshl_add_u64 v[20:21], v[20:21], 0, s[20:21]
	s_or_b64 s[26:27], vcc, s[26:27]
	s_waitcnt vmcnt(0)
	v_mul_f64 v[36:37], v[30:31], -v[34:35]
	v_mul_f64 v[30:31], v[30:31], v[32:33]
	v_fmac_f64_e32 v[36:37], v[32:33], v[28:29]
	v_fmac_f64_e32 v[30:31], v[34:35], v[28:29]
	v_add_f64 v[10:11], v[10:11], v[36:37]
	v_add_f64 v[12:13], v[12:13], v[30:31]
	s_andn2_b64 exec, exec, s[26:27]
	s_cbranch_execnz .LBB73_24
; %bb.25:                               ;   in Loop: Header=BB73_14 Depth=1
	s_or_b64 exec, exec, s[26:27]
.LBB73_26:                              ;   in Loop: Header=BB73_14 Depth=1
	s_or_b64 exec, exec, s[24:25]
	ds_write_b128 v24, v[10:13]
	s_waitcnt lgkmcnt(0)
	s_barrier
	s_and_saveexec_b64 s[24:25], s[2:3]
	s_cbranch_execz .LBB73_28
; %bb.27:                               ;   in Loop: Header=BB73_14 Depth=1
	ds_read_b128 v[10:13], v23 offset:16
	ds_read_b128 v[18:21], v24
	s_waitcnt lgkmcnt(0)
	v_add_f64 v[10:11], v[10:11], v[18:19]
	v_add_f64 v[12:13], v[12:13], v[20:21]
	ds_write_b128 v24, v[10:13]
.LBB73_28:                              ;   in Loop: Header=BB73_14 Depth=1
	s_or_b64 exec, exec, s[24:25]
	s_waitcnt lgkmcnt(0)
	s_barrier
	s_and_saveexec_b64 s[24:25], s[2:3]
	s_cbranch_execz .LBB73_13
; %bb.29:                               ;   in Loop: Header=BB73_14 Depth=1
	v_lshl_add_u64 v[26:27], v[0:1], 4, s[16:17]
	global_load_dwordx4 v[10:13], v[26:27], off
	ds_read_b128 v[18:21], v23
	s_waitcnt lgkmcnt(0)
	v_mul_f64 v[28:29], v[20:21], -v[4:5]
	v_mul_f64 v[20:21], v[2:3], v[20:21]
	v_fmac_f64_e32 v[28:29], v[2:3], v[18:19]
	v_fmac_f64_e32 v[20:21], v[4:5], v[18:19]
	s_waitcnt vmcnt(0)
	v_mul_f64 v[18:19], v[8:9], -v[12:13]
	v_mul_f64 v[30:31], v[8:9], v[10:11]
	v_fmac_f64_e32 v[18:19], v[10:11], v[6:7]
	v_fmac_f64_e32 v[30:31], v[12:13], v[6:7]
	v_add_f64 v[10:11], v[18:19], v[28:29]
	v_add_f64 v[12:13], v[30:31], v[20:21]
	global_store_dwordx4 v[26:27], v[10:13], off
	s_branch .LBB73_13
.LBB73_30:
	s_endpgm
	.section	.rodata,"a",@progbits
	.p2align	6, 0x0
	.amdhsa_kernel _ZN9rocsparseL16sddmm_csx_kernelILi512ELi2EL20rocsparse_direction_0E21rocsparse_complex_numIdEiiS3_S3_S3_EEv20rocsparse_operation_S4_16rocsparse_order_S5_T4_S6_S6_T3_NS_24const_host_device_scalarIT2_EEPKT5_lPKT6_lSA_PT7_PKS7_PKS6_21rocsparse_index_base_b
		.amdhsa_group_segment_fixed_size 8192
		.amdhsa_private_segment_fixed_size 0
		.amdhsa_kernarg_size 128
		.amdhsa_user_sgpr_count 2
		.amdhsa_user_sgpr_dispatch_ptr 0
		.amdhsa_user_sgpr_queue_ptr 0
		.amdhsa_user_sgpr_kernarg_segment_ptr 1
		.amdhsa_user_sgpr_dispatch_id 0
		.amdhsa_user_sgpr_kernarg_preload_length 0
		.amdhsa_user_sgpr_kernarg_preload_offset 0
		.amdhsa_user_sgpr_private_segment_size 0
		.amdhsa_uses_dynamic_stack 0
		.amdhsa_enable_private_segment 0
		.amdhsa_system_sgpr_workgroup_id_x 1
		.amdhsa_system_sgpr_workgroup_id_y 0
		.amdhsa_system_sgpr_workgroup_id_z 0
		.amdhsa_system_sgpr_workgroup_info 0
		.amdhsa_system_vgpr_workitem_id 0
		.amdhsa_next_free_vgpr 38
		.amdhsa_next_free_sgpr 28
		.amdhsa_accum_offset 40
		.amdhsa_reserve_vcc 1
		.amdhsa_float_round_mode_32 0
		.amdhsa_float_round_mode_16_64 0
		.amdhsa_float_denorm_mode_32 3
		.amdhsa_float_denorm_mode_16_64 3
		.amdhsa_dx10_clamp 1
		.amdhsa_ieee_mode 1
		.amdhsa_fp16_overflow 0
		.amdhsa_tg_split 0
		.amdhsa_exception_fp_ieee_invalid_op 0
		.amdhsa_exception_fp_denorm_src 0
		.amdhsa_exception_fp_ieee_div_zero 0
		.amdhsa_exception_fp_ieee_overflow 0
		.amdhsa_exception_fp_ieee_underflow 0
		.amdhsa_exception_fp_ieee_inexact 0
		.amdhsa_exception_int_div_zero 0
	.end_amdhsa_kernel
	.section	.text._ZN9rocsparseL16sddmm_csx_kernelILi512ELi2EL20rocsparse_direction_0E21rocsparse_complex_numIdEiiS3_S3_S3_EEv20rocsparse_operation_S4_16rocsparse_order_S5_T4_S6_S6_T3_NS_24const_host_device_scalarIT2_EEPKT5_lPKT6_lSA_PT7_PKS7_PKS6_21rocsparse_index_base_b,"axG",@progbits,_ZN9rocsparseL16sddmm_csx_kernelILi512ELi2EL20rocsparse_direction_0E21rocsparse_complex_numIdEiiS3_S3_S3_EEv20rocsparse_operation_S4_16rocsparse_order_S5_T4_S6_S6_T3_NS_24const_host_device_scalarIT2_EEPKT5_lPKT6_lSA_PT7_PKS7_PKS6_21rocsparse_index_base_b,comdat
.Lfunc_end73:
	.size	_ZN9rocsparseL16sddmm_csx_kernelILi512ELi2EL20rocsparse_direction_0E21rocsparse_complex_numIdEiiS3_S3_S3_EEv20rocsparse_operation_S4_16rocsparse_order_S5_T4_S6_S6_T3_NS_24const_host_device_scalarIT2_EEPKT5_lPKT6_lSA_PT7_PKS7_PKS6_21rocsparse_index_base_b, .Lfunc_end73-_ZN9rocsparseL16sddmm_csx_kernelILi512ELi2EL20rocsparse_direction_0E21rocsparse_complex_numIdEiiS3_S3_S3_EEv20rocsparse_operation_S4_16rocsparse_order_S5_T4_S6_S6_T3_NS_24const_host_device_scalarIT2_EEPKT5_lPKT6_lSA_PT7_PKS7_PKS6_21rocsparse_index_base_b
                                        ; -- End function
	.set _ZN9rocsparseL16sddmm_csx_kernelILi512ELi2EL20rocsparse_direction_0E21rocsparse_complex_numIdEiiS3_S3_S3_EEv20rocsparse_operation_S4_16rocsparse_order_S5_T4_S6_S6_T3_NS_24const_host_device_scalarIT2_EEPKT5_lPKT6_lSA_PT7_PKS7_PKS6_21rocsparse_index_base_b.num_vgpr, 38
	.set _ZN9rocsparseL16sddmm_csx_kernelILi512ELi2EL20rocsparse_direction_0E21rocsparse_complex_numIdEiiS3_S3_S3_EEv20rocsparse_operation_S4_16rocsparse_order_S5_T4_S6_S6_T3_NS_24const_host_device_scalarIT2_EEPKT5_lPKT6_lSA_PT7_PKS7_PKS6_21rocsparse_index_base_b.num_agpr, 0
	.set _ZN9rocsparseL16sddmm_csx_kernelILi512ELi2EL20rocsparse_direction_0E21rocsparse_complex_numIdEiiS3_S3_S3_EEv20rocsparse_operation_S4_16rocsparse_order_S5_T4_S6_S6_T3_NS_24const_host_device_scalarIT2_EEPKT5_lPKT6_lSA_PT7_PKS7_PKS6_21rocsparse_index_base_b.numbered_sgpr, 28
	.set _ZN9rocsparseL16sddmm_csx_kernelILi512ELi2EL20rocsparse_direction_0E21rocsparse_complex_numIdEiiS3_S3_S3_EEv20rocsparse_operation_S4_16rocsparse_order_S5_T4_S6_S6_T3_NS_24const_host_device_scalarIT2_EEPKT5_lPKT6_lSA_PT7_PKS7_PKS6_21rocsparse_index_base_b.num_named_barrier, 0
	.set _ZN9rocsparseL16sddmm_csx_kernelILi512ELi2EL20rocsparse_direction_0E21rocsparse_complex_numIdEiiS3_S3_S3_EEv20rocsparse_operation_S4_16rocsparse_order_S5_T4_S6_S6_T3_NS_24const_host_device_scalarIT2_EEPKT5_lPKT6_lSA_PT7_PKS7_PKS6_21rocsparse_index_base_b.private_seg_size, 0
	.set _ZN9rocsparseL16sddmm_csx_kernelILi512ELi2EL20rocsparse_direction_0E21rocsparse_complex_numIdEiiS3_S3_S3_EEv20rocsparse_operation_S4_16rocsparse_order_S5_T4_S6_S6_T3_NS_24const_host_device_scalarIT2_EEPKT5_lPKT6_lSA_PT7_PKS7_PKS6_21rocsparse_index_base_b.uses_vcc, 1
	.set _ZN9rocsparseL16sddmm_csx_kernelILi512ELi2EL20rocsparse_direction_0E21rocsparse_complex_numIdEiiS3_S3_S3_EEv20rocsparse_operation_S4_16rocsparse_order_S5_T4_S6_S6_T3_NS_24const_host_device_scalarIT2_EEPKT5_lPKT6_lSA_PT7_PKS7_PKS6_21rocsparse_index_base_b.uses_flat_scratch, 0
	.set _ZN9rocsparseL16sddmm_csx_kernelILi512ELi2EL20rocsparse_direction_0E21rocsparse_complex_numIdEiiS3_S3_S3_EEv20rocsparse_operation_S4_16rocsparse_order_S5_T4_S6_S6_T3_NS_24const_host_device_scalarIT2_EEPKT5_lPKT6_lSA_PT7_PKS7_PKS6_21rocsparse_index_base_b.has_dyn_sized_stack, 0
	.set _ZN9rocsparseL16sddmm_csx_kernelILi512ELi2EL20rocsparse_direction_0E21rocsparse_complex_numIdEiiS3_S3_S3_EEv20rocsparse_operation_S4_16rocsparse_order_S5_T4_S6_S6_T3_NS_24const_host_device_scalarIT2_EEPKT5_lPKT6_lSA_PT7_PKS7_PKS6_21rocsparse_index_base_b.has_recursion, 0
	.set _ZN9rocsparseL16sddmm_csx_kernelILi512ELi2EL20rocsparse_direction_0E21rocsparse_complex_numIdEiiS3_S3_S3_EEv20rocsparse_operation_S4_16rocsparse_order_S5_T4_S6_S6_T3_NS_24const_host_device_scalarIT2_EEPKT5_lPKT6_lSA_PT7_PKS7_PKS6_21rocsparse_index_base_b.has_indirect_call, 0
	.section	.AMDGPU.csdata,"",@progbits
; Kernel info:
; codeLenInByte = 1200
; TotalNumSgprs: 34
; NumVgprs: 38
; NumAgprs: 0
; TotalNumVgprs: 38
; ScratchSize: 0
; MemoryBound: 0
; FloatMode: 240
; IeeeMode: 1
; LDSByteSize: 8192 bytes/workgroup (compile time only)
; SGPRBlocks: 4
; VGPRBlocks: 4
; NumSGPRsForWavesPerEU: 34
; NumVGPRsForWavesPerEU: 38
; AccumOffset: 40
; Occupancy: 8
; WaveLimiterHint : 0
; COMPUTE_PGM_RSRC2:SCRATCH_EN: 0
; COMPUTE_PGM_RSRC2:USER_SGPR: 2
; COMPUTE_PGM_RSRC2:TRAP_HANDLER: 0
; COMPUTE_PGM_RSRC2:TGID_X_EN: 1
; COMPUTE_PGM_RSRC2:TGID_Y_EN: 0
; COMPUTE_PGM_RSRC2:TGID_Z_EN: 0
; COMPUTE_PGM_RSRC2:TIDIG_COMP_CNT: 0
; COMPUTE_PGM_RSRC3_GFX90A:ACCUM_OFFSET: 9
; COMPUTE_PGM_RSRC3_GFX90A:TG_SPLIT: 0
	.section	.text._ZN9rocsparseL16sddmm_csx_kernelILi512ELi1EL20rocsparse_direction_0E21rocsparse_complex_numIdEiiS3_S3_S3_EEv20rocsparse_operation_S4_16rocsparse_order_S5_T4_S6_S6_T3_NS_24const_host_device_scalarIT2_EEPKT5_lPKT6_lSA_PT7_PKS7_PKS6_21rocsparse_index_base_b,"axG",@progbits,_ZN9rocsparseL16sddmm_csx_kernelILi512ELi1EL20rocsparse_direction_0E21rocsparse_complex_numIdEiiS3_S3_S3_EEv20rocsparse_operation_S4_16rocsparse_order_S5_T4_S6_S6_T3_NS_24const_host_device_scalarIT2_EEPKT5_lPKT6_lSA_PT7_PKS7_PKS6_21rocsparse_index_base_b,comdat
	.globl	_ZN9rocsparseL16sddmm_csx_kernelILi512ELi1EL20rocsparse_direction_0E21rocsparse_complex_numIdEiiS3_S3_S3_EEv20rocsparse_operation_S4_16rocsparse_order_S5_T4_S6_S6_T3_NS_24const_host_device_scalarIT2_EEPKT5_lPKT6_lSA_PT7_PKS7_PKS6_21rocsparse_index_base_b ; -- Begin function _ZN9rocsparseL16sddmm_csx_kernelILi512ELi1EL20rocsparse_direction_0E21rocsparse_complex_numIdEiiS3_S3_S3_EEv20rocsparse_operation_S4_16rocsparse_order_S5_T4_S6_S6_T3_NS_24const_host_device_scalarIT2_EEPKT5_lPKT6_lSA_PT7_PKS7_PKS6_21rocsparse_index_base_b
	.p2align	8
	.type	_ZN9rocsparseL16sddmm_csx_kernelILi512ELi1EL20rocsparse_direction_0E21rocsparse_complex_numIdEiiS3_S3_S3_EEv20rocsparse_operation_S4_16rocsparse_order_S5_T4_S6_S6_T3_NS_24const_host_device_scalarIT2_EEPKT5_lPKT6_lSA_PT7_PKS7_PKS6_21rocsparse_index_base_b,@function
_ZN9rocsparseL16sddmm_csx_kernelILi512ELi1EL20rocsparse_direction_0E21rocsparse_complex_numIdEiiS3_S3_S3_EEv20rocsparse_operation_S4_16rocsparse_order_S5_T4_S6_S6_T3_NS_24const_host_device_scalarIT2_EEPKT5_lPKT6_lSA_PT7_PKS7_PKS6_21rocsparse_index_base_b: ; @_ZN9rocsparseL16sddmm_csx_kernelILi512ELi1EL20rocsparse_direction_0E21rocsparse_complex_numIdEiiS3_S3_S3_EEv20rocsparse_operation_S4_16rocsparse_order_S5_T4_S6_S6_T3_NS_24const_host_device_scalarIT2_EEPKT5_lPKT6_lSA_PT7_PKS7_PKS6_21rocsparse_index_base_b
; %bb.0:
	s_load_dwordx2 s[4:5], s[0:1], 0x20
	s_load_dwordx4 s[8:11], s[0:1], 0x48
	s_load_dwordx2 s[12:13], s[0:1], 0x78
	s_add_u32 s3, s0, 32
	s_addc_u32 s6, s1, 0
	s_add_u32 s7, s0, 0x50
	s_addc_u32 s14, s1, 0
	s_waitcnt lgkmcnt(0)
	s_bitcmp1_b32 s13, 0
	s_cselect_b32 s5, s6, s5
	s_cselect_b32 s3, s3, s4
	v_mov_b32_e32 v2, s3
	v_mov_b32_e32 v3, s5
	flat_load_dwordx4 v[2:5], v[2:3]
	s_cselect_b32 s3, s14, s11
	s_cselect_b32 s4, s7, s10
	v_mov_b32_e32 v6, s4
	v_mov_b32_e32 v7, s3
	flat_load_dwordx4 v[6:9], v[6:7]
	s_waitcnt vmcnt(0) lgkmcnt(0)
	v_cmp_eq_f64_e32 vcc, 0, v[2:3]
	v_cmp_eq_f64_e64 s[4:5], 0, v[4:5]
	s_and_b64 s[10:11], vcc, s[4:5]
	s_mov_b64 s[4:5], -1
	s_and_saveexec_b64 s[6:7], s[10:11]
; %bb.1:
	v_cmp_neq_f64_e32 vcc, 1.0, v[6:7]
	v_cmp_neq_f64_e64 s[4:5], 0, v[8:9]
	s_or_b64 s[4:5], vcc, s[4:5]
	s_orn2_b64 s[4:5], s[4:5], exec
; %bb.2:
	s_or_b64 exec, exec, s[6:7]
	s_and_saveexec_b64 s[6:7], s[4:5]
	s_cbranch_execz .LBB74_26
; %bb.3:
	s_load_dword s3, s[0:1], 0x10
	v_lshl_or_b32 v12, s2, 9, v0
	s_waitcnt lgkmcnt(0)
	v_cmp_gt_i32_e32 vcc, s3, v12
	s_and_b64 exec, exec, vcc
	s_cbranch_execz .LBB74_26
; %bb.4:
	s_load_dwordx4 s[4:7], s[0:1], 0x0
	s_load_dwordx2 s[10:11], s[0:1], 0x68
	s_load_dwordx2 s[2:3], s[0:1], 0x38
	v_ashrrev_i32_e32 v13, 31, v12
	s_waitcnt lgkmcnt(0)
	s_cmp_eq_u32 s6, 1
	s_cselect_b64 s[14:15], -1, 0
	s_cmpk_eq_i32 s4, 0x6f
	s_cselect_b64 s[16:17], -1, 0
	s_cmpk_lg_i32 s4, 0x6f
	s_cselect_b64 s[18:19], -1, 0
	s_cmp_lg_u32 s6, 1
	s_cbranch_scc0 .LBB74_8
; %bb.5:
	s_andn2_b64 vcc, exec, s[16:17]
	v_mov_b64_e32 v[10:11], v[12:13]
	s_cbranch_vccnz .LBB74_7
; %bb.6:
	v_mul_lo_u32 v1, s3, v12
	v_mul_lo_u32 v14, s2, v13
	v_mad_u64_u32 v[10:11], s[20:21], s2, v12, 0
	v_add3_u32 v11, v11, v14, v1
.LBB74_7:
	s_cbranch_execz .LBB74_9
	s_branch .LBB74_11
.LBB74_8:
                                        ; implicit-def: $vgpr10_vgpr11
.LBB74_9:
	s_andn2_b64 vcc, exec, s[18:19]
	v_mov_b64_e32 v[10:11], v[12:13]
	s_cbranch_vccnz .LBB74_11
; %bb.10:
	v_mul_lo_u32 v1, s3, v12
	v_mul_lo_u32 v14, s2, v13
	v_mad_u64_u32 v[10:11], s[18:19], s2, v12, 0
	v_add3_u32 v11, v11, v14, v1
.LBB74_11:
	v_lshl_add_u64 v[12:13], v[12:13], 2, s[10:11]
	global_load_dwordx2 v[12:13], v[12:13], off
	s_waitcnt vmcnt(0)
	v_cmp_lt_i32_e32 vcc, v12, v13
	s_and_b64 exec, exec, vcc
	s_cbranch_execz .LBB74_26
; %bb.12:
	s_xor_b64 s[14:15], s[16:17], s[14:15]
	s_and_b64 s[14:15], s[14:15], exec
	s_cselect_b32 s3, 0, s3
	s_cselect_b32 s2, 1, s2
	s_cmp_lg_u32 s7, 1
	s_cselect_b64 s[14:15], -1, 0
	s_cmp_eq_u32 s7, 1
	s_cselect_b64 s[6:7], -1, 0
	s_cmpk_eq_i32 s5, 0x6f
	s_cselect_b64 s[16:17], -1, 0
	s_cmpk_lg_i32 s5, 0x6f
	s_cselect_b64 s[4:5], -1, 0
	v_cndmask_b32_e64 v15, 0, 1, s[16:17]
	s_xor_b64 s[16:17], s[16:17], s[6:7]
	s_load_dwordx2 s[6:7], s[0:1], 0x60
	s_load_dwordx2 s[18:19], s[0:1], 0x30
	;; [unrolled: 1-line block ×3, first 2 shown]
	s_load_dword s13, s[0:1], 0x18
	s_load_dwordx2 s[10:11], s[0:1], 0x70
	s_and_b64 s[0:1], s[16:17], exec
	s_cselect_b32 s1, s9, 0
	s_cselect_b32 s0, s8, 1
	s_waitcnt lgkmcnt(0)
	s_cmp_gt_i32 s13, 0
	s_cselect_b64 s[24:25], -1, 0
	s_lshl_b64 s[16:17], s[2:3], 4
	v_lshlrev_b32_e32 v20, 4, v0
	v_lshl_add_u64 v[0:1], v[10:11], 4, s[18:19]
	s_add_u32 s18, s20, 8
	v_cndmask_b32_e64 v10, 0, 1, s[4:5]
	s_addc_u32 s19, s21, 0
	s_lshl_b64 s[20:21], s[0:1], 4
	v_cmp_ne_u32_e64 s[0:1], 1, v10
	v_cndmask_b32_e64 v10, 0, 1, s[24:25]
	v_subrev_u32_e32 v14, s12, v12
	v_subrev_u32_e32 v21, s12, v13
	v_lshl_add_u64 v[0:1], v[0:1], 0, 8
	s_mov_b64 s[22:23], 0
	v_cmp_ne_u32_e64 s[2:3], 1, v15
	v_cmp_ne_u32_e64 s[4:5], 1, v10
	s_branch .LBB74_15
.LBB74_13:                              ;   in Loop: Header=BB74_15 Depth=1
	v_mov_b64_e32 v[12:13], 0
	v_mov_b64_e32 v[10:11], v[12:13]
.LBB74_14:                              ;   in Loop: Header=BB74_15 Depth=1
	v_lshl_add_u64 v[22:23], v[14:15], 4, s[6:7]
	ds_write_b128 v20, v[10:13]
	s_waitcnt lgkmcnt(0)
	s_barrier
	global_load_dwordx4 v[10:13], v[22:23], off
	ds_read_b128 v[16:19], v20
	v_add_u32_e32 v14, 1, v14
	v_cmp_ge_i32_e32 vcc, v14, v21
	s_or_b64 s[22:23], vcc, s[22:23]
	s_waitcnt lgkmcnt(0)
	v_mul_f64 v[24:25], v[18:19], -v[4:5]
	v_mul_f64 v[18:19], v[2:3], v[18:19]
	v_fmac_f64_e32 v[24:25], v[2:3], v[16:17]
	v_fmac_f64_e32 v[18:19], v[4:5], v[16:17]
	s_waitcnt vmcnt(0)
	v_mul_f64 v[16:17], v[8:9], -v[12:13]
	v_mul_f64 v[26:27], v[8:9], v[10:11]
	v_fmac_f64_e32 v[16:17], v[10:11], v[6:7]
	v_fmac_f64_e32 v[26:27], v[12:13], v[6:7]
	v_add_f64 v[10:11], v[16:17], v[24:25]
	v_add_f64 v[12:13], v[26:27], v[18:19]
	global_store_dwordx4 v[22:23], v[10:13], off
	s_andn2_b64 exec, exec, s[22:23]
	s_cbranch_execz .LBB74_26
.LBB74_15:                              ; =>This Loop Header: Depth=1
                                        ;     Child Loop BB74_25 Depth 2
	v_ashrrev_i32_e32 v15, 31, v14
	v_lshl_add_u64 v[10:11], v[14:15], 2, s[10:11]
	global_load_dword v10, v[10:11], off
	s_mov_b64 s[24:25], -1
	s_and_b64 vcc, exec, s[14:15]
                                        ; implicit-def: $vgpr12_vgpr13
	s_waitcnt vmcnt(0)
	v_subrev_u32_e32 v10, s12, v10
	v_ashrrev_i32_e32 v11, 31, v10
	s_cbranch_vccnz .LBB74_18
; %bb.16:                               ;   in Loop: Header=BB74_15 Depth=1
	s_andn2_b64 vcc, exec, s[24:25]
	s_cbranch_vccz .LBB74_21
.LBB74_17:                              ;   in Loop: Header=BB74_15 Depth=1
	s_and_b64 vcc, exec, s[4:5]
	s_cbranch_vccz .LBB74_24
	s_branch .LBB74_13
.LBB74_18:                              ;   in Loop: Header=BB74_15 Depth=1
	s_and_b64 vcc, exec, s[0:1]
	v_mov_b64_e32 v[12:13], v[10:11]
	s_cbranch_vccnz .LBB74_20
; %bb.19:                               ;   in Loop: Header=BB74_15 Depth=1
	v_mul_lo_u32 v16, s9, v10
	v_mul_lo_u32 v17, s8, v11
	v_mad_u64_u32 v[12:13], s[24:25], s8, v10, 0
	v_add3_u32 v13, v13, v17, v16
.LBB74_20:                              ;   in Loop: Header=BB74_15 Depth=1
	s_cbranch_execnz .LBB74_17
.LBB74_21:                              ;   in Loop: Header=BB74_15 Depth=1
	s_and_b64 vcc, exec, s[2:3]
	s_cbranch_vccnz .LBB74_23
; %bb.22:                               ;   in Loop: Header=BB74_15 Depth=1
	v_mul_lo_u32 v12, s9, v10
	v_mul_lo_u32 v13, s8, v11
	v_mad_u64_u32 v[10:11], s[24:25], s8, v10, 0
	v_add3_u32 v11, v11, v13, v12
.LBB74_23:                              ;   in Loop: Header=BB74_15 Depth=1
	v_mov_b64_e32 v[12:13], v[10:11]
	s_and_b64 vcc, exec, s[4:5]
	s_cbranch_vccnz .LBB74_13
.LBB74_24:                              ;   in Loop: Header=BB74_15 Depth=1
	v_lshl_add_u64 v[16:17], v[12:13], 4, s[18:19]
	v_mov_b64_e32 v[12:13], 0
	v_mov_b64_e32 v[18:19], v[0:1]
	s_mov_b32 s24, s13
	v_mov_b64_e32 v[10:11], v[12:13]
.LBB74_25:                              ;   Parent Loop BB74_15 Depth=1
                                        ; =>  This Inner Loop Header: Depth=2
	global_load_dwordx4 v[22:25], v[16:17], off offset:-8
	global_load_dwordx4 v[26:29], v[18:19], off offset:-8
	s_add_i32 s24, s24, -1
	v_lshl_add_u64 v[18:19], v[18:19], 0, s[16:17]
	v_lshl_add_u64 v[16:17], v[16:17], 0, s[20:21]
	s_cmp_eq_u32 s24, 0
	s_waitcnt vmcnt(0)
	v_mul_f64 v[30:31], v[24:25], -v[28:29]
	v_mul_f64 v[24:25], v[24:25], v[26:27]
	v_fmac_f64_e32 v[30:31], v[26:27], v[22:23]
	v_fmac_f64_e32 v[24:25], v[28:29], v[22:23]
	v_add_f64 v[10:11], v[10:11], v[30:31]
	v_add_f64 v[12:13], v[12:13], v[24:25]
	s_cbranch_scc0 .LBB74_25
	s_branch .LBB74_14
.LBB74_26:
	s_endpgm
	.section	.rodata,"a",@progbits
	.p2align	6, 0x0
	.amdhsa_kernel _ZN9rocsparseL16sddmm_csx_kernelILi512ELi1EL20rocsparse_direction_0E21rocsparse_complex_numIdEiiS3_S3_S3_EEv20rocsparse_operation_S4_16rocsparse_order_S5_T4_S6_S6_T3_NS_24const_host_device_scalarIT2_EEPKT5_lPKT6_lSA_PT7_PKS7_PKS6_21rocsparse_index_base_b
		.amdhsa_group_segment_fixed_size 8192
		.amdhsa_private_segment_fixed_size 0
		.amdhsa_kernarg_size 128
		.amdhsa_user_sgpr_count 2
		.amdhsa_user_sgpr_dispatch_ptr 0
		.amdhsa_user_sgpr_queue_ptr 0
		.amdhsa_user_sgpr_kernarg_segment_ptr 1
		.amdhsa_user_sgpr_dispatch_id 0
		.amdhsa_user_sgpr_kernarg_preload_length 0
		.amdhsa_user_sgpr_kernarg_preload_offset 0
		.amdhsa_user_sgpr_private_segment_size 0
		.amdhsa_uses_dynamic_stack 0
		.amdhsa_enable_private_segment 0
		.amdhsa_system_sgpr_workgroup_id_x 1
		.amdhsa_system_sgpr_workgroup_id_y 0
		.amdhsa_system_sgpr_workgroup_id_z 0
		.amdhsa_system_sgpr_workgroup_info 0
		.amdhsa_system_vgpr_workitem_id 0
		.amdhsa_next_free_vgpr 32
		.amdhsa_next_free_sgpr 26
		.amdhsa_accum_offset 32
		.amdhsa_reserve_vcc 1
		.amdhsa_float_round_mode_32 0
		.amdhsa_float_round_mode_16_64 0
		.amdhsa_float_denorm_mode_32 3
		.amdhsa_float_denorm_mode_16_64 3
		.amdhsa_dx10_clamp 1
		.amdhsa_ieee_mode 1
		.amdhsa_fp16_overflow 0
		.amdhsa_tg_split 0
		.amdhsa_exception_fp_ieee_invalid_op 0
		.amdhsa_exception_fp_denorm_src 0
		.amdhsa_exception_fp_ieee_div_zero 0
		.amdhsa_exception_fp_ieee_overflow 0
		.amdhsa_exception_fp_ieee_underflow 0
		.amdhsa_exception_fp_ieee_inexact 0
		.amdhsa_exception_int_div_zero 0
	.end_amdhsa_kernel
	.section	.text._ZN9rocsparseL16sddmm_csx_kernelILi512ELi1EL20rocsparse_direction_0E21rocsparse_complex_numIdEiiS3_S3_S3_EEv20rocsparse_operation_S4_16rocsparse_order_S5_T4_S6_S6_T3_NS_24const_host_device_scalarIT2_EEPKT5_lPKT6_lSA_PT7_PKS7_PKS6_21rocsparse_index_base_b,"axG",@progbits,_ZN9rocsparseL16sddmm_csx_kernelILi512ELi1EL20rocsparse_direction_0E21rocsparse_complex_numIdEiiS3_S3_S3_EEv20rocsparse_operation_S4_16rocsparse_order_S5_T4_S6_S6_T3_NS_24const_host_device_scalarIT2_EEPKT5_lPKT6_lSA_PT7_PKS7_PKS6_21rocsparse_index_base_b,comdat
.Lfunc_end74:
	.size	_ZN9rocsparseL16sddmm_csx_kernelILi512ELi1EL20rocsparse_direction_0E21rocsparse_complex_numIdEiiS3_S3_S3_EEv20rocsparse_operation_S4_16rocsparse_order_S5_T4_S6_S6_T3_NS_24const_host_device_scalarIT2_EEPKT5_lPKT6_lSA_PT7_PKS7_PKS6_21rocsparse_index_base_b, .Lfunc_end74-_ZN9rocsparseL16sddmm_csx_kernelILi512ELi1EL20rocsparse_direction_0E21rocsparse_complex_numIdEiiS3_S3_S3_EEv20rocsparse_operation_S4_16rocsparse_order_S5_T4_S6_S6_T3_NS_24const_host_device_scalarIT2_EEPKT5_lPKT6_lSA_PT7_PKS7_PKS6_21rocsparse_index_base_b
                                        ; -- End function
	.set _ZN9rocsparseL16sddmm_csx_kernelILi512ELi1EL20rocsparse_direction_0E21rocsparse_complex_numIdEiiS3_S3_S3_EEv20rocsparse_operation_S4_16rocsparse_order_S5_T4_S6_S6_T3_NS_24const_host_device_scalarIT2_EEPKT5_lPKT6_lSA_PT7_PKS7_PKS6_21rocsparse_index_base_b.num_vgpr, 32
	.set _ZN9rocsparseL16sddmm_csx_kernelILi512ELi1EL20rocsparse_direction_0E21rocsparse_complex_numIdEiiS3_S3_S3_EEv20rocsparse_operation_S4_16rocsparse_order_S5_T4_S6_S6_T3_NS_24const_host_device_scalarIT2_EEPKT5_lPKT6_lSA_PT7_PKS7_PKS6_21rocsparse_index_base_b.num_agpr, 0
	.set _ZN9rocsparseL16sddmm_csx_kernelILi512ELi1EL20rocsparse_direction_0E21rocsparse_complex_numIdEiiS3_S3_S3_EEv20rocsparse_operation_S4_16rocsparse_order_S5_T4_S6_S6_T3_NS_24const_host_device_scalarIT2_EEPKT5_lPKT6_lSA_PT7_PKS7_PKS6_21rocsparse_index_base_b.numbered_sgpr, 26
	.set _ZN9rocsparseL16sddmm_csx_kernelILi512ELi1EL20rocsparse_direction_0E21rocsparse_complex_numIdEiiS3_S3_S3_EEv20rocsparse_operation_S4_16rocsparse_order_S5_T4_S6_S6_T3_NS_24const_host_device_scalarIT2_EEPKT5_lPKT6_lSA_PT7_PKS7_PKS6_21rocsparse_index_base_b.num_named_barrier, 0
	.set _ZN9rocsparseL16sddmm_csx_kernelILi512ELi1EL20rocsparse_direction_0E21rocsparse_complex_numIdEiiS3_S3_S3_EEv20rocsparse_operation_S4_16rocsparse_order_S5_T4_S6_S6_T3_NS_24const_host_device_scalarIT2_EEPKT5_lPKT6_lSA_PT7_PKS7_PKS6_21rocsparse_index_base_b.private_seg_size, 0
	.set _ZN9rocsparseL16sddmm_csx_kernelILi512ELi1EL20rocsparse_direction_0E21rocsparse_complex_numIdEiiS3_S3_S3_EEv20rocsparse_operation_S4_16rocsparse_order_S5_T4_S6_S6_T3_NS_24const_host_device_scalarIT2_EEPKT5_lPKT6_lSA_PT7_PKS7_PKS6_21rocsparse_index_base_b.uses_vcc, 1
	.set _ZN9rocsparseL16sddmm_csx_kernelILi512ELi1EL20rocsparse_direction_0E21rocsparse_complex_numIdEiiS3_S3_S3_EEv20rocsparse_operation_S4_16rocsparse_order_S5_T4_S6_S6_T3_NS_24const_host_device_scalarIT2_EEPKT5_lPKT6_lSA_PT7_PKS7_PKS6_21rocsparse_index_base_b.uses_flat_scratch, 0
	.set _ZN9rocsparseL16sddmm_csx_kernelILi512ELi1EL20rocsparse_direction_0E21rocsparse_complex_numIdEiiS3_S3_S3_EEv20rocsparse_operation_S4_16rocsparse_order_S5_T4_S6_S6_T3_NS_24const_host_device_scalarIT2_EEPKT5_lPKT6_lSA_PT7_PKS7_PKS6_21rocsparse_index_base_b.has_dyn_sized_stack, 0
	.set _ZN9rocsparseL16sddmm_csx_kernelILi512ELi1EL20rocsparse_direction_0E21rocsparse_complex_numIdEiiS3_S3_S3_EEv20rocsparse_operation_S4_16rocsparse_order_S5_T4_S6_S6_T3_NS_24const_host_device_scalarIT2_EEPKT5_lPKT6_lSA_PT7_PKS7_PKS6_21rocsparse_index_base_b.has_recursion, 0
	.set _ZN9rocsparseL16sddmm_csx_kernelILi512ELi1EL20rocsparse_direction_0E21rocsparse_complex_numIdEiiS3_S3_S3_EEv20rocsparse_operation_S4_16rocsparse_order_S5_T4_S6_S6_T3_NS_24const_host_device_scalarIT2_EEPKT5_lPKT6_lSA_PT7_PKS7_PKS6_21rocsparse_index_base_b.has_indirect_call, 0
	.section	.AMDGPU.csdata,"",@progbits
; Kernel info:
; codeLenInByte = 1032
; TotalNumSgprs: 32
; NumVgprs: 32
; NumAgprs: 0
; TotalNumVgprs: 32
; ScratchSize: 0
; MemoryBound: 0
; FloatMode: 240
; IeeeMode: 1
; LDSByteSize: 8192 bytes/workgroup (compile time only)
; SGPRBlocks: 3
; VGPRBlocks: 3
; NumSGPRsForWavesPerEU: 32
; NumVGPRsForWavesPerEU: 32
; AccumOffset: 32
; Occupancy: 8
; WaveLimiterHint : 0
; COMPUTE_PGM_RSRC2:SCRATCH_EN: 0
; COMPUTE_PGM_RSRC2:USER_SGPR: 2
; COMPUTE_PGM_RSRC2:TRAP_HANDLER: 0
; COMPUTE_PGM_RSRC2:TGID_X_EN: 1
; COMPUTE_PGM_RSRC2:TGID_Y_EN: 0
; COMPUTE_PGM_RSRC2:TGID_Z_EN: 0
; COMPUTE_PGM_RSRC2:TIDIG_COMP_CNT: 0
; COMPUTE_PGM_RSRC3_GFX90A:ACCUM_OFFSET: 7
; COMPUTE_PGM_RSRC3_GFX90A:TG_SPLIT: 0
	.section	.text._ZN9rocsparseL16csr2dense_kernelILi16ELi32EliDF16_EEviT2_S1_PKT3_PKT1_PKS1_PS2_l16rocsparse_order_,"axG",@progbits,_ZN9rocsparseL16csr2dense_kernelILi16ELi32EliDF16_EEviT2_S1_PKT3_PKT1_PKS1_PS2_l16rocsparse_order_,comdat
	.globl	_ZN9rocsparseL16csr2dense_kernelILi16ELi32EliDF16_EEviT2_S1_PKT3_PKT1_PKS1_PS2_l16rocsparse_order_ ; -- Begin function _ZN9rocsparseL16csr2dense_kernelILi16ELi32EliDF16_EEviT2_S1_PKT3_PKT1_PKS1_PS2_l16rocsparse_order_
	.p2align	8
	.type	_ZN9rocsparseL16csr2dense_kernelILi16ELi32EliDF16_EEviT2_S1_PKT3_PKT1_PKS1_PS2_l16rocsparse_order_,@function
_ZN9rocsparseL16csr2dense_kernelILi16ELi32EliDF16_EEviT2_S1_PKT3_PKT1_PKS1_PS2_l16rocsparse_order_: ; @_ZN9rocsparseL16csr2dense_kernelILi16ELi32EliDF16_EEviT2_S1_PKT3_PKT1_PKS1_PS2_l16rocsparse_order_
; %bb.0:
	s_load_dwordx2 s[4:5], s[0:1], 0x0
	v_lshrrev_b32_e32 v1, 5, v0
	v_lshl_or_b32 v8, s2, 4, v1
	s_waitcnt lgkmcnt(0)
	v_cmp_gt_i32_e32 vcc, s5, v8
	s_and_saveexec_b64 s[2:3], vcc
	s_cbranch_execz .LBB75_8
; %bb.1:
	s_load_dwordx2 s[2:3], s[0:1], 0x18
	v_ashrrev_i32_e32 v9, 31, v8
	v_and_b32_e32 v0, 31, v0
	v_mov_b32_e32 v1, 0
	s_waitcnt lgkmcnt(0)
	v_lshl_add_u64 v[2:3], v[8:9], 3, s[2:3]
	global_load_dwordx4 v[2:5], v[2:3], off
	s_waitcnt vmcnt(0)
	v_sub_co_u32_e32 v4, vcc, v4, v2
	s_nop 1
	v_subb_co_u32_e32 v5, vcc, v5, v3, vcc
	v_cmp_gt_i64_e32 vcc, v[4:5], v[0:1]
	s_and_b64 exec, exec, vcc
	s_cbranch_execz .LBB75_8
; %bb.2:
	s_load_dwordx4 s[8:11], s[0:1], 0x20
	s_load_dword s5, s[0:1], 0x38
	s_load_dwordx2 s[6:7], s[0:1], 0x10
	s_load_dwordx2 s[2:3], s[0:1], 0x30
	s_ashr_i32 s14, s4, 31
	s_waitcnt lgkmcnt(0)
	v_lshl_add_u64 v[6:7], v[8:9], 1, s[10:11]
	v_lshl_add_u64 v[2:3], v[2:3], 0, v[0:1]
	s_cmp_lg_u32 s5, 1
	v_mul_lo_u32 v10, s3, v8
	v_mul_lo_u32 v11, s2, v9
	v_mad_u64_u32 v[8:9], s[12:13], s2, v8, 0
	v_add3_u32 v9, v9, v11, v10
	v_mov_b32_e32 v11, s14
	v_subrev_co_u32_e32 v10, vcc, s4, v2
	s_cselect_b64 s[0:1], -1, 0
	s_nop 0
	v_subb_co_u32_e32 v11, vcc, v3, v11, vcc
	v_lshl_add_u64 v[8:9], v[8:9], 1, s[10:11]
	v_lshl_add_u64 v[2:3], v[10:11], 2, s[8:9]
	;; [unrolled: 1-line block ×3, first 2 shown]
	s_mov_b64 s[6:7], 0
	s_mov_b64 s[8:9], 0x80
	s_branch .LBB75_4
.LBB75_3:                               ;   in Loop: Header=BB75_4 Depth=1
	v_lshl_add_u64 v[0:1], v[0:1], 0, 32
	v_cmp_ge_i64_e32 vcc, v[0:1], v[4:5]
	v_lshl_add_u64 v[2:3], v[2:3], 0, s[8:9]
	s_or_b64 s[6:7], vcc, s[6:7]
	v_lshl_add_u64 v[10:11], v[10:11], 0, 64
	s_andn2_b64 exec, exec, s[6:7]
	s_cbranch_execz .LBB75_8
.LBB75_4:                               ; =>This Inner Loop Header: Depth=1
	s_barrier
	global_load_dword v12, v[2:3], off
	global_load_ushort v14, v[10:11], off
	s_mov_b64 s[10:11], -1
	s_and_b64 vcc, exec, s[0:1]
	s_waitcnt vmcnt(1)
	v_subrev_u32_e32 v12, s4, v12
	v_ashrrev_i32_e32 v13, 31, v12
	s_cbranch_vccz .LBB75_6
; %bb.5:                                ;   in Loop: Header=BB75_4 Depth=1
	v_lshl_add_u64 v[16:17], v[12:13], 1, v[8:9]
	s_waitcnt vmcnt(0)
	global_store_short v[16:17], v14, off
	s_mov_b64 s[10:11], 0
.LBB75_6:                               ;   in Loop: Header=BB75_4 Depth=1
	s_andn2_b64 vcc, exec, s[10:11]
	s_cbranch_vccnz .LBB75_3
; %bb.7:                                ;   in Loop: Header=BB75_4 Depth=1
	v_mul_lo_u32 v15, s3, v12
	v_mul_lo_u32 v16, s2, v13
	v_mad_u64_u32 v[12:13], s[10:11], s2, v12, 0
	v_add3_u32 v13, v13, v16, v15
	v_lshl_add_u64 v[12:13], v[12:13], 1, v[6:7]
	s_waitcnt vmcnt(0)
	global_store_short v[12:13], v14, off
	s_branch .LBB75_3
.LBB75_8:
	s_endpgm
	.section	.rodata,"a",@progbits
	.p2align	6, 0x0
	.amdhsa_kernel _ZN9rocsparseL16csr2dense_kernelILi16ELi32EliDF16_EEviT2_S1_PKT3_PKT1_PKS1_PS2_l16rocsparse_order_
		.amdhsa_group_segment_fixed_size 0
		.amdhsa_private_segment_fixed_size 0
		.amdhsa_kernarg_size 60
		.amdhsa_user_sgpr_count 2
		.amdhsa_user_sgpr_dispatch_ptr 0
		.amdhsa_user_sgpr_queue_ptr 0
		.amdhsa_user_sgpr_kernarg_segment_ptr 1
		.amdhsa_user_sgpr_dispatch_id 0
		.amdhsa_user_sgpr_kernarg_preload_length 0
		.amdhsa_user_sgpr_kernarg_preload_offset 0
		.amdhsa_user_sgpr_private_segment_size 0
		.amdhsa_uses_dynamic_stack 0
		.amdhsa_enable_private_segment 0
		.amdhsa_system_sgpr_workgroup_id_x 1
		.amdhsa_system_sgpr_workgroup_id_y 0
		.amdhsa_system_sgpr_workgroup_id_z 0
		.amdhsa_system_sgpr_workgroup_info 0
		.amdhsa_system_vgpr_workitem_id 0
		.amdhsa_next_free_vgpr 18
		.amdhsa_next_free_sgpr 15
		.amdhsa_accum_offset 20
		.amdhsa_reserve_vcc 1
		.amdhsa_float_round_mode_32 0
		.amdhsa_float_round_mode_16_64 0
		.amdhsa_float_denorm_mode_32 3
		.amdhsa_float_denorm_mode_16_64 3
		.amdhsa_dx10_clamp 1
		.amdhsa_ieee_mode 1
		.amdhsa_fp16_overflow 0
		.amdhsa_tg_split 0
		.amdhsa_exception_fp_ieee_invalid_op 0
		.amdhsa_exception_fp_denorm_src 0
		.amdhsa_exception_fp_ieee_div_zero 0
		.amdhsa_exception_fp_ieee_overflow 0
		.amdhsa_exception_fp_ieee_underflow 0
		.amdhsa_exception_fp_ieee_inexact 0
		.amdhsa_exception_int_div_zero 0
	.end_amdhsa_kernel
	.section	.text._ZN9rocsparseL16csr2dense_kernelILi16ELi32EliDF16_EEviT2_S1_PKT3_PKT1_PKS1_PS2_l16rocsparse_order_,"axG",@progbits,_ZN9rocsparseL16csr2dense_kernelILi16ELi32EliDF16_EEviT2_S1_PKT3_PKT1_PKS1_PS2_l16rocsparse_order_,comdat
.Lfunc_end75:
	.size	_ZN9rocsparseL16csr2dense_kernelILi16ELi32EliDF16_EEviT2_S1_PKT3_PKT1_PKS1_PS2_l16rocsparse_order_, .Lfunc_end75-_ZN9rocsparseL16csr2dense_kernelILi16ELi32EliDF16_EEviT2_S1_PKT3_PKT1_PKS1_PS2_l16rocsparse_order_
                                        ; -- End function
	.set _ZN9rocsparseL16csr2dense_kernelILi16ELi32EliDF16_EEviT2_S1_PKT3_PKT1_PKS1_PS2_l16rocsparse_order_.num_vgpr, 18
	.set _ZN9rocsparseL16csr2dense_kernelILi16ELi32EliDF16_EEviT2_S1_PKT3_PKT1_PKS1_PS2_l16rocsparse_order_.num_agpr, 0
	.set _ZN9rocsparseL16csr2dense_kernelILi16ELi32EliDF16_EEviT2_S1_PKT3_PKT1_PKS1_PS2_l16rocsparse_order_.numbered_sgpr, 15
	.set _ZN9rocsparseL16csr2dense_kernelILi16ELi32EliDF16_EEviT2_S1_PKT3_PKT1_PKS1_PS2_l16rocsparse_order_.num_named_barrier, 0
	.set _ZN9rocsparseL16csr2dense_kernelILi16ELi32EliDF16_EEviT2_S1_PKT3_PKT1_PKS1_PS2_l16rocsparse_order_.private_seg_size, 0
	.set _ZN9rocsparseL16csr2dense_kernelILi16ELi32EliDF16_EEviT2_S1_PKT3_PKT1_PKS1_PS2_l16rocsparse_order_.uses_vcc, 1
	.set _ZN9rocsparseL16csr2dense_kernelILi16ELi32EliDF16_EEviT2_S1_PKT3_PKT1_PKS1_PS2_l16rocsparse_order_.uses_flat_scratch, 0
	.set _ZN9rocsparseL16csr2dense_kernelILi16ELi32EliDF16_EEviT2_S1_PKT3_PKT1_PKS1_PS2_l16rocsparse_order_.has_dyn_sized_stack, 0
	.set _ZN9rocsparseL16csr2dense_kernelILi16ELi32EliDF16_EEviT2_S1_PKT3_PKT1_PKS1_PS2_l16rocsparse_order_.has_recursion, 0
	.set _ZN9rocsparseL16csr2dense_kernelILi16ELi32EliDF16_EEviT2_S1_PKT3_PKT1_PKS1_PS2_l16rocsparse_order_.has_indirect_call, 0
	.section	.AMDGPU.csdata,"",@progbits
; Kernel info:
; codeLenInByte = 432
; TotalNumSgprs: 21
; NumVgprs: 18
; NumAgprs: 0
; TotalNumVgprs: 18
; ScratchSize: 0
; MemoryBound: 0
; FloatMode: 240
; IeeeMode: 1
; LDSByteSize: 0 bytes/workgroup (compile time only)
; SGPRBlocks: 2
; VGPRBlocks: 2
; NumSGPRsForWavesPerEU: 21
; NumVGPRsForWavesPerEU: 18
; AccumOffset: 20
; Occupancy: 8
; WaveLimiterHint : 1
; COMPUTE_PGM_RSRC2:SCRATCH_EN: 0
; COMPUTE_PGM_RSRC2:USER_SGPR: 2
; COMPUTE_PGM_RSRC2:TRAP_HANDLER: 0
; COMPUTE_PGM_RSRC2:TGID_X_EN: 1
; COMPUTE_PGM_RSRC2:TGID_Y_EN: 0
; COMPUTE_PGM_RSRC2:TGID_Z_EN: 0
; COMPUTE_PGM_RSRC2:TIDIG_COMP_CNT: 0
; COMPUTE_PGM_RSRC3_GFX90A:ACCUM_OFFSET: 4
; COMPUTE_PGM_RSRC3_GFX90A:TG_SPLIT: 0
	.section	.text._ZN9rocsparseL16csr2dense_kernelILi16ELi64EliDF16_EEviT2_S1_PKT3_PKT1_PKS1_PS2_l16rocsparse_order_,"axG",@progbits,_ZN9rocsparseL16csr2dense_kernelILi16ELi64EliDF16_EEviT2_S1_PKT3_PKT1_PKS1_PS2_l16rocsparse_order_,comdat
	.globl	_ZN9rocsparseL16csr2dense_kernelILi16ELi64EliDF16_EEviT2_S1_PKT3_PKT1_PKS1_PS2_l16rocsparse_order_ ; -- Begin function _ZN9rocsparseL16csr2dense_kernelILi16ELi64EliDF16_EEviT2_S1_PKT3_PKT1_PKS1_PS2_l16rocsparse_order_
	.p2align	8
	.type	_ZN9rocsparseL16csr2dense_kernelILi16ELi64EliDF16_EEviT2_S1_PKT3_PKT1_PKS1_PS2_l16rocsparse_order_,@function
_ZN9rocsparseL16csr2dense_kernelILi16ELi64EliDF16_EEviT2_S1_PKT3_PKT1_PKS1_PS2_l16rocsparse_order_: ; @_ZN9rocsparseL16csr2dense_kernelILi16ELi64EliDF16_EEviT2_S1_PKT3_PKT1_PKS1_PS2_l16rocsparse_order_
; %bb.0:
	s_load_dwordx2 s[4:5], s[0:1], 0x0
	v_lshrrev_b32_e32 v1, 6, v0
	v_lshl_or_b32 v8, s2, 4, v1
	s_waitcnt lgkmcnt(0)
	v_cmp_gt_i32_e32 vcc, s5, v8
	s_and_saveexec_b64 s[2:3], vcc
	s_cbranch_execz .LBB76_8
; %bb.1:
	s_load_dwordx2 s[2:3], s[0:1], 0x18
	v_ashrrev_i32_e32 v9, 31, v8
	v_and_b32_e32 v0, 63, v0
	v_mov_b32_e32 v1, 0
	s_waitcnt lgkmcnt(0)
	v_lshl_add_u64 v[2:3], v[8:9], 3, s[2:3]
	global_load_dwordx4 v[2:5], v[2:3], off
	s_waitcnt vmcnt(0)
	v_sub_co_u32_e32 v4, vcc, v4, v2
	s_nop 1
	v_subb_co_u32_e32 v5, vcc, v5, v3, vcc
	v_cmp_gt_i64_e32 vcc, v[4:5], v[0:1]
	s_and_b64 exec, exec, vcc
	s_cbranch_execz .LBB76_8
; %bb.2:
	s_load_dwordx4 s[8:11], s[0:1], 0x20
	s_load_dword s5, s[0:1], 0x38
	s_load_dwordx2 s[6:7], s[0:1], 0x10
	s_load_dwordx2 s[2:3], s[0:1], 0x30
	s_ashr_i32 s14, s4, 31
	s_waitcnt lgkmcnt(0)
	v_lshl_add_u64 v[6:7], v[8:9], 1, s[10:11]
	v_lshl_add_u64 v[2:3], v[2:3], 0, v[0:1]
	s_cmp_lg_u32 s5, 1
	v_mul_lo_u32 v10, s3, v8
	v_mul_lo_u32 v11, s2, v9
	v_mad_u64_u32 v[8:9], s[12:13], s2, v8, 0
	v_add3_u32 v9, v9, v11, v10
	v_mov_b32_e32 v11, s14
	v_subrev_co_u32_e32 v10, vcc, s4, v2
	s_cselect_b64 s[0:1], -1, 0
	s_nop 0
	v_subb_co_u32_e32 v11, vcc, v3, v11, vcc
	v_lshl_add_u64 v[8:9], v[8:9], 1, s[10:11]
	v_lshl_add_u64 v[2:3], v[10:11], 2, s[8:9]
	;; [unrolled: 1-line block ×3, first 2 shown]
	s_mov_b64 s[6:7], 0
	s_mov_b64 s[8:9], 0x100
	;; [unrolled: 1-line block ×3, first 2 shown]
	s_branch .LBB76_4
.LBB76_3:                               ;   in Loop: Header=BB76_4 Depth=1
	v_lshl_add_u64 v[0:1], v[0:1], 0, 64
	v_cmp_ge_i64_e32 vcc, v[0:1], v[4:5]
	v_lshl_add_u64 v[2:3], v[2:3], 0, s[8:9]
	s_or_b64 s[6:7], vcc, s[6:7]
	v_lshl_add_u64 v[10:11], v[10:11], 0, s[10:11]
	s_andn2_b64 exec, exec, s[6:7]
	s_cbranch_execz .LBB76_8
.LBB76_4:                               ; =>This Inner Loop Header: Depth=1
	s_barrier
	global_load_dword v12, v[2:3], off
	global_load_ushort v14, v[10:11], off
	s_mov_b64 s[12:13], -1
	s_and_b64 vcc, exec, s[0:1]
	s_waitcnt vmcnt(1)
	v_subrev_u32_e32 v12, s4, v12
	v_ashrrev_i32_e32 v13, 31, v12
	s_cbranch_vccz .LBB76_6
; %bb.5:                                ;   in Loop: Header=BB76_4 Depth=1
	v_lshl_add_u64 v[16:17], v[12:13], 1, v[8:9]
	s_waitcnt vmcnt(0)
	global_store_short v[16:17], v14, off
	s_mov_b64 s[12:13], 0
.LBB76_6:                               ;   in Loop: Header=BB76_4 Depth=1
	s_andn2_b64 vcc, exec, s[12:13]
	s_cbranch_vccnz .LBB76_3
; %bb.7:                                ;   in Loop: Header=BB76_4 Depth=1
	v_mul_lo_u32 v15, s3, v12
	v_mul_lo_u32 v16, s2, v13
	v_mad_u64_u32 v[12:13], s[12:13], s2, v12, 0
	v_add3_u32 v13, v13, v16, v15
	v_lshl_add_u64 v[12:13], v[12:13], 1, v[6:7]
	s_waitcnt vmcnt(0)
	global_store_short v[12:13], v14, off
	s_branch .LBB76_3
.LBB76_8:
	s_endpgm
	.section	.rodata,"a",@progbits
	.p2align	6, 0x0
	.amdhsa_kernel _ZN9rocsparseL16csr2dense_kernelILi16ELi64EliDF16_EEviT2_S1_PKT3_PKT1_PKS1_PS2_l16rocsparse_order_
		.amdhsa_group_segment_fixed_size 0
		.amdhsa_private_segment_fixed_size 0
		.amdhsa_kernarg_size 60
		.amdhsa_user_sgpr_count 2
		.amdhsa_user_sgpr_dispatch_ptr 0
		.amdhsa_user_sgpr_queue_ptr 0
		.amdhsa_user_sgpr_kernarg_segment_ptr 1
		.amdhsa_user_sgpr_dispatch_id 0
		.amdhsa_user_sgpr_kernarg_preload_length 0
		.amdhsa_user_sgpr_kernarg_preload_offset 0
		.amdhsa_user_sgpr_private_segment_size 0
		.amdhsa_uses_dynamic_stack 0
		.amdhsa_enable_private_segment 0
		.amdhsa_system_sgpr_workgroup_id_x 1
		.amdhsa_system_sgpr_workgroup_id_y 0
		.amdhsa_system_sgpr_workgroup_id_z 0
		.amdhsa_system_sgpr_workgroup_info 0
		.amdhsa_system_vgpr_workitem_id 0
		.amdhsa_next_free_vgpr 18
		.amdhsa_next_free_sgpr 15
		.amdhsa_accum_offset 20
		.amdhsa_reserve_vcc 1
		.amdhsa_float_round_mode_32 0
		.amdhsa_float_round_mode_16_64 0
		.amdhsa_float_denorm_mode_32 3
		.amdhsa_float_denorm_mode_16_64 3
		.amdhsa_dx10_clamp 1
		.amdhsa_ieee_mode 1
		.amdhsa_fp16_overflow 0
		.amdhsa_tg_split 0
		.amdhsa_exception_fp_ieee_invalid_op 0
		.amdhsa_exception_fp_denorm_src 0
		.amdhsa_exception_fp_ieee_div_zero 0
		.amdhsa_exception_fp_ieee_overflow 0
		.amdhsa_exception_fp_ieee_underflow 0
		.amdhsa_exception_fp_ieee_inexact 0
		.amdhsa_exception_int_div_zero 0
	.end_amdhsa_kernel
	.section	.text._ZN9rocsparseL16csr2dense_kernelILi16ELi64EliDF16_EEviT2_S1_PKT3_PKT1_PKS1_PS2_l16rocsparse_order_,"axG",@progbits,_ZN9rocsparseL16csr2dense_kernelILi16ELi64EliDF16_EEviT2_S1_PKT3_PKT1_PKS1_PS2_l16rocsparse_order_,comdat
.Lfunc_end76:
	.size	_ZN9rocsparseL16csr2dense_kernelILi16ELi64EliDF16_EEviT2_S1_PKT3_PKT1_PKS1_PS2_l16rocsparse_order_, .Lfunc_end76-_ZN9rocsparseL16csr2dense_kernelILi16ELi64EliDF16_EEviT2_S1_PKT3_PKT1_PKS1_PS2_l16rocsparse_order_
                                        ; -- End function
	.set _ZN9rocsparseL16csr2dense_kernelILi16ELi64EliDF16_EEviT2_S1_PKT3_PKT1_PKS1_PS2_l16rocsparse_order_.num_vgpr, 18
	.set _ZN9rocsparseL16csr2dense_kernelILi16ELi64EliDF16_EEviT2_S1_PKT3_PKT1_PKS1_PS2_l16rocsparse_order_.num_agpr, 0
	.set _ZN9rocsparseL16csr2dense_kernelILi16ELi64EliDF16_EEviT2_S1_PKT3_PKT1_PKS1_PS2_l16rocsparse_order_.numbered_sgpr, 15
	.set _ZN9rocsparseL16csr2dense_kernelILi16ELi64EliDF16_EEviT2_S1_PKT3_PKT1_PKS1_PS2_l16rocsparse_order_.num_named_barrier, 0
	.set _ZN9rocsparseL16csr2dense_kernelILi16ELi64EliDF16_EEviT2_S1_PKT3_PKT1_PKS1_PS2_l16rocsparse_order_.private_seg_size, 0
	.set _ZN9rocsparseL16csr2dense_kernelILi16ELi64EliDF16_EEviT2_S1_PKT3_PKT1_PKS1_PS2_l16rocsparse_order_.uses_vcc, 1
	.set _ZN9rocsparseL16csr2dense_kernelILi16ELi64EliDF16_EEviT2_S1_PKT3_PKT1_PKS1_PS2_l16rocsparse_order_.uses_flat_scratch, 0
	.set _ZN9rocsparseL16csr2dense_kernelILi16ELi64EliDF16_EEviT2_S1_PKT3_PKT1_PKS1_PS2_l16rocsparse_order_.has_dyn_sized_stack, 0
	.set _ZN9rocsparseL16csr2dense_kernelILi16ELi64EliDF16_EEviT2_S1_PKT3_PKT1_PKS1_PS2_l16rocsparse_order_.has_recursion, 0
	.set _ZN9rocsparseL16csr2dense_kernelILi16ELi64EliDF16_EEviT2_S1_PKT3_PKT1_PKS1_PS2_l16rocsparse_order_.has_indirect_call, 0
	.section	.AMDGPU.csdata,"",@progbits
; Kernel info:
; codeLenInByte = 440
; TotalNumSgprs: 21
; NumVgprs: 18
; NumAgprs: 0
; TotalNumVgprs: 18
; ScratchSize: 0
; MemoryBound: 0
; FloatMode: 240
; IeeeMode: 1
; LDSByteSize: 0 bytes/workgroup (compile time only)
; SGPRBlocks: 2
; VGPRBlocks: 2
; NumSGPRsForWavesPerEU: 21
; NumVGPRsForWavesPerEU: 18
; AccumOffset: 20
; Occupancy: 8
; WaveLimiterHint : 1
; COMPUTE_PGM_RSRC2:SCRATCH_EN: 0
; COMPUTE_PGM_RSRC2:USER_SGPR: 2
; COMPUTE_PGM_RSRC2:TRAP_HANDLER: 0
; COMPUTE_PGM_RSRC2:TGID_X_EN: 1
; COMPUTE_PGM_RSRC2:TGID_Y_EN: 0
; COMPUTE_PGM_RSRC2:TGID_Z_EN: 0
; COMPUTE_PGM_RSRC2:TIDIG_COMP_CNT: 0
; COMPUTE_PGM_RSRC3_GFX90A:ACCUM_OFFSET: 4
; COMPUTE_PGM_RSRC3_GFX90A:TG_SPLIT: 0
	.section	.text._ZN9rocsparseL16csc2dense_kernelILi16ELi32EliDF16_EEviT2_S1_PKT3_PKT1_PKS1_PS2_l16rocsparse_order_,"axG",@progbits,_ZN9rocsparseL16csc2dense_kernelILi16ELi32EliDF16_EEviT2_S1_PKT3_PKT1_PKS1_PS2_l16rocsparse_order_,comdat
	.globl	_ZN9rocsparseL16csc2dense_kernelILi16ELi32EliDF16_EEviT2_S1_PKT3_PKT1_PKS1_PS2_l16rocsparse_order_ ; -- Begin function _ZN9rocsparseL16csc2dense_kernelILi16ELi32EliDF16_EEviT2_S1_PKT3_PKT1_PKS1_PS2_l16rocsparse_order_
	.p2align	8
	.type	_ZN9rocsparseL16csc2dense_kernelILi16ELi32EliDF16_EEviT2_S1_PKT3_PKT1_PKS1_PS2_l16rocsparse_order_,@function
_ZN9rocsparseL16csc2dense_kernelILi16ELi32EliDF16_EEviT2_S1_PKT3_PKT1_PKS1_PS2_l16rocsparse_order_: ; @_ZN9rocsparseL16csc2dense_kernelILi16ELi32EliDF16_EEviT2_S1_PKT3_PKT1_PKS1_PS2_l16rocsparse_order_
; %bb.0:
	s_load_dword s3, s[0:1], 0x8
	v_lshrrev_b32_e32 v1, 5, v0
	v_lshl_or_b32 v8, s2, 4, v1
	s_waitcnt lgkmcnt(0)
	v_cmp_gt_i32_e32 vcc, s3, v8
	s_and_saveexec_b64 s[2:3], vcc
	s_cbranch_execz .LBB77_8
; %bb.1:
	s_load_dwordx2 s[2:3], s[0:1], 0x18
	v_ashrrev_i32_e32 v9, 31, v8
	v_and_b32_e32 v0, 31, v0
	v_mov_b32_e32 v1, 0
	s_waitcnt lgkmcnt(0)
	v_lshl_add_u64 v[2:3], v[8:9], 3, s[2:3]
	global_load_dwordx4 v[2:5], v[2:3], off
	s_waitcnt vmcnt(0)
	v_sub_co_u32_e32 v4, vcc, v4, v2
	s_nop 1
	v_subb_co_u32_e32 v5, vcc, v5, v3, vcc
	v_cmp_gt_i64_e32 vcc, v[4:5], v[0:1]
	s_and_b64 exec, exec, vcc
	s_cbranch_execz .LBB77_8
; %bb.2:
	s_load_dword s10, s[0:1], 0x0
	s_load_dwordx4 s[4:7], s[0:1], 0x20
	s_load_dword s11, s[0:1], 0x38
	s_load_dwordx2 s[8:9], s[0:1], 0x10
	s_load_dwordx2 s[2:3], s[0:1], 0x30
	s_waitcnt lgkmcnt(0)
	s_ashr_i32 s14, s10, 31
	v_lshl_add_u64 v[6:7], v[8:9], 1, s[6:7]
	v_lshl_add_u64 v[2:3], v[2:3], 0, v[0:1]
	s_cmp_lg_u32 s11, 1
	v_mul_lo_u32 v10, s3, v8
	v_mul_lo_u32 v11, s2, v9
	v_mad_u64_u32 v[8:9], s[12:13], s2, v8, 0
	v_add3_u32 v9, v9, v11, v10
	v_mov_b32_e32 v11, s14
	v_subrev_co_u32_e32 v10, vcc, s10, v2
	s_cselect_b64 s[0:1], -1, 0
	s_nop 0
	v_subb_co_u32_e32 v11, vcc, v3, v11, vcc
	v_lshl_add_u64 v[8:9], v[8:9], 1, s[6:7]
	v_lshl_add_u64 v[2:3], v[10:11], 2, s[4:5]
	;; [unrolled: 1-line block ×3, first 2 shown]
	s_mov_b64 s[4:5], 0
	s_mov_b64 s[6:7], 0x80
	s_branch .LBB77_4
.LBB77_3:                               ;   in Loop: Header=BB77_4 Depth=1
	v_lshl_add_u64 v[0:1], v[0:1], 0, 32
	v_cmp_ge_i64_e32 vcc, v[0:1], v[4:5]
	v_lshl_add_u64 v[2:3], v[2:3], 0, s[6:7]
	s_or_b64 s[4:5], vcc, s[4:5]
	v_lshl_add_u64 v[10:11], v[10:11], 0, 64
	s_andn2_b64 exec, exec, s[4:5]
	s_cbranch_execz .LBB77_8
.LBB77_4:                               ; =>This Inner Loop Header: Depth=1
	global_load_dword v12, v[2:3], off
	global_load_ushort v14, v[10:11], off
	s_mov_b64 s[8:9], -1
	s_and_b64 vcc, exec, s[0:1]
	s_waitcnt vmcnt(1)
	v_subrev_u32_e32 v12, s10, v12
	v_ashrrev_i32_e32 v13, 31, v12
	s_cbranch_vccz .LBB77_6
; %bb.5:                                ;   in Loop: Header=BB77_4 Depth=1
	v_mul_lo_u32 v15, s3, v12
	v_mul_lo_u32 v18, s2, v13
	v_mad_u64_u32 v[16:17], s[8:9], s2, v12, 0
	v_add3_u32 v17, v17, v18, v15
	v_lshl_add_u64 v[16:17], v[16:17], 1, v[6:7]
	s_waitcnt vmcnt(0)
	global_store_short v[16:17], v14, off
	s_mov_b64 s[8:9], 0
.LBB77_6:                               ;   in Loop: Header=BB77_4 Depth=1
	s_andn2_b64 vcc, exec, s[8:9]
	s_cbranch_vccnz .LBB77_3
; %bb.7:                                ;   in Loop: Header=BB77_4 Depth=1
	v_lshl_add_u64 v[12:13], v[12:13], 1, v[8:9]
	s_waitcnt vmcnt(0)
	global_store_short v[12:13], v14, off
	s_branch .LBB77_3
.LBB77_8:
	s_endpgm
	.section	.rodata,"a",@progbits
	.p2align	6, 0x0
	.amdhsa_kernel _ZN9rocsparseL16csc2dense_kernelILi16ELi32EliDF16_EEviT2_S1_PKT3_PKT1_PKS1_PS2_l16rocsparse_order_
		.amdhsa_group_segment_fixed_size 0
		.amdhsa_private_segment_fixed_size 0
		.amdhsa_kernarg_size 60
		.amdhsa_user_sgpr_count 2
		.amdhsa_user_sgpr_dispatch_ptr 0
		.amdhsa_user_sgpr_queue_ptr 0
		.amdhsa_user_sgpr_kernarg_segment_ptr 1
		.amdhsa_user_sgpr_dispatch_id 0
		.amdhsa_user_sgpr_kernarg_preload_length 0
		.amdhsa_user_sgpr_kernarg_preload_offset 0
		.amdhsa_user_sgpr_private_segment_size 0
		.amdhsa_uses_dynamic_stack 0
		.amdhsa_enable_private_segment 0
		.amdhsa_system_sgpr_workgroup_id_x 1
		.amdhsa_system_sgpr_workgroup_id_y 0
		.amdhsa_system_sgpr_workgroup_id_z 0
		.amdhsa_system_sgpr_workgroup_info 0
		.amdhsa_system_vgpr_workitem_id 0
		.amdhsa_next_free_vgpr 19
		.amdhsa_next_free_sgpr 15
		.amdhsa_accum_offset 20
		.amdhsa_reserve_vcc 1
		.amdhsa_float_round_mode_32 0
		.amdhsa_float_round_mode_16_64 0
		.amdhsa_float_denorm_mode_32 3
		.amdhsa_float_denorm_mode_16_64 3
		.amdhsa_dx10_clamp 1
		.amdhsa_ieee_mode 1
		.amdhsa_fp16_overflow 0
		.amdhsa_tg_split 0
		.amdhsa_exception_fp_ieee_invalid_op 0
		.amdhsa_exception_fp_denorm_src 0
		.amdhsa_exception_fp_ieee_div_zero 0
		.amdhsa_exception_fp_ieee_overflow 0
		.amdhsa_exception_fp_ieee_underflow 0
		.amdhsa_exception_fp_ieee_inexact 0
		.amdhsa_exception_int_div_zero 0
	.end_amdhsa_kernel
	.section	.text._ZN9rocsparseL16csc2dense_kernelILi16ELi32EliDF16_EEviT2_S1_PKT3_PKT1_PKS1_PS2_l16rocsparse_order_,"axG",@progbits,_ZN9rocsparseL16csc2dense_kernelILi16ELi32EliDF16_EEviT2_S1_PKT3_PKT1_PKS1_PS2_l16rocsparse_order_,comdat
.Lfunc_end77:
	.size	_ZN9rocsparseL16csc2dense_kernelILi16ELi32EliDF16_EEviT2_S1_PKT3_PKT1_PKS1_PS2_l16rocsparse_order_, .Lfunc_end77-_ZN9rocsparseL16csc2dense_kernelILi16ELi32EliDF16_EEviT2_S1_PKT3_PKT1_PKS1_PS2_l16rocsparse_order_
                                        ; -- End function
	.set _ZN9rocsparseL16csc2dense_kernelILi16ELi32EliDF16_EEviT2_S1_PKT3_PKT1_PKS1_PS2_l16rocsparse_order_.num_vgpr, 19
	.set _ZN9rocsparseL16csc2dense_kernelILi16ELi32EliDF16_EEviT2_S1_PKT3_PKT1_PKS1_PS2_l16rocsparse_order_.num_agpr, 0
	.set _ZN9rocsparseL16csc2dense_kernelILi16ELi32EliDF16_EEviT2_S1_PKT3_PKT1_PKS1_PS2_l16rocsparse_order_.numbered_sgpr, 15
	.set _ZN9rocsparseL16csc2dense_kernelILi16ELi32EliDF16_EEviT2_S1_PKT3_PKT1_PKS1_PS2_l16rocsparse_order_.num_named_barrier, 0
	.set _ZN9rocsparseL16csc2dense_kernelILi16ELi32EliDF16_EEviT2_S1_PKT3_PKT1_PKS1_PS2_l16rocsparse_order_.private_seg_size, 0
	.set _ZN9rocsparseL16csc2dense_kernelILi16ELi32EliDF16_EEviT2_S1_PKT3_PKT1_PKS1_PS2_l16rocsparse_order_.uses_vcc, 1
	.set _ZN9rocsparseL16csc2dense_kernelILi16ELi32EliDF16_EEviT2_S1_PKT3_PKT1_PKS1_PS2_l16rocsparse_order_.uses_flat_scratch, 0
	.set _ZN9rocsparseL16csc2dense_kernelILi16ELi32EliDF16_EEviT2_S1_PKT3_PKT1_PKS1_PS2_l16rocsparse_order_.has_dyn_sized_stack, 0
	.set _ZN9rocsparseL16csc2dense_kernelILi16ELi32EliDF16_EEviT2_S1_PKT3_PKT1_PKS1_PS2_l16rocsparse_order_.has_recursion, 0
	.set _ZN9rocsparseL16csc2dense_kernelILi16ELi32EliDF16_EEviT2_S1_PKT3_PKT1_PKS1_PS2_l16rocsparse_order_.has_indirect_call, 0
	.section	.AMDGPU.csdata,"",@progbits
; Kernel info:
; codeLenInByte = 436
; TotalNumSgprs: 21
; NumVgprs: 19
; NumAgprs: 0
; TotalNumVgprs: 19
; ScratchSize: 0
; MemoryBound: 0
; FloatMode: 240
; IeeeMode: 1
; LDSByteSize: 0 bytes/workgroup (compile time only)
; SGPRBlocks: 2
; VGPRBlocks: 2
; NumSGPRsForWavesPerEU: 21
; NumVGPRsForWavesPerEU: 19
; AccumOffset: 20
; Occupancy: 8
; WaveLimiterHint : 1
; COMPUTE_PGM_RSRC2:SCRATCH_EN: 0
; COMPUTE_PGM_RSRC2:USER_SGPR: 2
; COMPUTE_PGM_RSRC2:TRAP_HANDLER: 0
; COMPUTE_PGM_RSRC2:TGID_X_EN: 1
; COMPUTE_PGM_RSRC2:TGID_Y_EN: 0
; COMPUTE_PGM_RSRC2:TGID_Z_EN: 0
; COMPUTE_PGM_RSRC2:TIDIG_COMP_CNT: 0
; COMPUTE_PGM_RSRC3_GFX90A:ACCUM_OFFSET: 4
; COMPUTE_PGM_RSRC3_GFX90A:TG_SPLIT: 0
	.section	.text._ZN9rocsparseL16csc2dense_kernelILi16ELi64EliDF16_EEviT2_S1_PKT3_PKT1_PKS1_PS2_l16rocsparse_order_,"axG",@progbits,_ZN9rocsparseL16csc2dense_kernelILi16ELi64EliDF16_EEviT2_S1_PKT3_PKT1_PKS1_PS2_l16rocsparse_order_,comdat
	.globl	_ZN9rocsparseL16csc2dense_kernelILi16ELi64EliDF16_EEviT2_S1_PKT3_PKT1_PKS1_PS2_l16rocsparse_order_ ; -- Begin function _ZN9rocsparseL16csc2dense_kernelILi16ELi64EliDF16_EEviT2_S1_PKT3_PKT1_PKS1_PS2_l16rocsparse_order_
	.p2align	8
	.type	_ZN9rocsparseL16csc2dense_kernelILi16ELi64EliDF16_EEviT2_S1_PKT3_PKT1_PKS1_PS2_l16rocsparse_order_,@function
_ZN9rocsparseL16csc2dense_kernelILi16ELi64EliDF16_EEviT2_S1_PKT3_PKT1_PKS1_PS2_l16rocsparse_order_: ; @_ZN9rocsparseL16csc2dense_kernelILi16ELi64EliDF16_EEviT2_S1_PKT3_PKT1_PKS1_PS2_l16rocsparse_order_
; %bb.0:
	s_load_dword s3, s[0:1], 0x8
	v_lshrrev_b32_e32 v1, 6, v0
	v_lshl_or_b32 v8, s2, 4, v1
	s_waitcnt lgkmcnt(0)
	v_cmp_gt_i32_e32 vcc, s3, v8
	s_and_saveexec_b64 s[2:3], vcc
	s_cbranch_execz .LBB78_8
; %bb.1:
	s_load_dwordx2 s[2:3], s[0:1], 0x18
	v_ashrrev_i32_e32 v9, 31, v8
	v_and_b32_e32 v0, 63, v0
	v_mov_b32_e32 v1, 0
	s_waitcnt lgkmcnt(0)
	v_lshl_add_u64 v[2:3], v[8:9], 3, s[2:3]
	global_load_dwordx4 v[2:5], v[2:3], off
	s_waitcnt vmcnt(0)
	v_sub_co_u32_e32 v4, vcc, v4, v2
	s_nop 1
	v_subb_co_u32_e32 v5, vcc, v5, v3, vcc
	v_cmp_gt_i64_e32 vcc, v[4:5], v[0:1]
	s_and_b64 exec, exec, vcc
	s_cbranch_execz .LBB78_8
; %bb.2:
	s_load_dword s12, s[0:1], 0x0
	s_load_dwordx4 s[4:7], s[0:1], 0x20
	s_load_dword s10, s[0:1], 0x38
	s_load_dwordx2 s[8:9], s[0:1], 0x10
	s_load_dwordx2 s[2:3], s[0:1], 0x30
	s_waitcnt lgkmcnt(0)
	s_ashr_i32 s13, s12, 31
	v_lshl_add_u64 v[6:7], v[8:9], 1, s[6:7]
	s_cmp_lg_u32 s10, 1
	v_lshl_add_u64 v[2:3], v[2:3], 0, v[0:1]
	v_mul_lo_u32 v10, s3, v8
	v_mul_lo_u32 v11, s2, v9
	v_mad_u64_u32 v[8:9], s[10:11], s2, v8, 0
	v_add3_u32 v9, v9, v11, v10
	v_mov_b32_e32 v11, s13
	v_subrev_co_u32_e32 v10, vcc, s12, v2
	s_cselect_b64 s[0:1], -1, 0
	s_nop 0
	v_subb_co_u32_e32 v11, vcc, v3, v11, vcc
	v_lshl_add_u64 v[8:9], v[8:9], 1, s[6:7]
	v_lshl_add_u64 v[2:3], v[10:11], 2, s[4:5]
	;; [unrolled: 1-line block ×3, first 2 shown]
	s_mov_b64 s[4:5], 0
	s_mov_b64 s[6:7], 0x100
	;; [unrolled: 1-line block ×3, first 2 shown]
	s_branch .LBB78_4
.LBB78_3:                               ;   in Loop: Header=BB78_4 Depth=1
	v_lshl_add_u64 v[0:1], v[0:1], 0, 64
	v_cmp_ge_i64_e32 vcc, v[0:1], v[4:5]
	v_lshl_add_u64 v[2:3], v[2:3], 0, s[6:7]
	s_or_b64 s[4:5], vcc, s[4:5]
	v_lshl_add_u64 v[10:11], v[10:11], 0, s[8:9]
	s_andn2_b64 exec, exec, s[4:5]
	s_cbranch_execz .LBB78_8
.LBB78_4:                               ; =>This Inner Loop Header: Depth=1
	global_load_dword v12, v[2:3], off
	global_load_ushort v14, v[10:11], off
	s_mov_b64 s[10:11], -1
	s_and_b64 vcc, exec, s[0:1]
	s_waitcnt vmcnt(1)
	v_subrev_u32_e32 v12, s12, v12
	v_ashrrev_i32_e32 v13, 31, v12
	s_cbranch_vccz .LBB78_6
; %bb.5:                                ;   in Loop: Header=BB78_4 Depth=1
	v_mul_lo_u32 v15, s3, v12
	v_mul_lo_u32 v18, s2, v13
	v_mad_u64_u32 v[16:17], s[10:11], s2, v12, 0
	v_add3_u32 v17, v17, v18, v15
	v_lshl_add_u64 v[16:17], v[16:17], 1, v[6:7]
	s_waitcnt vmcnt(0)
	global_store_short v[16:17], v14, off
	s_mov_b64 s[10:11], 0
.LBB78_6:                               ;   in Loop: Header=BB78_4 Depth=1
	s_andn2_b64 vcc, exec, s[10:11]
	s_cbranch_vccnz .LBB78_3
; %bb.7:                                ;   in Loop: Header=BB78_4 Depth=1
	v_lshl_add_u64 v[12:13], v[12:13], 1, v[8:9]
	s_waitcnt vmcnt(0)
	global_store_short v[12:13], v14, off
	s_branch .LBB78_3
.LBB78_8:
	s_endpgm
	.section	.rodata,"a",@progbits
	.p2align	6, 0x0
	.amdhsa_kernel _ZN9rocsparseL16csc2dense_kernelILi16ELi64EliDF16_EEviT2_S1_PKT3_PKT1_PKS1_PS2_l16rocsparse_order_
		.amdhsa_group_segment_fixed_size 0
		.amdhsa_private_segment_fixed_size 0
		.amdhsa_kernarg_size 60
		.amdhsa_user_sgpr_count 2
		.amdhsa_user_sgpr_dispatch_ptr 0
		.amdhsa_user_sgpr_queue_ptr 0
		.amdhsa_user_sgpr_kernarg_segment_ptr 1
		.amdhsa_user_sgpr_dispatch_id 0
		.amdhsa_user_sgpr_kernarg_preload_length 0
		.amdhsa_user_sgpr_kernarg_preload_offset 0
		.amdhsa_user_sgpr_private_segment_size 0
		.amdhsa_uses_dynamic_stack 0
		.amdhsa_enable_private_segment 0
		.amdhsa_system_sgpr_workgroup_id_x 1
		.amdhsa_system_sgpr_workgroup_id_y 0
		.amdhsa_system_sgpr_workgroup_id_z 0
		.amdhsa_system_sgpr_workgroup_info 0
		.amdhsa_system_vgpr_workitem_id 0
		.amdhsa_next_free_vgpr 19
		.amdhsa_next_free_sgpr 14
		.amdhsa_accum_offset 20
		.amdhsa_reserve_vcc 1
		.amdhsa_float_round_mode_32 0
		.amdhsa_float_round_mode_16_64 0
		.amdhsa_float_denorm_mode_32 3
		.amdhsa_float_denorm_mode_16_64 3
		.amdhsa_dx10_clamp 1
		.amdhsa_ieee_mode 1
		.amdhsa_fp16_overflow 0
		.amdhsa_tg_split 0
		.amdhsa_exception_fp_ieee_invalid_op 0
		.amdhsa_exception_fp_denorm_src 0
		.amdhsa_exception_fp_ieee_div_zero 0
		.amdhsa_exception_fp_ieee_overflow 0
		.amdhsa_exception_fp_ieee_underflow 0
		.amdhsa_exception_fp_ieee_inexact 0
		.amdhsa_exception_int_div_zero 0
	.end_amdhsa_kernel
	.section	.text._ZN9rocsparseL16csc2dense_kernelILi16ELi64EliDF16_EEviT2_S1_PKT3_PKT1_PKS1_PS2_l16rocsparse_order_,"axG",@progbits,_ZN9rocsparseL16csc2dense_kernelILi16ELi64EliDF16_EEviT2_S1_PKT3_PKT1_PKS1_PS2_l16rocsparse_order_,comdat
.Lfunc_end78:
	.size	_ZN9rocsparseL16csc2dense_kernelILi16ELi64EliDF16_EEviT2_S1_PKT3_PKT1_PKS1_PS2_l16rocsparse_order_, .Lfunc_end78-_ZN9rocsparseL16csc2dense_kernelILi16ELi64EliDF16_EEviT2_S1_PKT3_PKT1_PKS1_PS2_l16rocsparse_order_
                                        ; -- End function
	.set _ZN9rocsparseL16csc2dense_kernelILi16ELi64EliDF16_EEviT2_S1_PKT3_PKT1_PKS1_PS2_l16rocsparse_order_.num_vgpr, 19
	.set _ZN9rocsparseL16csc2dense_kernelILi16ELi64EliDF16_EEviT2_S1_PKT3_PKT1_PKS1_PS2_l16rocsparse_order_.num_agpr, 0
	.set _ZN9rocsparseL16csc2dense_kernelILi16ELi64EliDF16_EEviT2_S1_PKT3_PKT1_PKS1_PS2_l16rocsparse_order_.numbered_sgpr, 14
	.set _ZN9rocsparseL16csc2dense_kernelILi16ELi64EliDF16_EEviT2_S1_PKT3_PKT1_PKS1_PS2_l16rocsparse_order_.num_named_barrier, 0
	.set _ZN9rocsparseL16csc2dense_kernelILi16ELi64EliDF16_EEviT2_S1_PKT3_PKT1_PKS1_PS2_l16rocsparse_order_.private_seg_size, 0
	.set _ZN9rocsparseL16csc2dense_kernelILi16ELi64EliDF16_EEviT2_S1_PKT3_PKT1_PKS1_PS2_l16rocsparse_order_.uses_vcc, 1
	.set _ZN9rocsparseL16csc2dense_kernelILi16ELi64EliDF16_EEviT2_S1_PKT3_PKT1_PKS1_PS2_l16rocsparse_order_.uses_flat_scratch, 0
	.set _ZN9rocsparseL16csc2dense_kernelILi16ELi64EliDF16_EEviT2_S1_PKT3_PKT1_PKS1_PS2_l16rocsparse_order_.has_dyn_sized_stack, 0
	.set _ZN9rocsparseL16csc2dense_kernelILi16ELi64EliDF16_EEviT2_S1_PKT3_PKT1_PKS1_PS2_l16rocsparse_order_.has_recursion, 0
	.set _ZN9rocsparseL16csc2dense_kernelILi16ELi64EliDF16_EEviT2_S1_PKT3_PKT1_PKS1_PS2_l16rocsparse_order_.has_indirect_call, 0
	.section	.AMDGPU.csdata,"",@progbits
; Kernel info:
; codeLenInByte = 444
; TotalNumSgprs: 20
; NumVgprs: 19
; NumAgprs: 0
; TotalNumVgprs: 19
; ScratchSize: 0
; MemoryBound: 0
; FloatMode: 240
; IeeeMode: 1
; LDSByteSize: 0 bytes/workgroup (compile time only)
; SGPRBlocks: 2
; VGPRBlocks: 2
; NumSGPRsForWavesPerEU: 20
; NumVGPRsForWavesPerEU: 19
; AccumOffset: 20
; Occupancy: 8
; WaveLimiterHint : 1
; COMPUTE_PGM_RSRC2:SCRATCH_EN: 0
; COMPUTE_PGM_RSRC2:USER_SGPR: 2
; COMPUTE_PGM_RSRC2:TRAP_HANDLER: 0
; COMPUTE_PGM_RSRC2:TGID_X_EN: 1
; COMPUTE_PGM_RSRC2:TGID_Y_EN: 0
; COMPUTE_PGM_RSRC2:TGID_Z_EN: 0
; COMPUTE_PGM_RSRC2:TIDIG_COMP_CNT: 0
; COMPUTE_PGM_RSRC3_GFX90A:ACCUM_OFFSET: 4
; COMPUTE_PGM_RSRC3_GFX90A:TG_SPLIT: 0
	.section	.text._ZN9rocsparseL23sddmm_csx_sample_kernelILi512ELi64EL20rocsparse_direction_1EDF16_liDF16_EEvT4_S2_T3_PKT5_S2_PS4_PKS3_PKS2_21rocsparse_index_base_,"axG",@progbits,_ZN9rocsparseL23sddmm_csx_sample_kernelILi512ELi64EL20rocsparse_direction_1EDF16_liDF16_EEvT4_S2_T3_PKT5_S2_PS4_PKS3_PKS2_21rocsparse_index_base_,comdat
	.globl	_ZN9rocsparseL23sddmm_csx_sample_kernelILi512ELi64EL20rocsparse_direction_1EDF16_liDF16_EEvT4_S2_T3_PKT5_S2_PS4_PKS3_PKS2_21rocsparse_index_base_ ; -- Begin function _ZN9rocsparseL23sddmm_csx_sample_kernelILi512ELi64EL20rocsparse_direction_1EDF16_liDF16_EEvT4_S2_T3_PKT5_S2_PS4_PKS3_PKS2_21rocsparse_index_base_
	.p2align	8
	.type	_ZN9rocsparseL23sddmm_csx_sample_kernelILi512ELi64EL20rocsparse_direction_1EDF16_liDF16_EEvT4_S2_T3_PKT5_S2_PS4_PKS3_PKS2_21rocsparse_index_base_,@function
_ZN9rocsparseL23sddmm_csx_sample_kernelILi512ELi64EL20rocsparse_direction_1EDF16_liDF16_EEvT4_S2_T3_PKT5_S2_PS4_PKS3_PKS2_21rocsparse_index_base_: ; @_ZN9rocsparseL23sddmm_csx_sample_kernelILi512ELi64EL20rocsparse_direction_1EDF16_liDF16_EEvT4_S2_T3_PKT5_S2_PS4_PKS3_PKS2_21rocsparse_index_base_
; %bb.0:
	s_load_dword s3, s[0:1], 0x4
	v_lshrrev_b32_e32 v1, 6, v0
	v_lshl_or_b32 v6, s2, 3, v1
	s_waitcnt lgkmcnt(0)
	v_cmp_gt_u32_e32 vcc, s3, v6
	s_and_saveexec_b64 s[2:3], vcc
	s_cbranch_execz .LBB79_9
; %bb.1:
	s_load_dwordx2 s[2:3], s[0:1], 0x28
	s_load_dword s8, s[0:1], 0x38
	v_mov_b32_e32 v7, 0
	v_and_b32_e32 v8, 63, v0
	s_mov_b32 s9, 0
	s_waitcnt lgkmcnt(0)
	v_lshl_add_u64 v[2:3], v[6:7], 3, s[2:3]
	global_load_dwordx4 v[2:5], v[2:3], off
	v_subrev_co_u32_e32 v0, vcc, s8, v8
	v_mov_b32_e32 v9, v7
	s_nop 0
	v_subb_co_u32_e64 v1, s[2:3], 0, 0, vcc
	s_waitcnt vmcnt(0)
	v_subrev_co_u32_e32 v4, vcc, s8, v4
	v_lshl_add_u64 v[0:1], v[0:1], 0, v[2:3]
	s_nop 0
	v_subbrev_co_u32_e32 v5, vcc, 0, v5, vcc
	v_cmp_lt_i64_e32 vcc, v[0:1], v[4:5]
	s_and_b64 exec, exec, vcc
	s_cbranch_execz .LBB79_9
; %bb.2:
	v_lshl_add_u64 v[10:11], v[2:3], 0, v[8:9]
	v_subrev_co_u32_e32 v10, vcc, s8, v10
	s_load_dwordx2 s[4:5], s[0:1], 0x30
	s_load_dword s10, s[0:1], 0x18
	s_load_dwordx2 s[6:7], s[0:1], 0x20
	s_load_dwordx2 s[2:3], s[0:1], 0x10
	v_subbrev_co_u32_e32 v11, vcc, 0, v11, vcc
	v_lshl_add_u64 v[10:11], v[10:11], 0, 64
	v_cmp_gt_i64_e32 vcc, v[10:11], v[4:5]
	v_not_b32_e32 v3, v3
	v_not_b32_e32 v2, v2
	v_cndmask_b32_e32 v11, v5, v11, vcc
	v_cndmask_b32_e32 v10, v4, v10, vcc
	v_lshl_add_u64 v[10:11], v[10:11], 0, s[8:9]
	v_lshl_add_u64 v[2:3], v[10:11], 0, v[2:3]
	v_sub_co_u32_e32 v2, vcc, v2, v8
	s_waitcnt lgkmcnt(0)
	v_mul_lo_u32 v6, s10, v6
	v_subbrev_co_u32_e32 v3, vcc, 0, v3, vcc
	v_subrev_u32_e32 v6, s8, v6
	v_cmp_lt_u64_e32 vcc, 63, v[2:3]
	s_mov_b64 s[8:9], -1
	s_and_saveexec_b64 s[0:1], vcc
	s_cbranch_execz .LBB79_6
; %bb.3:
	v_lshrrev_b64 v[2:3], 6, v[2:3]
	v_lshl_add_u64 v[2:3], v[2:3], 0, 1
	v_and_b32_e32 v8, -2, v2
	v_mov_b32_e32 v9, v3
	v_lshl_add_u64 v[10:11], v[0:1], 2, s[4:5]
	s_mov_b64 s[8:9], 0x100
	v_lshl_add_u64 v[12:13], v[0:1], 1, s[6:7]
	s_mov_b64 s[10:11], 0x80
	v_mov_b32_e32 v7, v6
	v_lshl_add_u64 v[10:11], v[10:11], 0, s[8:9]
	v_lshl_add_u64 v[12:13], v[12:13], 0, s[10:11]
	s_mov_b64 s[10:11], 0
	s_mov_b64 s[12:13], 0x200
	v_mov_b64_e32 v[14:15], v[8:9]
.LBB79_4:                               ; =>This Inner Loop Header: Depth=1
	global_load_dword v16, v[10:11], off offset:-256
	global_load_dword v17, v[10:11], off
	v_lshl_add_u64 v[14:15], v[14:15], 0, -2
	v_cmp_eq_u64_e32 vcc, 0, v[14:15]
	v_lshl_add_u64 v[10:11], v[10:11], 0, s[12:13]
	s_or_b64 s[10:11], vcc, s[10:11]
	s_waitcnt vmcnt(1)
	v_add_u32_e32 v16, v6, v16
	s_waitcnt vmcnt(0)
	v_add_u32_e32 v18, v7, v17
	v_ashrrev_i32_e32 v17, 31, v16
	v_ashrrev_i32_e32 v19, 31, v18
	v_lshl_add_u64 v[16:17], v[16:17], 1, s[2:3]
	v_lshl_add_u64 v[18:19], v[18:19], 1, s[2:3]
	global_load_ushort v20, v[16:17], off
	global_load_ushort v21, v[18:19], off
	s_waitcnt vmcnt(1)
	global_store_short v[12:13], v20, off offset:-128
	s_waitcnt vmcnt(1)
	global_store_short v[12:13], v21, off
	v_lshl_add_u64 v[12:13], v[12:13], 0, s[8:9]
	s_andn2_b64 exec, exec, s[10:11]
	s_cbranch_execnz .LBB79_4
; %bb.5:
	s_or_b64 exec, exec, s[10:11]
	v_lshlrev_b64 v[10:11], 6, v[8:9]
	v_cmp_ne_u64_e32 vcc, v[2:3], v[8:9]
	v_lshl_add_u64 v[0:1], v[0:1], 0, v[10:11]
	s_orn2_b64 s[8:9], vcc, exec
.LBB79_6:
	s_or_b64 exec, exec, s[0:1]
	s_and_b64 exec, exec, s[8:9]
	s_cbranch_execz .LBB79_9
; %bb.7:
	v_lshl_add_u64 v[2:3], v[0:1], 1, s[6:7]
	v_lshl_add_u64 v[8:9], v[0:1], 2, s[4:5]
	s_mov_b64 s[0:1], 0
	s_mov_b64 s[4:5], 0x80
	;; [unrolled: 1-line block ×3, first 2 shown]
.LBB79_8:                               ; =>This Inner Loop Header: Depth=1
	global_load_dword v7, v[8:9], off
	v_lshl_add_u64 v[0:1], v[0:1], 0, 64
	v_cmp_ge_i64_e32 vcc, v[0:1], v[4:5]
	v_lshl_add_u64 v[8:9], v[8:9], 0, s[6:7]
	s_or_b64 s[0:1], vcc, s[0:1]
	s_waitcnt vmcnt(0)
	v_add_u32_e32 v10, v6, v7
	v_ashrrev_i32_e32 v11, 31, v10
	v_lshl_add_u64 v[10:11], v[10:11], 1, s[2:3]
	global_load_ushort v7, v[10:11], off
	s_waitcnt vmcnt(0)
	global_store_short v[2:3], v7, off
	v_lshl_add_u64 v[2:3], v[2:3], 0, s[4:5]
	s_andn2_b64 exec, exec, s[0:1]
	s_cbranch_execnz .LBB79_8
.LBB79_9:
	s_endpgm
	.section	.rodata,"a",@progbits
	.p2align	6, 0x0
	.amdhsa_kernel _ZN9rocsparseL23sddmm_csx_sample_kernelILi512ELi64EL20rocsparse_direction_1EDF16_liDF16_EEvT4_S2_T3_PKT5_S2_PS4_PKS3_PKS2_21rocsparse_index_base_
		.amdhsa_group_segment_fixed_size 0
		.amdhsa_private_segment_fixed_size 0
		.amdhsa_kernarg_size 60
		.amdhsa_user_sgpr_count 2
		.amdhsa_user_sgpr_dispatch_ptr 0
		.amdhsa_user_sgpr_queue_ptr 0
		.amdhsa_user_sgpr_kernarg_segment_ptr 1
		.amdhsa_user_sgpr_dispatch_id 0
		.amdhsa_user_sgpr_kernarg_preload_length 0
		.amdhsa_user_sgpr_kernarg_preload_offset 0
		.amdhsa_user_sgpr_private_segment_size 0
		.amdhsa_uses_dynamic_stack 0
		.amdhsa_enable_private_segment 0
		.amdhsa_system_sgpr_workgroup_id_x 1
		.amdhsa_system_sgpr_workgroup_id_y 0
		.amdhsa_system_sgpr_workgroup_id_z 0
		.amdhsa_system_sgpr_workgroup_info 0
		.amdhsa_system_vgpr_workitem_id 0
		.amdhsa_next_free_vgpr 22
		.amdhsa_next_free_sgpr 14
		.amdhsa_accum_offset 24
		.amdhsa_reserve_vcc 1
		.amdhsa_float_round_mode_32 0
		.amdhsa_float_round_mode_16_64 0
		.amdhsa_float_denorm_mode_32 3
		.amdhsa_float_denorm_mode_16_64 3
		.amdhsa_dx10_clamp 1
		.amdhsa_ieee_mode 1
		.amdhsa_fp16_overflow 0
		.amdhsa_tg_split 0
		.amdhsa_exception_fp_ieee_invalid_op 0
		.amdhsa_exception_fp_denorm_src 0
		.amdhsa_exception_fp_ieee_div_zero 0
		.amdhsa_exception_fp_ieee_overflow 0
		.amdhsa_exception_fp_ieee_underflow 0
		.amdhsa_exception_fp_ieee_inexact 0
		.amdhsa_exception_int_div_zero 0
	.end_amdhsa_kernel
	.section	.text._ZN9rocsparseL23sddmm_csx_sample_kernelILi512ELi64EL20rocsparse_direction_1EDF16_liDF16_EEvT4_S2_T3_PKT5_S2_PS4_PKS3_PKS2_21rocsparse_index_base_,"axG",@progbits,_ZN9rocsparseL23sddmm_csx_sample_kernelILi512ELi64EL20rocsparse_direction_1EDF16_liDF16_EEvT4_S2_T3_PKT5_S2_PS4_PKS3_PKS2_21rocsparse_index_base_,comdat
.Lfunc_end79:
	.size	_ZN9rocsparseL23sddmm_csx_sample_kernelILi512ELi64EL20rocsparse_direction_1EDF16_liDF16_EEvT4_S2_T3_PKT5_S2_PS4_PKS3_PKS2_21rocsparse_index_base_, .Lfunc_end79-_ZN9rocsparseL23sddmm_csx_sample_kernelILi512ELi64EL20rocsparse_direction_1EDF16_liDF16_EEvT4_S2_T3_PKT5_S2_PS4_PKS3_PKS2_21rocsparse_index_base_
                                        ; -- End function
	.set _ZN9rocsparseL23sddmm_csx_sample_kernelILi512ELi64EL20rocsparse_direction_1EDF16_liDF16_EEvT4_S2_T3_PKT5_S2_PS4_PKS3_PKS2_21rocsparse_index_base_.num_vgpr, 22
	.set _ZN9rocsparseL23sddmm_csx_sample_kernelILi512ELi64EL20rocsparse_direction_1EDF16_liDF16_EEvT4_S2_T3_PKT5_S2_PS4_PKS3_PKS2_21rocsparse_index_base_.num_agpr, 0
	.set _ZN9rocsparseL23sddmm_csx_sample_kernelILi512ELi64EL20rocsparse_direction_1EDF16_liDF16_EEvT4_S2_T3_PKT5_S2_PS4_PKS3_PKS2_21rocsparse_index_base_.numbered_sgpr, 14
	.set _ZN9rocsparseL23sddmm_csx_sample_kernelILi512ELi64EL20rocsparse_direction_1EDF16_liDF16_EEvT4_S2_T3_PKT5_S2_PS4_PKS3_PKS2_21rocsparse_index_base_.num_named_barrier, 0
	.set _ZN9rocsparseL23sddmm_csx_sample_kernelILi512ELi64EL20rocsparse_direction_1EDF16_liDF16_EEvT4_S2_T3_PKT5_S2_PS4_PKS3_PKS2_21rocsparse_index_base_.private_seg_size, 0
	.set _ZN9rocsparseL23sddmm_csx_sample_kernelILi512ELi64EL20rocsparse_direction_1EDF16_liDF16_EEvT4_S2_T3_PKT5_S2_PS4_PKS3_PKS2_21rocsparse_index_base_.uses_vcc, 1
	.set _ZN9rocsparseL23sddmm_csx_sample_kernelILi512ELi64EL20rocsparse_direction_1EDF16_liDF16_EEvT4_S2_T3_PKT5_S2_PS4_PKS3_PKS2_21rocsparse_index_base_.uses_flat_scratch, 0
	.set _ZN9rocsparseL23sddmm_csx_sample_kernelILi512ELi64EL20rocsparse_direction_1EDF16_liDF16_EEvT4_S2_T3_PKT5_S2_PS4_PKS3_PKS2_21rocsparse_index_base_.has_dyn_sized_stack, 0
	.set _ZN9rocsparseL23sddmm_csx_sample_kernelILi512ELi64EL20rocsparse_direction_1EDF16_liDF16_EEvT4_S2_T3_PKT5_S2_PS4_PKS3_PKS2_21rocsparse_index_base_.has_recursion, 0
	.set _ZN9rocsparseL23sddmm_csx_sample_kernelILi512ELi64EL20rocsparse_direction_1EDF16_liDF16_EEvT4_S2_T3_PKT5_S2_PS4_PKS3_PKS2_21rocsparse_index_base_.has_indirect_call, 0
	.section	.AMDGPU.csdata,"",@progbits
; Kernel info:
; codeLenInByte = 668
; TotalNumSgprs: 20
; NumVgprs: 22
; NumAgprs: 0
; TotalNumVgprs: 22
; ScratchSize: 0
; MemoryBound: 0
; FloatMode: 240
; IeeeMode: 1
; LDSByteSize: 0 bytes/workgroup (compile time only)
; SGPRBlocks: 2
; VGPRBlocks: 2
; NumSGPRsForWavesPerEU: 20
; NumVGPRsForWavesPerEU: 22
; AccumOffset: 24
; Occupancy: 8
; WaveLimiterHint : 1
; COMPUTE_PGM_RSRC2:SCRATCH_EN: 0
; COMPUTE_PGM_RSRC2:USER_SGPR: 2
; COMPUTE_PGM_RSRC2:TRAP_HANDLER: 0
; COMPUTE_PGM_RSRC2:TGID_X_EN: 1
; COMPUTE_PGM_RSRC2:TGID_Y_EN: 0
; COMPUTE_PGM_RSRC2:TGID_Z_EN: 0
; COMPUTE_PGM_RSRC2:TIDIG_COMP_CNT: 0
; COMPUTE_PGM_RSRC3_GFX90A:ACCUM_OFFSET: 5
; COMPUTE_PGM_RSRC3_GFX90A:TG_SPLIT: 0
	.section	.text._ZN9rocsparseL23sddmm_csx_sample_kernelILi512ELi32EL20rocsparse_direction_1EDF16_liDF16_EEvT4_S2_T3_PKT5_S2_PS4_PKS3_PKS2_21rocsparse_index_base_,"axG",@progbits,_ZN9rocsparseL23sddmm_csx_sample_kernelILi512ELi32EL20rocsparse_direction_1EDF16_liDF16_EEvT4_S2_T3_PKT5_S2_PS4_PKS3_PKS2_21rocsparse_index_base_,comdat
	.globl	_ZN9rocsparseL23sddmm_csx_sample_kernelILi512ELi32EL20rocsparse_direction_1EDF16_liDF16_EEvT4_S2_T3_PKT5_S2_PS4_PKS3_PKS2_21rocsparse_index_base_ ; -- Begin function _ZN9rocsparseL23sddmm_csx_sample_kernelILi512ELi32EL20rocsparse_direction_1EDF16_liDF16_EEvT4_S2_T3_PKT5_S2_PS4_PKS3_PKS2_21rocsparse_index_base_
	.p2align	8
	.type	_ZN9rocsparseL23sddmm_csx_sample_kernelILi512ELi32EL20rocsparse_direction_1EDF16_liDF16_EEvT4_S2_T3_PKT5_S2_PS4_PKS3_PKS2_21rocsparse_index_base_,@function
_ZN9rocsparseL23sddmm_csx_sample_kernelILi512ELi32EL20rocsparse_direction_1EDF16_liDF16_EEvT4_S2_T3_PKT5_S2_PS4_PKS3_PKS2_21rocsparse_index_base_: ; @_ZN9rocsparseL23sddmm_csx_sample_kernelILi512ELi32EL20rocsparse_direction_1EDF16_liDF16_EEvT4_S2_T3_PKT5_S2_PS4_PKS3_PKS2_21rocsparse_index_base_
; %bb.0:
	s_load_dword s3, s[0:1], 0x4
	v_lshrrev_b32_e32 v1, 5, v0
	v_lshl_or_b32 v6, s2, 4, v1
	s_waitcnt lgkmcnt(0)
	v_cmp_gt_u32_e32 vcc, s3, v6
	s_and_saveexec_b64 s[2:3], vcc
	s_cbranch_execz .LBB80_9
; %bb.1:
	s_load_dwordx2 s[2:3], s[0:1], 0x28
	s_load_dword s8, s[0:1], 0x38
	v_mov_b32_e32 v7, 0
	v_and_b32_e32 v8, 31, v0
	s_mov_b32 s9, 0
	s_waitcnt lgkmcnt(0)
	v_lshl_add_u64 v[2:3], v[6:7], 3, s[2:3]
	global_load_dwordx4 v[2:5], v[2:3], off
	v_subrev_co_u32_e32 v0, vcc, s8, v8
	v_mov_b32_e32 v9, v7
	s_nop 0
	v_subb_co_u32_e64 v1, s[2:3], 0, 0, vcc
	s_waitcnt vmcnt(0)
	v_subrev_co_u32_e32 v4, vcc, s8, v4
	v_lshl_add_u64 v[0:1], v[0:1], 0, v[2:3]
	s_nop 0
	v_subbrev_co_u32_e32 v5, vcc, 0, v5, vcc
	v_cmp_lt_i64_e32 vcc, v[0:1], v[4:5]
	s_and_b64 exec, exec, vcc
	s_cbranch_execz .LBB80_9
; %bb.2:
	v_lshl_add_u64 v[10:11], v[2:3], 0, v[8:9]
	v_subrev_co_u32_e32 v10, vcc, s8, v10
	s_load_dwordx2 s[4:5], s[0:1], 0x30
	s_load_dword s10, s[0:1], 0x18
	s_load_dwordx2 s[6:7], s[0:1], 0x20
	s_load_dwordx2 s[2:3], s[0:1], 0x10
	v_subbrev_co_u32_e32 v11, vcc, 0, v11, vcc
	v_lshl_add_u64 v[10:11], v[10:11], 0, 32
	v_cmp_gt_i64_e32 vcc, v[10:11], v[4:5]
	v_not_b32_e32 v3, v3
	v_not_b32_e32 v2, v2
	v_cndmask_b32_e32 v11, v5, v11, vcc
	v_cndmask_b32_e32 v10, v4, v10, vcc
	v_lshl_add_u64 v[10:11], v[10:11], 0, s[8:9]
	v_lshl_add_u64 v[2:3], v[10:11], 0, v[2:3]
	v_sub_co_u32_e32 v2, vcc, v2, v8
	s_waitcnt lgkmcnt(0)
	v_mul_lo_u32 v6, s10, v6
	v_subbrev_co_u32_e32 v3, vcc, 0, v3, vcc
	v_subrev_u32_e32 v6, s8, v6
	v_cmp_lt_u64_e32 vcc, 31, v[2:3]
	s_mov_b64 s[8:9], -1
	s_and_saveexec_b64 s[0:1], vcc
	s_cbranch_execz .LBB80_6
; %bb.3:
	v_lshrrev_b64 v[2:3], 5, v[2:3]
	v_lshl_add_u64 v[2:3], v[2:3], 0, 1
	v_and_b32_e32 v8, -2, v2
	v_mov_b32_e32 v9, v3
	v_lshl_add_u64 v[10:11], v[0:1], 2, s[4:5]
	s_mov_b64 s[8:9], 0x80
	v_lshl_add_u64 v[12:13], v[0:1], 1, s[6:7]
	v_mov_b32_e32 v7, v6
	v_lshl_add_u64 v[10:11], v[10:11], 0, s[8:9]
	v_lshl_add_u64 v[12:13], v[12:13], 0, 64
	s_mov_b64 s[10:11], 0
	s_mov_b64 s[12:13], 0x100
	v_mov_b64_e32 v[14:15], v[8:9]
.LBB80_4:                               ; =>This Inner Loop Header: Depth=1
	global_load_dword v16, v[10:11], off offset:-128
	global_load_dword v17, v[10:11], off
	v_lshl_add_u64 v[14:15], v[14:15], 0, -2
	v_cmp_eq_u64_e32 vcc, 0, v[14:15]
	v_lshl_add_u64 v[10:11], v[10:11], 0, s[12:13]
	s_or_b64 s[10:11], vcc, s[10:11]
	s_waitcnt vmcnt(1)
	v_add_u32_e32 v16, v6, v16
	s_waitcnt vmcnt(0)
	v_add_u32_e32 v18, v7, v17
	v_ashrrev_i32_e32 v17, 31, v16
	v_ashrrev_i32_e32 v19, 31, v18
	v_lshl_add_u64 v[16:17], v[16:17], 1, s[2:3]
	v_lshl_add_u64 v[18:19], v[18:19], 1, s[2:3]
	global_load_ushort v20, v[16:17], off
	global_load_ushort v21, v[18:19], off
	s_waitcnt vmcnt(1)
	global_store_short v[12:13], v20, off offset:-64
	s_waitcnt vmcnt(1)
	global_store_short v[12:13], v21, off
	v_lshl_add_u64 v[12:13], v[12:13], 0, s[8:9]
	s_andn2_b64 exec, exec, s[10:11]
	s_cbranch_execnz .LBB80_4
; %bb.5:
	s_or_b64 exec, exec, s[10:11]
	v_lshlrev_b64 v[10:11], 5, v[8:9]
	v_cmp_ne_u64_e32 vcc, v[2:3], v[8:9]
	v_lshl_add_u64 v[0:1], v[0:1], 0, v[10:11]
	s_orn2_b64 s[8:9], vcc, exec
.LBB80_6:
	s_or_b64 exec, exec, s[0:1]
	s_and_b64 exec, exec, s[8:9]
	s_cbranch_execz .LBB80_9
; %bb.7:
	v_lshl_add_u64 v[2:3], v[0:1], 1, s[6:7]
	v_lshl_add_u64 v[8:9], v[0:1], 2, s[4:5]
	s_mov_b64 s[0:1], 0
	s_mov_b64 s[4:5], 0x80
.LBB80_8:                               ; =>This Inner Loop Header: Depth=1
	global_load_dword v7, v[8:9], off
	v_lshl_add_u64 v[0:1], v[0:1], 0, 32
	v_cmp_ge_i64_e32 vcc, v[0:1], v[4:5]
	v_lshl_add_u64 v[8:9], v[8:9], 0, s[4:5]
	s_or_b64 s[0:1], vcc, s[0:1]
	s_waitcnt vmcnt(0)
	v_add_u32_e32 v10, v6, v7
	v_ashrrev_i32_e32 v11, 31, v10
	v_lshl_add_u64 v[10:11], v[10:11], 1, s[2:3]
	global_load_ushort v7, v[10:11], off
	s_waitcnt vmcnt(0)
	global_store_short v[2:3], v7, off
	v_lshl_add_u64 v[2:3], v[2:3], 0, 64
	s_andn2_b64 exec, exec, s[0:1]
	s_cbranch_execnz .LBB80_8
.LBB80_9:
	s_endpgm
	.section	.rodata,"a",@progbits
	.p2align	6, 0x0
	.amdhsa_kernel _ZN9rocsparseL23sddmm_csx_sample_kernelILi512ELi32EL20rocsparse_direction_1EDF16_liDF16_EEvT4_S2_T3_PKT5_S2_PS4_PKS3_PKS2_21rocsparse_index_base_
		.amdhsa_group_segment_fixed_size 0
		.amdhsa_private_segment_fixed_size 0
		.amdhsa_kernarg_size 60
		.amdhsa_user_sgpr_count 2
		.amdhsa_user_sgpr_dispatch_ptr 0
		.amdhsa_user_sgpr_queue_ptr 0
		.amdhsa_user_sgpr_kernarg_segment_ptr 1
		.amdhsa_user_sgpr_dispatch_id 0
		.amdhsa_user_sgpr_kernarg_preload_length 0
		.amdhsa_user_sgpr_kernarg_preload_offset 0
		.amdhsa_user_sgpr_private_segment_size 0
		.amdhsa_uses_dynamic_stack 0
		.amdhsa_enable_private_segment 0
		.amdhsa_system_sgpr_workgroup_id_x 1
		.amdhsa_system_sgpr_workgroup_id_y 0
		.amdhsa_system_sgpr_workgroup_id_z 0
		.amdhsa_system_sgpr_workgroup_info 0
		.amdhsa_system_vgpr_workitem_id 0
		.amdhsa_next_free_vgpr 22
		.amdhsa_next_free_sgpr 14
		.amdhsa_accum_offset 24
		.amdhsa_reserve_vcc 1
		.amdhsa_float_round_mode_32 0
		.amdhsa_float_round_mode_16_64 0
		.amdhsa_float_denorm_mode_32 3
		.amdhsa_float_denorm_mode_16_64 3
		.amdhsa_dx10_clamp 1
		.amdhsa_ieee_mode 1
		.amdhsa_fp16_overflow 0
		.amdhsa_tg_split 0
		.amdhsa_exception_fp_ieee_invalid_op 0
		.amdhsa_exception_fp_denorm_src 0
		.amdhsa_exception_fp_ieee_div_zero 0
		.amdhsa_exception_fp_ieee_overflow 0
		.amdhsa_exception_fp_ieee_underflow 0
		.amdhsa_exception_fp_ieee_inexact 0
		.amdhsa_exception_int_div_zero 0
	.end_amdhsa_kernel
	.section	.text._ZN9rocsparseL23sddmm_csx_sample_kernelILi512ELi32EL20rocsparse_direction_1EDF16_liDF16_EEvT4_S2_T3_PKT5_S2_PS4_PKS3_PKS2_21rocsparse_index_base_,"axG",@progbits,_ZN9rocsparseL23sddmm_csx_sample_kernelILi512ELi32EL20rocsparse_direction_1EDF16_liDF16_EEvT4_S2_T3_PKT5_S2_PS4_PKS3_PKS2_21rocsparse_index_base_,comdat
.Lfunc_end80:
	.size	_ZN9rocsparseL23sddmm_csx_sample_kernelILi512ELi32EL20rocsparse_direction_1EDF16_liDF16_EEvT4_S2_T3_PKT5_S2_PS4_PKS3_PKS2_21rocsparse_index_base_, .Lfunc_end80-_ZN9rocsparseL23sddmm_csx_sample_kernelILi512ELi32EL20rocsparse_direction_1EDF16_liDF16_EEvT4_S2_T3_PKT5_S2_PS4_PKS3_PKS2_21rocsparse_index_base_
                                        ; -- End function
	.set _ZN9rocsparseL23sddmm_csx_sample_kernelILi512ELi32EL20rocsparse_direction_1EDF16_liDF16_EEvT4_S2_T3_PKT5_S2_PS4_PKS3_PKS2_21rocsparse_index_base_.num_vgpr, 22
	.set _ZN9rocsparseL23sddmm_csx_sample_kernelILi512ELi32EL20rocsparse_direction_1EDF16_liDF16_EEvT4_S2_T3_PKT5_S2_PS4_PKS3_PKS2_21rocsparse_index_base_.num_agpr, 0
	.set _ZN9rocsparseL23sddmm_csx_sample_kernelILi512ELi32EL20rocsparse_direction_1EDF16_liDF16_EEvT4_S2_T3_PKT5_S2_PS4_PKS3_PKS2_21rocsparse_index_base_.numbered_sgpr, 14
	.set _ZN9rocsparseL23sddmm_csx_sample_kernelILi512ELi32EL20rocsparse_direction_1EDF16_liDF16_EEvT4_S2_T3_PKT5_S2_PS4_PKS3_PKS2_21rocsparse_index_base_.num_named_barrier, 0
	.set _ZN9rocsparseL23sddmm_csx_sample_kernelILi512ELi32EL20rocsparse_direction_1EDF16_liDF16_EEvT4_S2_T3_PKT5_S2_PS4_PKS3_PKS2_21rocsparse_index_base_.private_seg_size, 0
	.set _ZN9rocsparseL23sddmm_csx_sample_kernelILi512ELi32EL20rocsparse_direction_1EDF16_liDF16_EEvT4_S2_T3_PKT5_S2_PS4_PKS3_PKS2_21rocsparse_index_base_.uses_vcc, 1
	.set _ZN9rocsparseL23sddmm_csx_sample_kernelILi512ELi32EL20rocsparse_direction_1EDF16_liDF16_EEvT4_S2_T3_PKT5_S2_PS4_PKS3_PKS2_21rocsparse_index_base_.uses_flat_scratch, 0
	.set _ZN9rocsparseL23sddmm_csx_sample_kernelILi512ELi32EL20rocsparse_direction_1EDF16_liDF16_EEvT4_S2_T3_PKT5_S2_PS4_PKS3_PKS2_21rocsparse_index_base_.has_dyn_sized_stack, 0
	.set _ZN9rocsparseL23sddmm_csx_sample_kernelILi512ELi32EL20rocsparse_direction_1EDF16_liDF16_EEvT4_S2_T3_PKT5_S2_PS4_PKS3_PKS2_21rocsparse_index_base_.has_recursion, 0
	.set _ZN9rocsparseL23sddmm_csx_sample_kernelILi512ELi32EL20rocsparse_direction_1EDF16_liDF16_EEvT4_S2_T3_PKT5_S2_PS4_PKS3_PKS2_21rocsparse_index_base_.has_indirect_call, 0
	.section	.AMDGPU.csdata,"",@progbits
; Kernel info:
; codeLenInByte = 652
; TotalNumSgprs: 20
; NumVgprs: 22
; NumAgprs: 0
; TotalNumVgprs: 22
; ScratchSize: 0
; MemoryBound: 0
; FloatMode: 240
; IeeeMode: 1
; LDSByteSize: 0 bytes/workgroup (compile time only)
; SGPRBlocks: 2
; VGPRBlocks: 2
; NumSGPRsForWavesPerEU: 20
; NumVGPRsForWavesPerEU: 22
; AccumOffset: 24
; Occupancy: 8
; WaveLimiterHint : 1
; COMPUTE_PGM_RSRC2:SCRATCH_EN: 0
; COMPUTE_PGM_RSRC2:USER_SGPR: 2
; COMPUTE_PGM_RSRC2:TRAP_HANDLER: 0
; COMPUTE_PGM_RSRC2:TGID_X_EN: 1
; COMPUTE_PGM_RSRC2:TGID_Y_EN: 0
; COMPUTE_PGM_RSRC2:TGID_Z_EN: 0
; COMPUTE_PGM_RSRC2:TIDIG_COMP_CNT: 0
; COMPUTE_PGM_RSRC3_GFX90A:ACCUM_OFFSET: 5
; COMPUTE_PGM_RSRC3_GFX90A:TG_SPLIT: 0
	.section	.text._ZN9rocsparseL23sddmm_csx_sample_kernelILi512ELi16EL20rocsparse_direction_1EDF16_liDF16_EEvT4_S2_T3_PKT5_S2_PS4_PKS3_PKS2_21rocsparse_index_base_,"axG",@progbits,_ZN9rocsparseL23sddmm_csx_sample_kernelILi512ELi16EL20rocsparse_direction_1EDF16_liDF16_EEvT4_S2_T3_PKT5_S2_PS4_PKS3_PKS2_21rocsparse_index_base_,comdat
	.globl	_ZN9rocsparseL23sddmm_csx_sample_kernelILi512ELi16EL20rocsparse_direction_1EDF16_liDF16_EEvT4_S2_T3_PKT5_S2_PS4_PKS3_PKS2_21rocsparse_index_base_ ; -- Begin function _ZN9rocsparseL23sddmm_csx_sample_kernelILi512ELi16EL20rocsparse_direction_1EDF16_liDF16_EEvT4_S2_T3_PKT5_S2_PS4_PKS3_PKS2_21rocsparse_index_base_
	.p2align	8
	.type	_ZN9rocsparseL23sddmm_csx_sample_kernelILi512ELi16EL20rocsparse_direction_1EDF16_liDF16_EEvT4_S2_T3_PKT5_S2_PS4_PKS3_PKS2_21rocsparse_index_base_,@function
_ZN9rocsparseL23sddmm_csx_sample_kernelILi512ELi16EL20rocsparse_direction_1EDF16_liDF16_EEvT4_S2_T3_PKT5_S2_PS4_PKS3_PKS2_21rocsparse_index_base_: ; @_ZN9rocsparseL23sddmm_csx_sample_kernelILi512ELi16EL20rocsparse_direction_1EDF16_liDF16_EEvT4_S2_T3_PKT5_S2_PS4_PKS3_PKS2_21rocsparse_index_base_
; %bb.0:
	s_load_dword s3, s[0:1], 0x4
	v_lshrrev_b32_e32 v1, 4, v0
	v_lshl_or_b32 v6, s2, 5, v1
	s_waitcnt lgkmcnt(0)
	v_cmp_gt_u32_e32 vcc, s3, v6
	s_and_saveexec_b64 s[2:3], vcc
	s_cbranch_execz .LBB81_9
; %bb.1:
	s_load_dwordx2 s[2:3], s[0:1], 0x28
	s_load_dword s8, s[0:1], 0x38
	v_mov_b32_e32 v7, 0
	v_and_b32_e32 v8, 15, v0
	s_mov_b32 s9, 0
	s_waitcnt lgkmcnt(0)
	v_lshl_add_u64 v[2:3], v[6:7], 3, s[2:3]
	global_load_dwordx4 v[2:5], v[2:3], off
	v_subrev_co_u32_e32 v0, vcc, s8, v8
	v_mov_b32_e32 v9, v7
	s_nop 0
	v_subb_co_u32_e64 v1, s[2:3], 0, 0, vcc
	s_waitcnt vmcnt(0)
	v_subrev_co_u32_e32 v4, vcc, s8, v4
	v_lshl_add_u64 v[0:1], v[0:1], 0, v[2:3]
	s_nop 0
	v_subbrev_co_u32_e32 v5, vcc, 0, v5, vcc
	v_cmp_lt_i64_e32 vcc, v[0:1], v[4:5]
	s_and_b64 exec, exec, vcc
	s_cbranch_execz .LBB81_9
; %bb.2:
	v_lshl_add_u64 v[10:11], v[2:3], 0, v[8:9]
	v_subrev_co_u32_e32 v10, vcc, s8, v10
	s_load_dwordx2 s[4:5], s[0:1], 0x30
	s_load_dword s10, s[0:1], 0x18
	s_load_dwordx2 s[6:7], s[0:1], 0x20
	s_load_dwordx2 s[2:3], s[0:1], 0x10
	v_subbrev_co_u32_e32 v11, vcc, 0, v11, vcc
	v_lshl_add_u64 v[10:11], v[10:11], 0, 16
	v_cmp_gt_i64_e32 vcc, v[10:11], v[4:5]
	v_not_b32_e32 v3, v3
	v_not_b32_e32 v2, v2
	v_cndmask_b32_e32 v11, v5, v11, vcc
	v_cndmask_b32_e32 v10, v4, v10, vcc
	v_lshl_add_u64 v[10:11], v[10:11], 0, s[8:9]
	v_lshl_add_u64 v[2:3], v[10:11], 0, v[2:3]
	v_sub_co_u32_e32 v2, vcc, v2, v8
	s_waitcnt lgkmcnt(0)
	v_mul_lo_u32 v6, s10, v6
	v_subbrev_co_u32_e32 v3, vcc, 0, v3, vcc
	v_subrev_u32_e32 v6, s8, v6
	v_cmp_lt_u64_e32 vcc, 15, v[2:3]
	s_mov_b64 s[8:9], -1
	s_and_saveexec_b64 s[0:1], vcc
	s_cbranch_execz .LBB81_6
; %bb.3:
	v_lshrrev_b64 v[2:3], 4, v[2:3]
	v_lshl_add_u64 v[2:3], v[2:3], 0, 1
	v_and_b32_e32 v8, -2, v2
	v_mov_b32_e32 v9, v3
	v_lshl_add_u64 v[10:11], v[0:1], 2, s[4:5]
	v_lshl_add_u64 v[12:13], v[0:1], 1, s[6:7]
	v_mov_b32_e32 v7, v6
	v_lshl_add_u64 v[10:11], v[10:11], 0, 64
	v_lshl_add_u64 v[12:13], v[12:13], 0, 32
	s_mov_b64 s[8:9], 0
	s_mov_b64 s[10:11], 0x80
	v_mov_b64_e32 v[14:15], v[8:9]
.LBB81_4:                               ; =>This Inner Loop Header: Depth=1
	global_load_dword v16, v[10:11], off offset:-64
	global_load_dword v17, v[10:11], off
	v_lshl_add_u64 v[14:15], v[14:15], 0, -2
	v_cmp_eq_u64_e32 vcc, 0, v[14:15]
	v_lshl_add_u64 v[10:11], v[10:11], 0, s[10:11]
	s_or_b64 s[8:9], vcc, s[8:9]
	s_waitcnt vmcnt(1)
	v_add_u32_e32 v16, v6, v16
	s_waitcnt vmcnt(0)
	v_add_u32_e32 v18, v7, v17
	v_ashrrev_i32_e32 v17, 31, v16
	v_ashrrev_i32_e32 v19, 31, v18
	v_lshl_add_u64 v[16:17], v[16:17], 1, s[2:3]
	v_lshl_add_u64 v[18:19], v[18:19], 1, s[2:3]
	global_load_ushort v20, v[16:17], off
	global_load_ushort v21, v[18:19], off
	s_waitcnt vmcnt(1)
	global_store_short v[12:13], v20, off offset:-32
	s_waitcnt vmcnt(1)
	global_store_short v[12:13], v21, off
	v_lshl_add_u64 v[12:13], v[12:13], 0, 64
	s_andn2_b64 exec, exec, s[8:9]
	s_cbranch_execnz .LBB81_4
; %bb.5:
	s_or_b64 exec, exec, s[8:9]
	v_cmp_ne_u64_e32 vcc, v[2:3], v[8:9]
	v_lshl_add_u64 v[0:1], v[8:9], 4, v[0:1]
	s_orn2_b64 s[8:9], vcc, exec
.LBB81_6:
	s_or_b64 exec, exec, s[0:1]
	s_and_b64 exec, exec, s[8:9]
	s_cbranch_execz .LBB81_9
; %bb.7:
	v_lshl_add_u64 v[2:3], v[0:1], 1, s[6:7]
	v_lshl_add_u64 v[8:9], v[0:1], 2, s[4:5]
	s_mov_b64 s[0:1], 0
.LBB81_8:                               ; =>This Inner Loop Header: Depth=1
	global_load_dword v7, v[8:9], off
	v_lshl_add_u64 v[0:1], v[0:1], 0, 16
	v_cmp_ge_i64_e32 vcc, v[0:1], v[4:5]
	v_lshl_add_u64 v[8:9], v[8:9], 0, 64
	s_or_b64 s[0:1], vcc, s[0:1]
	s_waitcnt vmcnt(0)
	v_add_u32_e32 v10, v6, v7
	v_ashrrev_i32_e32 v11, 31, v10
	v_lshl_add_u64 v[10:11], v[10:11], 1, s[2:3]
	global_load_ushort v7, v[10:11], off
	s_waitcnt vmcnt(0)
	global_store_short v[2:3], v7, off
	v_lshl_add_u64 v[2:3], v[2:3], 0, 32
	s_andn2_b64 exec, exec, s[0:1]
	s_cbranch_execnz .LBB81_8
.LBB81_9:
	s_endpgm
	.section	.rodata,"a",@progbits
	.p2align	6, 0x0
	.amdhsa_kernel _ZN9rocsparseL23sddmm_csx_sample_kernelILi512ELi16EL20rocsparse_direction_1EDF16_liDF16_EEvT4_S2_T3_PKT5_S2_PS4_PKS3_PKS2_21rocsparse_index_base_
		.amdhsa_group_segment_fixed_size 0
		.amdhsa_private_segment_fixed_size 0
		.amdhsa_kernarg_size 60
		.amdhsa_user_sgpr_count 2
		.amdhsa_user_sgpr_dispatch_ptr 0
		.amdhsa_user_sgpr_queue_ptr 0
		.amdhsa_user_sgpr_kernarg_segment_ptr 1
		.amdhsa_user_sgpr_dispatch_id 0
		.amdhsa_user_sgpr_kernarg_preload_length 0
		.amdhsa_user_sgpr_kernarg_preload_offset 0
		.amdhsa_user_sgpr_private_segment_size 0
		.amdhsa_uses_dynamic_stack 0
		.amdhsa_enable_private_segment 0
		.amdhsa_system_sgpr_workgroup_id_x 1
		.amdhsa_system_sgpr_workgroup_id_y 0
		.amdhsa_system_sgpr_workgroup_id_z 0
		.amdhsa_system_sgpr_workgroup_info 0
		.amdhsa_system_vgpr_workitem_id 0
		.amdhsa_next_free_vgpr 22
		.amdhsa_next_free_sgpr 12
		.amdhsa_accum_offset 24
		.amdhsa_reserve_vcc 1
		.amdhsa_float_round_mode_32 0
		.amdhsa_float_round_mode_16_64 0
		.amdhsa_float_denorm_mode_32 3
		.amdhsa_float_denorm_mode_16_64 3
		.amdhsa_dx10_clamp 1
		.amdhsa_ieee_mode 1
		.amdhsa_fp16_overflow 0
		.amdhsa_tg_split 0
		.amdhsa_exception_fp_ieee_invalid_op 0
		.amdhsa_exception_fp_denorm_src 0
		.amdhsa_exception_fp_ieee_div_zero 0
		.amdhsa_exception_fp_ieee_overflow 0
		.amdhsa_exception_fp_ieee_underflow 0
		.amdhsa_exception_fp_ieee_inexact 0
		.amdhsa_exception_int_div_zero 0
	.end_amdhsa_kernel
	.section	.text._ZN9rocsparseL23sddmm_csx_sample_kernelILi512ELi16EL20rocsparse_direction_1EDF16_liDF16_EEvT4_S2_T3_PKT5_S2_PS4_PKS3_PKS2_21rocsparse_index_base_,"axG",@progbits,_ZN9rocsparseL23sddmm_csx_sample_kernelILi512ELi16EL20rocsparse_direction_1EDF16_liDF16_EEvT4_S2_T3_PKT5_S2_PS4_PKS3_PKS2_21rocsparse_index_base_,comdat
.Lfunc_end81:
	.size	_ZN9rocsparseL23sddmm_csx_sample_kernelILi512ELi16EL20rocsparse_direction_1EDF16_liDF16_EEvT4_S2_T3_PKT5_S2_PS4_PKS3_PKS2_21rocsparse_index_base_, .Lfunc_end81-_ZN9rocsparseL23sddmm_csx_sample_kernelILi512ELi16EL20rocsparse_direction_1EDF16_liDF16_EEvT4_S2_T3_PKT5_S2_PS4_PKS3_PKS2_21rocsparse_index_base_
                                        ; -- End function
	.set _ZN9rocsparseL23sddmm_csx_sample_kernelILi512ELi16EL20rocsparse_direction_1EDF16_liDF16_EEvT4_S2_T3_PKT5_S2_PS4_PKS3_PKS2_21rocsparse_index_base_.num_vgpr, 22
	.set _ZN9rocsparseL23sddmm_csx_sample_kernelILi512ELi16EL20rocsparse_direction_1EDF16_liDF16_EEvT4_S2_T3_PKT5_S2_PS4_PKS3_PKS2_21rocsparse_index_base_.num_agpr, 0
	.set _ZN9rocsparseL23sddmm_csx_sample_kernelILi512ELi16EL20rocsparse_direction_1EDF16_liDF16_EEvT4_S2_T3_PKT5_S2_PS4_PKS3_PKS2_21rocsparse_index_base_.numbered_sgpr, 12
	.set _ZN9rocsparseL23sddmm_csx_sample_kernelILi512ELi16EL20rocsparse_direction_1EDF16_liDF16_EEvT4_S2_T3_PKT5_S2_PS4_PKS3_PKS2_21rocsparse_index_base_.num_named_barrier, 0
	.set _ZN9rocsparseL23sddmm_csx_sample_kernelILi512ELi16EL20rocsparse_direction_1EDF16_liDF16_EEvT4_S2_T3_PKT5_S2_PS4_PKS3_PKS2_21rocsparse_index_base_.private_seg_size, 0
	.set _ZN9rocsparseL23sddmm_csx_sample_kernelILi512ELi16EL20rocsparse_direction_1EDF16_liDF16_EEvT4_S2_T3_PKT5_S2_PS4_PKS3_PKS2_21rocsparse_index_base_.uses_vcc, 1
	.set _ZN9rocsparseL23sddmm_csx_sample_kernelILi512ELi16EL20rocsparse_direction_1EDF16_liDF16_EEvT4_S2_T3_PKT5_S2_PS4_PKS3_PKS2_21rocsparse_index_base_.uses_flat_scratch, 0
	.set _ZN9rocsparseL23sddmm_csx_sample_kernelILi512ELi16EL20rocsparse_direction_1EDF16_liDF16_EEvT4_S2_T3_PKT5_S2_PS4_PKS3_PKS2_21rocsparse_index_base_.has_dyn_sized_stack, 0
	.set _ZN9rocsparseL23sddmm_csx_sample_kernelILi512ELi16EL20rocsparse_direction_1EDF16_liDF16_EEvT4_S2_T3_PKT5_S2_PS4_PKS3_PKS2_21rocsparse_index_base_.has_recursion, 0
	.set _ZN9rocsparseL23sddmm_csx_sample_kernelILi512ELi16EL20rocsparse_direction_1EDF16_liDF16_EEvT4_S2_T3_PKT5_S2_PS4_PKS3_PKS2_21rocsparse_index_base_.has_indirect_call, 0
	.section	.AMDGPU.csdata,"",@progbits
; Kernel info:
; codeLenInByte = 628
; TotalNumSgprs: 18
; NumVgprs: 22
; NumAgprs: 0
; TotalNumVgprs: 22
; ScratchSize: 0
; MemoryBound: 0
; FloatMode: 240
; IeeeMode: 1
; LDSByteSize: 0 bytes/workgroup (compile time only)
; SGPRBlocks: 2
; VGPRBlocks: 2
; NumSGPRsForWavesPerEU: 18
; NumVGPRsForWavesPerEU: 22
; AccumOffset: 24
; Occupancy: 8
; WaveLimiterHint : 1
; COMPUTE_PGM_RSRC2:SCRATCH_EN: 0
; COMPUTE_PGM_RSRC2:USER_SGPR: 2
; COMPUTE_PGM_RSRC2:TRAP_HANDLER: 0
; COMPUTE_PGM_RSRC2:TGID_X_EN: 1
; COMPUTE_PGM_RSRC2:TGID_Y_EN: 0
; COMPUTE_PGM_RSRC2:TGID_Z_EN: 0
; COMPUTE_PGM_RSRC2:TIDIG_COMP_CNT: 0
; COMPUTE_PGM_RSRC3_GFX90A:ACCUM_OFFSET: 5
; COMPUTE_PGM_RSRC3_GFX90A:TG_SPLIT: 0
	.section	.text._ZN9rocsparseL23sddmm_csx_sample_kernelILi512ELi8EL20rocsparse_direction_1EDF16_liDF16_EEvT4_S2_T3_PKT5_S2_PS4_PKS3_PKS2_21rocsparse_index_base_,"axG",@progbits,_ZN9rocsparseL23sddmm_csx_sample_kernelILi512ELi8EL20rocsparse_direction_1EDF16_liDF16_EEvT4_S2_T3_PKT5_S2_PS4_PKS3_PKS2_21rocsparse_index_base_,comdat
	.globl	_ZN9rocsparseL23sddmm_csx_sample_kernelILi512ELi8EL20rocsparse_direction_1EDF16_liDF16_EEvT4_S2_T3_PKT5_S2_PS4_PKS3_PKS2_21rocsparse_index_base_ ; -- Begin function _ZN9rocsparseL23sddmm_csx_sample_kernelILi512ELi8EL20rocsparse_direction_1EDF16_liDF16_EEvT4_S2_T3_PKT5_S2_PS4_PKS3_PKS2_21rocsparse_index_base_
	.p2align	8
	.type	_ZN9rocsparseL23sddmm_csx_sample_kernelILi512ELi8EL20rocsparse_direction_1EDF16_liDF16_EEvT4_S2_T3_PKT5_S2_PS4_PKS3_PKS2_21rocsparse_index_base_,@function
_ZN9rocsparseL23sddmm_csx_sample_kernelILi512ELi8EL20rocsparse_direction_1EDF16_liDF16_EEvT4_S2_T3_PKT5_S2_PS4_PKS3_PKS2_21rocsparse_index_base_: ; @_ZN9rocsparseL23sddmm_csx_sample_kernelILi512ELi8EL20rocsparse_direction_1EDF16_liDF16_EEvT4_S2_T3_PKT5_S2_PS4_PKS3_PKS2_21rocsparse_index_base_
; %bb.0:
	s_load_dword s3, s[0:1], 0x4
	v_lshrrev_b32_e32 v1, 3, v0
	v_lshl_or_b32 v6, s2, 6, v1
	s_waitcnt lgkmcnt(0)
	v_cmp_gt_u32_e32 vcc, s3, v6
	s_and_saveexec_b64 s[2:3], vcc
	s_cbranch_execz .LBB82_9
; %bb.1:
	s_load_dwordx2 s[2:3], s[0:1], 0x28
	s_load_dword s8, s[0:1], 0x38
	v_mov_b32_e32 v7, 0
	v_and_b32_e32 v8, 7, v0
	s_mov_b32 s9, 0
	s_waitcnt lgkmcnt(0)
	v_lshl_add_u64 v[2:3], v[6:7], 3, s[2:3]
	global_load_dwordx4 v[2:5], v[2:3], off
	v_subrev_co_u32_e32 v0, vcc, s8, v8
	v_mov_b32_e32 v9, v7
	s_nop 0
	v_subb_co_u32_e64 v1, s[2:3], 0, 0, vcc
	s_waitcnt vmcnt(0)
	v_subrev_co_u32_e32 v4, vcc, s8, v4
	v_lshl_add_u64 v[0:1], v[0:1], 0, v[2:3]
	s_nop 0
	v_subbrev_co_u32_e32 v5, vcc, 0, v5, vcc
	v_cmp_lt_i64_e32 vcc, v[0:1], v[4:5]
	s_and_b64 exec, exec, vcc
	s_cbranch_execz .LBB82_9
; %bb.2:
	v_lshl_add_u64 v[10:11], v[2:3], 0, v[8:9]
	v_subrev_co_u32_e32 v10, vcc, s8, v10
	s_load_dwordx2 s[4:5], s[0:1], 0x30
	s_load_dword s10, s[0:1], 0x18
	s_load_dwordx2 s[6:7], s[0:1], 0x20
	s_load_dwordx2 s[2:3], s[0:1], 0x10
	v_subbrev_co_u32_e32 v11, vcc, 0, v11, vcc
	v_lshl_add_u64 v[10:11], v[10:11], 0, 8
	v_cmp_gt_i64_e32 vcc, v[10:11], v[4:5]
	v_not_b32_e32 v3, v3
	v_not_b32_e32 v2, v2
	v_cndmask_b32_e32 v11, v5, v11, vcc
	v_cndmask_b32_e32 v10, v4, v10, vcc
	v_lshl_add_u64 v[10:11], v[10:11], 0, s[8:9]
	v_lshl_add_u64 v[2:3], v[10:11], 0, v[2:3]
	v_sub_co_u32_e32 v2, vcc, v2, v8
	s_waitcnt lgkmcnt(0)
	v_mul_lo_u32 v6, s10, v6
	v_subbrev_co_u32_e32 v3, vcc, 0, v3, vcc
	v_subrev_u32_e32 v6, s8, v6
	v_cmp_lt_u64_e32 vcc, 7, v[2:3]
	s_mov_b64 s[8:9], -1
	s_and_saveexec_b64 s[0:1], vcc
	s_cbranch_execz .LBB82_6
; %bb.3:
	v_lshrrev_b64 v[2:3], 3, v[2:3]
	v_lshl_add_u64 v[2:3], v[2:3], 0, 1
	v_and_b32_e32 v8, -2, v2
	v_mov_b32_e32 v9, v3
	v_lshl_add_u64 v[10:11], v[0:1], 2, s[4:5]
	v_lshl_add_u64 v[12:13], v[0:1], 1, s[6:7]
	v_mov_b32_e32 v7, v6
	v_lshl_add_u64 v[10:11], v[10:11], 0, 32
	v_lshl_add_u64 v[12:13], v[12:13], 0, 16
	s_mov_b64 s[8:9], 0
	v_mov_b64_e32 v[14:15], v[8:9]
.LBB82_4:                               ; =>This Inner Loop Header: Depth=1
	global_load_dword v16, v[10:11], off offset:-32
	global_load_dword v17, v[10:11], off
	v_lshl_add_u64 v[14:15], v[14:15], 0, -2
	v_cmp_eq_u64_e32 vcc, 0, v[14:15]
	v_lshl_add_u64 v[10:11], v[10:11], 0, 64
	s_or_b64 s[8:9], vcc, s[8:9]
	s_waitcnt vmcnt(1)
	v_add_u32_e32 v16, v6, v16
	s_waitcnt vmcnt(0)
	v_add_u32_e32 v18, v7, v17
	v_ashrrev_i32_e32 v17, 31, v16
	v_ashrrev_i32_e32 v19, 31, v18
	v_lshl_add_u64 v[16:17], v[16:17], 1, s[2:3]
	v_lshl_add_u64 v[18:19], v[18:19], 1, s[2:3]
	global_load_ushort v20, v[16:17], off
	global_load_ushort v21, v[18:19], off
	s_waitcnt vmcnt(1)
	global_store_short v[12:13], v20, off offset:-16
	s_waitcnt vmcnt(1)
	global_store_short v[12:13], v21, off
	v_lshl_add_u64 v[12:13], v[12:13], 0, 32
	s_andn2_b64 exec, exec, s[8:9]
	s_cbranch_execnz .LBB82_4
; %bb.5:
	s_or_b64 exec, exec, s[8:9]
	v_cmp_ne_u64_e32 vcc, v[2:3], v[8:9]
	v_lshl_add_u64 v[0:1], v[8:9], 3, v[0:1]
	s_orn2_b64 s[8:9], vcc, exec
.LBB82_6:
	s_or_b64 exec, exec, s[0:1]
	s_and_b64 exec, exec, s[8:9]
	s_cbranch_execz .LBB82_9
; %bb.7:
	v_lshl_add_u64 v[2:3], v[0:1], 1, s[6:7]
	v_lshl_add_u64 v[8:9], v[0:1], 2, s[4:5]
	s_mov_b64 s[0:1], 0
.LBB82_8:                               ; =>This Inner Loop Header: Depth=1
	global_load_dword v7, v[8:9], off
	v_lshl_add_u64 v[0:1], v[0:1], 0, 8
	v_cmp_ge_i64_e32 vcc, v[0:1], v[4:5]
	v_lshl_add_u64 v[8:9], v[8:9], 0, 32
	s_or_b64 s[0:1], vcc, s[0:1]
	s_waitcnt vmcnt(0)
	v_add_u32_e32 v10, v6, v7
	v_ashrrev_i32_e32 v11, 31, v10
	v_lshl_add_u64 v[10:11], v[10:11], 1, s[2:3]
	global_load_ushort v7, v[10:11], off
	s_waitcnt vmcnt(0)
	global_store_short v[2:3], v7, off
	v_lshl_add_u64 v[2:3], v[2:3], 0, 16
	s_andn2_b64 exec, exec, s[0:1]
	s_cbranch_execnz .LBB82_8
.LBB82_9:
	s_endpgm
	.section	.rodata,"a",@progbits
	.p2align	6, 0x0
	.amdhsa_kernel _ZN9rocsparseL23sddmm_csx_sample_kernelILi512ELi8EL20rocsparse_direction_1EDF16_liDF16_EEvT4_S2_T3_PKT5_S2_PS4_PKS3_PKS2_21rocsparse_index_base_
		.amdhsa_group_segment_fixed_size 0
		.amdhsa_private_segment_fixed_size 0
		.amdhsa_kernarg_size 60
		.amdhsa_user_sgpr_count 2
		.amdhsa_user_sgpr_dispatch_ptr 0
		.amdhsa_user_sgpr_queue_ptr 0
		.amdhsa_user_sgpr_kernarg_segment_ptr 1
		.amdhsa_user_sgpr_dispatch_id 0
		.amdhsa_user_sgpr_kernarg_preload_length 0
		.amdhsa_user_sgpr_kernarg_preload_offset 0
		.amdhsa_user_sgpr_private_segment_size 0
		.amdhsa_uses_dynamic_stack 0
		.amdhsa_enable_private_segment 0
		.amdhsa_system_sgpr_workgroup_id_x 1
		.amdhsa_system_sgpr_workgroup_id_y 0
		.amdhsa_system_sgpr_workgroup_id_z 0
		.amdhsa_system_sgpr_workgroup_info 0
		.amdhsa_system_vgpr_workitem_id 0
		.amdhsa_next_free_vgpr 22
		.amdhsa_next_free_sgpr 11
		.amdhsa_accum_offset 24
		.amdhsa_reserve_vcc 1
		.amdhsa_float_round_mode_32 0
		.amdhsa_float_round_mode_16_64 0
		.amdhsa_float_denorm_mode_32 3
		.amdhsa_float_denorm_mode_16_64 3
		.amdhsa_dx10_clamp 1
		.amdhsa_ieee_mode 1
		.amdhsa_fp16_overflow 0
		.amdhsa_tg_split 0
		.amdhsa_exception_fp_ieee_invalid_op 0
		.amdhsa_exception_fp_denorm_src 0
		.amdhsa_exception_fp_ieee_div_zero 0
		.amdhsa_exception_fp_ieee_overflow 0
		.amdhsa_exception_fp_ieee_underflow 0
		.amdhsa_exception_fp_ieee_inexact 0
		.amdhsa_exception_int_div_zero 0
	.end_amdhsa_kernel
	.section	.text._ZN9rocsparseL23sddmm_csx_sample_kernelILi512ELi8EL20rocsparse_direction_1EDF16_liDF16_EEvT4_S2_T3_PKT5_S2_PS4_PKS3_PKS2_21rocsparse_index_base_,"axG",@progbits,_ZN9rocsparseL23sddmm_csx_sample_kernelILi512ELi8EL20rocsparse_direction_1EDF16_liDF16_EEvT4_S2_T3_PKT5_S2_PS4_PKS3_PKS2_21rocsparse_index_base_,comdat
.Lfunc_end82:
	.size	_ZN9rocsparseL23sddmm_csx_sample_kernelILi512ELi8EL20rocsparse_direction_1EDF16_liDF16_EEvT4_S2_T3_PKT5_S2_PS4_PKS3_PKS2_21rocsparse_index_base_, .Lfunc_end82-_ZN9rocsparseL23sddmm_csx_sample_kernelILi512ELi8EL20rocsparse_direction_1EDF16_liDF16_EEvT4_S2_T3_PKT5_S2_PS4_PKS3_PKS2_21rocsparse_index_base_
                                        ; -- End function
	.set _ZN9rocsparseL23sddmm_csx_sample_kernelILi512ELi8EL20rocsparse_direction_1EDF16_liDF16_EEvT4_S2_T3_PKT5_S2_PS4_PKS3_PKS2_21rocsparse_index_base_.num_vgpr, 22
	.set _ZN9rocsparseL23sddmm_csx_sample_kernelILi512ELi8EL20rocsparse_direction_1EDF16_liDF16_EEvT4_S2_T3_PKT5_S2_PS4_PKS3_PKS2_21rocsparse_index_base_.num_agpr, 0
	.set _ZN9rocsparseL23sddmm_csx_sample_kernelILi512ELi8EL20rocsparse_direction_1EDF16_liDF16_EEvT4_S2_T3_PKT5_S2_PS4_PKS3_PKS2_21rocsparse_index_base_.numbered_sgpr, 11
	.set _ZN9rocsparseL23sddmm_csx_sample_kernelILi512ELi8EL20rocsparse_direction_1EDF16_liDF16_EEvT4_S2_T3_PKT5_S2_PS4_PKS3_PKS2_21rocsparse_index_base_.num_named_barrier, 0
	.set _ZN9rocsparseL23sddmm_csx_sample_kernelILi512ELi8EL20rocsparse_direction_1EDF16_liDF16_EEvT4_S2_T3_PKT5_S2_PS4_PKS3_PKS2_21rocsparse_index_base_.private_seg_size, 0
	.set _ZN9rocsparseL23sddmm_csx_sample_kernelILi512ELi8EL20rocsparse_direction_1EDF16_liDF16_EEvT4_S2_T3_PKT5_S2_PS4_PKS3_PKS2_21rocsparse_index_base_.uses_vcc, 1
	.set _ZN9rocsparseL23sddmm_csx_sample_kernelILi512ELi8EL20rocsparse_direction_1EDF16_liDF16_EEvT4_S2_T3_PKT5_S2_PS4_PKS3_PKS2_21rocsparse_index_base_.uses_flat_scratch, 0
	.set _ZN9rocsparseL23sddmm_csx_sample_kernelILi512ELi8EL20rocsparse_direction_1EDF16_liDF16_EEvT4_S2_T3_PKT5_S2_PS4_PKS3_PKS2_21rocsparse_index_base_.has_dyn_sized_stack, 0
	.set _ZN9rocsparseL23sddmm_csx_sample_kernelILi512ELi8EL20rocsparse_direction_1EDF16_liDF16_EEvT4_S2_T3_PKT5_S2_PS4_PKS3_PKS2_21rocsparse_index_base_.has_recursion, 0
	.set _ZN9rocsparseL23sddmm_csx_sample_kernelILi512ELi8EL20rocsparse_direction_1EDF16_liDF16_EEvT4_S2_T3_PKT5_S2_PS4_PKS3_PKS2_21rocsparse_index_base_.has_indirect_call, 0
	.section	.AMDGPU.csdata,"",@progbits
; Kernel info:
; codeLenInByte = 620
; TotalNumSgprs: 17
; NumVgprs: 22
; NumAgprs: 0
; TotalNumVgprs: 22
; ScratchSize: 0
; MemoryBound: 0
; FloatMode: 240
; IeeeMode: 1
; LDSByteSize: 0 bytes/workgroup (compile time only)
; SGPRBlocks: 2
; VGPRBlocks: 2
; NumSGPRsForWavesPerEU: 17
; NumVGPRsForWavesPerEU: 22
; AccumOffset: 24
; Occupancy: 8
; WaveLimiterHint : 1
; COMPUTE_PGM_RSRC2:SCRATCH_EN: 0
; COMPUTE_PGM_RSRC2:USER_SGPR: 2
; COMPUTE_PGM_RSRC2:TRAP_HANDLER: 0
; COMPUTE_PGM_RSRC2:TGID_X_EN: 1
; COMPUTE_PGM_RSRC2:TGID_Y_EN: 0
; COMPUTE_PGM_RSRC2:TGID_Z_EN: 0
; COMPUTE_PGM_RSRC2:TIDIG_COMP_CNT: 0
; COMPUTE_PGM_RSRC3_GFX90A:ACCUM_OFFSET: 5
; COMPUTE_PGM_RSRC3_GFX90A:TG_SPLIT: 0
	.section	.text._ZN9rocsparseL23sddmm_csx_sample_kernelILi512ELi4EL20rocsparse_direction_1EDF16_liDF16_EEvT4_S2_T3_PKT5_S2_PS4_PKS3_PKS2_21rocsparse_index_base_,"axG",@progbits,_ZN9rocsparseL23sddmm_csx_sample_kernelILi512ELi4EL20rocsparse_direction_1EDF16_liDF16_EEvT4_S2_T3_PKT5_S2_PS4_PKS3_PKS2_21rocsparse_index_base_,comdat
	.globl	_ZN9rocsparseL23sddmm_csx_sample_kernelILi512ELi4EL20rocsparse_direction_1EDF16_liDF16_EEvT4_S2_T3_PKT5_S2_PS4_PKS3_PKS2_21rocsparse_index_base_ ; -- Begin function _ZN9rocsparseL23sddmm_csx_sample_kernelILi512ELi4EL20rocsparse_direction_1EDF16_liDF16_EEvT4_S2_T3_PKT5_S2_PS4_PKS3_PKS2_21rocsparse_index_base_
	.p2align	8
	.type	_ZN9rocsparseL23sddmm_csx_sample_kernelILi512ELi4EL20rocsparse_direction_1EDF16_liDF16_EEvT4_S2_T3_PKT5_S2_PS4_PKS3_PKS2_21rocsparse_index_base_,@function
_ZN9rocsparseL23sddmm_csx_sample_kernelILi512ELi4EL20rocsparse_direction_1EDF16_liDF16_EEvT4_S2_T3_PKT5_S2_PS4_PKS3_PKS2_21rocsparse_index_base_: ; @_ZN9rocsparseL23sddmm_csx_sample_kernelILi512ELi4EL20rocsparse_direction_1EDF16_liDF16_EEvT4_S2_T3_PKT5_S2_PS4_PKS3_PKS2_21rocsparse_index_base_
; %bb.0:
	s_load_dword s3, s[0:1], 0x4
	v_lshrrev_b32_e32 v1, 2, v0
	v_lshl_or_b32 v6, s2, 7, v1
	s_waitcnt lgkmcnt(0)
	v_cmp_gt_u32_e32 vcc, s3, v6
	s_and_saveexec_b64 s[2:3], vcc
	s_cbranch_execz .LBB83_9
; %bb.1:
	s_load_dwordx2 s[2:3], s[0:1], 0x28
	s_load_dword s8, s[0:1], 0x38
	v_mov_b32_e32 v7, 0
	v_and_b32_e32 v8, 3, v0
	s_mov_b32 s9, 0
	s_waitcnt lgkmcnt(0)
	v_lshl_add_u64 v[2:3], v[6:7], 3, s[2:3]
	global_load_dwordx4 v[2:5], v[2:3], off
	v_subrev_co_u32_e32 v0, vcc, s8, v8
	v_mov_b32_e32 v9, v7
	s_nop 0
	v_subb_co_u32_e64 v1, s[2:3], 0, 0, vcc
	s_waitcnt vmcnt(0)
	v_subrev_co_u32_e32 v4, vcc, s8, v4
	v_lshl_add_u64 v[0:1], v[0:1], 0, v[2:3]
	s_nop 0
	v_subbrev_co_u32_e32 v5, vcc, 0, v5, vcc
	v_cmp_lt_i64_e32 vcc, v[0:1], v[4:5]
	s_and_b64 exec, exec, vcc
	s_cbranch_execz .LBB83_9
; %bb.2:
	v_lshl_add_u64 v[10:11], v[2:3], 0, v[8:9]
	v_subrev_co_u32_e32 v10, vcc, s8, v10
	s_load_dwordx2 s[4:5], s[0:1], 0x30
	s_load_dword s10, s[0:1], 0x18
	s_load_dwordx2 s[6:7], s[0:1], 0x20
	s_load_dwordx2 s[2:3], s[0:1], 0x10
	v_subbrev_co_u32_e32 v11, vcc, 0, v11, vcc
	v_lshl_add_u64 v[10:11], v[10:11], 0, 4
	v_cmp_gt_i64_e32 vcc, v[10:11], v[4:5]
	v_not_b32_e32 v3, v3
	v_not_b32_e32 v2, v2
	v_cndmask_b32_e32 v11, v5, v11, vcc
	v_cndmask_b32_e32 v10, v4, v10, vcc
	v_lshl_add_u64 v[10:11], v[10:11], 0, s[8:9]
	v_lshl_add_u64 v[2:3], v[10:11], 0, v[2:3]
	v_sub_co_u32_e32 v2, vcc, v2, v8
	s_waitcnt lgkmcnt(0)
	v_mul_lo_u32 v6, s10, v6
	v_subbrev_co_u32_e32 v3, vcc, 0, v3, vcc
	v_subrev_u32_e32 v6, s8, v6
	v_cmp_lt_u64_e32 vcc, 3, v[2:3]
	s_mov_b64 s[8:9], -1
	s_and_saveexec_b64 s[0:1], vcc
	s_cbranch_execz .LBB83_6
; %bb.3:
	v_lshrrev_b64 v[2:3], 2, v[2:3]
	v_lshl_add_u64 v[2:3], v[2:3], 0, 1
	v_and_b32_e32 v8, -2, v2
	v_mov_b32_e32 v9, v3
	v_lshl_add_u64 v[10:11], v[0:1], 2, s[4:5]
	v_lshl_add_u64 v[12:13], v[0:1], 1, s[6:7]
	v_mov_b32_e32 v7, v6
	v_lshl_add_u64 v[10:11], v[10:11], 0, 16
	v_lshl_add_u64 v[12:13], v[12:13], 0, 8
	s_mov_b64 s[8:9], 0
	v_mov_b64_e32 v[14:15], v[8:9]
.LBB83_4:                               ; =>This Inner Loop Header: Depth=1
	global_load_dword v16, v[10:11], off offset:-16
	global_load_dword v17, v[10:11], off
	v_lshl_add_u64 v[14:15], v[14:15], 0, -2
	v_cmp_eq_u64_e32 vcc, 0, v[14:15]
	v_lshl_add_u64 v[10:11], v[10:11], 0, 32
	s_or_b64 s[8:9], vcc, s[8:9]
	s_waitcnt vmcnt(1)
	v_add_u32_e32 v16, v6, v16
	s_waitcnt vmcnt(0)
	v_add_u32_e32 v18, v7, v17
	v_ashrrev_i32_e32 v17, 31, v16
	v_ashrrev_i32_e32 v19, 31, v18
	v_lshl_add_u64 v[16:17], v[16:17], 1, s[2:3]
	v_lshl_add_u64 v[18:19], v[18:19], 1, s[2:3]
	global_load_ushort v20, v[16:17], off
	global_load_ushort v21, v[18:19], off
	s_waitcnt vmcnt(1)
	global_store_short v[12:13], v20, off offset:-8
	s_waitcnt vmcnt(1)
	global_store_short v[12:13], v21, off
	v_lshl_add_u64 v[12:13], v[12:13], 0, 16
	s_andn2_b64 exec, exec, s[8:9]
	s_cbranch_execnz .LBB83_4
; %bb.5:
	s_or_b64 exec, exec, s[8:9]
	v_cmp_ne_u64_e32 vcc, v[2:3], v[8:9]
	v_lshl_add_u64 v[0:1], v[8:9], 2, v[0:1]
	s_orn2_b64 s[8:9], vcc, exec
.LBB83_6:
	s_or_b64 exec, exec, s[0:1]
	s_and_b64 exec, exec, s[8:9]
	s_cbranch_execz .LBB83_9
; %bb.7:
	v_lshl_add_u64 v[2:3], v[0:1], 1, s[6:7]
	v_lshl_add_u64 v[8:9], v[0:1], 2, s[4:5]
	s_mov_b64 s[0:1], 0
.LBB83_8:                               ; =>This Inner Loop Header: Depth=1
	global_load_dword v7, v[8:9], off
	v_lshl_add_u64 v[0:1], v[0:1], 0, 4
	v_cmp_ge_i64_e32 vcc, v[0:1], v[4:5]
	v_lshl_add_u64 v[8:9], v[8:9], 0, 16
	s_or_b64 s[0:1], vcc, s[0:1]
	s_waitcnt vmcnt(0)
	v_add_u32_e32 v10, v6, v7
	v_ashrrev_i32_e32 v11, 31, v10
	v_lshl_add_u64 v[10:11], v[10:11], 1, s[2:3]
	global_load_ushort v7, v[10:11], off
	s_waitcnt vmcnt(0)
	global_store_short v[2:3], v7, off
	v_lshl_add_u64 v[2:3], v[2:3], 0, 8
	s_andn2_b64 exec, exec, s[0:1]
	s_cbranch_execnz .LBB83_8
.LBB83_9:
	s_endpgm
	.section	.rodata,"a",@progbits
	.p2align	6, 0x0
	.amdhsa_kernel _ZN9rocsparseL23sddmm_csx_sample_kernelILi512ELi4EL20rocsparse_direction_1EDF16_liDF16_EEvT4_S2_T3_PKT5_S2_PS4_PKS3_PKS2_21rocsparse_index_base_
		.amdhsa_group_segment_fixed_size 0
		.amdhsa_private_segment_fixed_size 0
		.amdhsa_kernarg_size 60
		.amdhsa_user_sgpr_count 2
		.amdhsa_user_sgpr_dispatch_ptr 0
		.amdhsa_user_sgpr_queue_ptr 0
		.amdhsa_user_sgpr_kernarg_segment_ptr 1
		.amdhsa_user_sgpr_dispatch_id 0
		.amdhsa_user_sgpr_kernarg_preload_length 0
		.amdhsa_user_sgpr_kernarg_preload_offset 0
		.amdhsa_user_sgpr_private_segment_size 0
		.amdhsa_uses_dynamic_stack 0
		.amdhsa_enable_private_segment 0
		.amdhsa_system_sgpr_workgroup_id_x 1
		.amdhsa_system_sgpr_workgroup_id_y 0
		.amdhsa_system_sgpr_workgroup_id_z 0
		.amdhsa_system_sgpr_workgroup_info 0
		.amdhsa_system_vgpr_workitem_id 0
		.amdhsa_next_free_vgpr 22
		.amdhsa_next_free_sgpr 11
		.amdhsa_accum_offset 24
		.amdhsa_reserve_vcc 1
		.amdhsa_float_round_mode_32 0
		.amdhsa_float_round_mode_16_64 0
		.amdhsa_float_denorm_mode_32 3
		.amdhsa_float_denorm_mode_16_64 3
		.amdhsa_dx10_clamp 1
		.amdhsa_ieee_mode 1
		.amdhsa_fp16_overflow 0
		.amdhsa_tg_split 0
		.amdhsa_exception_fp_ieee_invalid_op 0
		.amdhsa_exception_fp_denorm_src 0
		.amdhsa_exception_fp_ieee_div_zero 0
		.amdhsa_exception_fp_ieee_overflow 0
		.amdhsa_exception_fp_ieee_underflow 0
		.amdhsa_exception_fp_ieee_inexact 0
		.amdhsa_exception_int_div_zero 0
	.end_amdhsa_kernel
	.section	.text._ZN9rocsparseL23sddmm_csx_sample_kernelILi512ELi4EL20rocsparse_direction_1EDF16_liDF16_EEvT4_S2_T3_PKT5_S2_PS4_PKS3_PKS2_21rocsparse_index_base_,"axG",@progbits,_ZN9rocsparseL23sddmm_csx_sample_kernelILi512ELi4EL20rocsparse_direction_1EDF16_liDF16_EEvT4_S2_T3_PKT5_S2_PS4_PKS3_PKS2_21rocsparse_index_base_,comdat
.Lfunc_end83:
	.size	_ZN9rocsparseL23sddmm_csx_sample_kernelILi512ELi4EL20rocsparse_direction_1EDF16_liDF16_EEvT4_S2_T3_PKT5_S2_PS4_PKS3_PKS2_21rocsparse_index_base_, .Lfunc_end83-_ZN9rocsparseL23sddmm_csx_sample_kernelILi512ELi4EL20rocsparse_direction_1EDF16_liDF16_EEvT4_S2_T3_PKT5_S2_PS4_PKS3_PKS2_21rocsparse_index_base_
                                        ; -- End function
	.set _ZN9rocsparseL23sddmm_csx_sample_kernelILi512ELi4EL20rocsparse_direction_1EDF16_liDF16_EEvT4_S2_T3_PKT5_S2_PS4_PKS3_PKS2_21rocsparse_index_base_.num_vgpr, 22
	.set _ZN9rocsparseL23sddmm_csx_sample_kernelILi512ELi4EL20rocsparse_direction_1EDF16_liDF16_EEvT4_S2_T3_PKT5_S2_PS4_PKS3_PKS2_21rocsparse_index_base_.num_agpr, 0
	.set _ZN9rocsparseL23sddmm_csx_sample_kernelILi512ELi4EL20rocsparse_direction_1EDF16_liDF16_EEvT4_S2_T3_PKT5_S2_PS4_PKS3_PKS2_21rocsparse_index_base_.numbered_sgpr, 11
	.set _ZN9rocsparseL23sddmm_csx_sample_kernelILi512ELi4EL20rocsparse_direction_1EDF16_liDF16_EEvT4_S2_T3_PKT5_S2_PS4_PKS3_PKS2_21rocsparse_index_base_.num_named_barrier, 0
	.set _ZN9rocsparseL23sddmm_csx_sample_kernelILi512ELi4EL20rocsparse_direction_1EDF16_liDF16_EEvT4_S2_T3_PKT5_S2_PS4_PKS3_PKS2_21rocsparse_index_base_.private_seg_size, 0
	.set _ZN9rocsparseL23sddmm_csx_sample_kernelILi512ELi4EL20rocsparse_direction_1EDF16_liDF16_EEvT4_S2_T3_PKT5_S2_PS4_PKS3_PKS2_21rocsparse_index_base_.uses_vcc, 1
	.set _ZN9rocsparseL23sddmm_csx_sample_kernelILi512ELi4EL20rocsparse_direction_1EDF16_liDF16_EEvT4_S2_T3_PKT5_S2_PS4_PKS3_PKS2_21rocsparse_index_base_.uses_flat_scratch, 0
	.set _ZN9rocsparseL23sddmm_csx_sample_kernelILi512ELi4EL20rocsparse_direction_1EDF16_liDF16_EEvT4_S2_T3_PKT5_S2_PS4_PKS3_PKS2_21rocsparse_index_base_.has_dyn_sized_stack, 0
	.set _ZN9rocsparseL23sddmm_csx_sample_kernelILi512ELi4EL20rocsparse_direction_1EDF16_liDF16_EEvT4_S2_T3_PKT5_S2_PS4_PKS3_PKS2_21rocsparse_index_base_.has_recursion, 0
	.set _ZN9rocsparseL23sddmm_csx_sample_kernelILi512ELi4EL20rocsparse_direction_1EDF16_liDF16_EEvT4_S2_T3_PKT5_S2_PS4_PKS3_PKS2_21rocsparse_index_base_.has_indirect_call, 0
	.section	.AMDGPU.csdata,"",@progbits
; Kernel info:
; codeLenInByte = 620
; TotalNumSgprs: 17
; NumVgprs: 22
; NumAgprs: 0
; TotalNumVgprs: 22
; ScratchSize: 0
; MemoryBound: 0
; FloatMode: 240
; IeeeMode: 1
; LDSByteSize: 0 bytes/workgroup (compile time only)
; SGPRBlocks: 2
; VGPRBlocks: 2
; NumSGPRsForWavesPerEU: 17
; NumVGPRsForWavesPerEU: 22
; AccumOffset: 24
; Occupancy: 8
; WaveLimiterHint : 1
; COMPUTE_PGM_RSRC2:SCRATCH_EN: 0
; COMPUTE_PGM_RSRC2:USER_SGPR: 2
; COMPUTE_PGM_RSRC2:TRAP_HANDLER: 0
; COMPUTE_PGM_RSRC2:TGID_X_EN: 1
; COMPUTE_PGM_RSRC2:TGID_Y_EN: 0
; COMPUTE_PGM_RSRC2:TGID_Z_EN: 0
; COMPUTE_PGM_RSRC2:TIDIG_COMP_CNT: 0
; COMPUTE_PGM_RSRC3_GFX90A:ACCUM_OFFSET: 5
; COMPUTE_PGM_RSRC3_GFX90A:TG_SPLIT: 0
	.section	.text._ZN9rocsparseL23sddmm_csx_sample_kernelILi512ELi2EL20rocsparse_direction_1EDF16_liDF16_EEvT4_S2_T3_PKT5_S2_PS4_PKS3_PKS2_21rocsparse_index_base_,"axG",@progbits,_ZN9rocsparseL23sddmm_csx_sample_kernelILi512ELi2EL20rocsparse_direction_1EDF16_liDF16_EEvT4_S2_T3_PKT5_S2_PS4_PKS3_PKS2_21rocsparse_index_base_,comdat
	.globl	_ZN9rocsparseL23sddmm_csx_sample_kernelILi512ELi2EL20rocsparse_direction_1EDF16_liDF16_EEvT4_S2_T3_PKT5_S2_PS4_PKS3_PKS2_21rocsparse_index_base_ ; -- Begin function _ZN9rocsparseL23sddmm_csx_sample_kernelILi512ELi2EL20rocsparse_direction_1EDF16_liDF16_EEvT4_S2_T3_PKT5_S2_PS4_PKS3_PKS2_21rocsparse_index_base_
	.p2align	8
	.type	_ZN9rocsparseL23sddmm_csx_sample_kernelILi512ELi2EL20rocsparse_direction_1EDF16_liDF16_EEvT4_S2_T3_PKT5_S2_PS4_PKS3_PKS2_21rocsparse_index_base_,@function
_ZN9rocsparseL23sddmm_csx_sample_kernelILi512ELi2EL20rocsparse_direction_1EDF16_liDF16_EEvT4_S2_T3_PKT5_S2_PS4_PKS3_PKS2_21rocsparse_index_base_: ; @_ZN9rocsparseL23sddmm_csx_sample_kernelILi512ELi2EL20rocsparse_direction_1EDF16_liDF16_EEvT4_S2_T3_PKT5_S2_PS4_PKS3_PKS2_21rocsparse_index_base_
; %bb.0:
	s_load_dword s3, s[0:1], 0x4
	v_lshrrev_b32_e32 v1, 1, v0
	v_lshl_or_b32 v6, s2, 8, v1
	s_waitcnt lgkmcnt(0)
	v_cmp_gt_u32_e32 vcc, s3, v6
	s_and_saveexec_b64 s[2:3], vcc
	s_cbranch_execz .LBB84_9
; %bb.1:
	s_load_dwordx2 s[2:3], s[0:1], 0x28
	s_load_dword s8, s[0:1], 0x38
	v_mov_b32_e32 v7, 0
	v_and_b32_e32 v8, 1, v0
	s_mov_b32 s9, 0
	s_waitcnt lgkmcnt(0)
	v_lshl_add_u64 v[2:3], v[6:7], 3, s[2:3]
	global_load_dwordx4 v[2:5], v[2:3], off
	v_subrev_co_u32_e32 v0, vcc, s8, v8
	v_mov_b32_e32 v9, v7
	s_nop 0
	v_subb_co_u32_e64 v1, s[2:3], 0, 0, vcc
	s_waitcnt vmcnt(0)
	v_subrev_co_u32_e32 v4, vcc, s8, v4
	v_lshl_add_u64 v[0:1], v[0:1], 0, v[2:3]
	s_nop 0
	v_subbrev_co_u32_e32 v5, vcc, 0, v5, vcc
	v_cmp_lt_i64_e32 vcc, v[0:1], v[4:5]
	s_and_b64 exec, exec, vcc
	s_cbranch_execz .LBB84_9
; %bb.2:
	v_lshl_add_u64 v[10:11], v[2:3], 0, v[8:9]
	v_subrev_co_u32_e32 v10, vcc, s8, v10
	s_load_dwordx2 s[4:5], s[0:1], 0x30
	s_load_dword s10, s[0:1], 0x18
	s_load_dwordx2 s[6:7], s[0:1], 0x20
	s_load_dwordx2 s[2:3], s[0:1], 0x10
	v_subbrev_co_u32_e32 v11, vcc, 0, v11, vcc
	v_lshl_add_u64 v[10:11], v[10:11], 0, 2
	v_cmp_gt_i64_e32 vcc, v[10:11], v[4:5]
	v_not_b32_e32 v3, v3
	v_not_b32_e32 v2, v2
	v_cndmask_b32_e32 v11, v5, v11, vcc
	v_cndmask_b32_e32 v10, v4, v10, vcc
	v_lshl_add_u64 v[10:11], v[10:11], 0, s[8:9]
	v_lshl_add_u64 v[2:3], v[10:11], 0, v[2:3]
	v_sub_co_u32_e32 v2, vcc, v2, v8
	s_waitcnt lgkmcnt(0)
	v_mul_lo_u32 v6, s10, v6
	v_subbrev_co_u32_e32 v3, vcc, 0, v3, vcc
	v_subrev_u32_e32 v6, s8, v6
	v_cmp_lt_u64_e32 vcc, 1, v[2:3]
	s_mov_b64 s[8:9], -1
	s_and_saveexec_b64 s[0:1], vcc
	s_cbranch_execz .LBB84_6
; %bb.3:
	v_lshrrev_b64 v[2:3], 1, v[2:3]
	v_lshl_add_u64 v[2:3], v[2:3], 0, 1
	v_and_b32_e32 v8, -2, v2
	v_mov_b32_e32 v9, v3
	v_lshl_add_u64 v[10:11], v[0:1], 2, s[4:5]
	v_lshl_add_u64 v[12:13], v[0:1], 1, s[6:7]
	v_mov_b32_e32 v7, v6
	v_lshl_add_u64 v[10:11], v[10:11], 0, 8
	v_lshl_add_u64 v[12:13], v[12:13], 0, 4
	s_mov_b64 s[8:9], 0
	v_mov_b64_e32 v[14:15], v[8:9]
.LBB84_4:                               ; =>This Inner Loop Header: Depth=1
	global_load_dword v16, v[10:11], off offset:-8
	global_load_dword v17, v[10:11], off
	v_lshl_add_u64 v[14:15], v[14:15], 0, -2
	v_cmp_eq_u64_e32 vcc, 0, v[14:15]
	v_lshl_add_u64 v[10:11], v[10:11], 0, 16
	s_or_b64 s[8:9], vcc, s[8:9]
	s_waitcnt vmcnt(1)
	v_add_u32_e32 v16, v6, v16
	s_waitcnt vmcnt(0)
	v_add_u32_e32 v18, v7, v17
	v_ashrrev_i32_e32 v17, 31, v16
	v_ashrrev_i32_e32 v19, 31, v18
	v_lshl_add_u64 v[16:17], v[16:17], 1, s[2:3]
	v_lshl_add_u64 v[18:19], v[18:19], 1, s[2:3]
	global_load_ushort v20, v[16:17], off
	global_load_ushort v21, v[18:19], off
	s_waitcnt vmcnt(1)
	global_store_short v[12:13], v20, off offset:-4
	s_waitcnt vmcnt(1)
	global_store_short v[12:13], v21, off
	v_lshl_add_u64 v[12:13], v[12:13], 0, 8
	s_andn2_b64 exec, exec, s[8:9]
	s_cbranch_execnz .LBB84_4
; %bb.5:
	s_or_b64 exec, exec, s[8:9]
	v_cmp_ne_u64_e32 vcc, v[2:3], v[8:9]
	v_lshl_add_u64 v[0:1], v[8:9], 1, v[0:1]
	s_orn2_b64 s[8:9], vcc, exec
.LBB84_6:
	s_or_b64 exec, exec, s[0:1]
	s_and_b64 exec, exec, s[8:9]
	s_cbranch_execz .LBB84_9
; %bb.7:
	v_lshl_add_u64 v[2:3], v[0:1], 1, s[6:7]
	v_lshl_add_u64 v[8:9], v[0:1], 2, s[4:5]
	s_mov_b64 s[0:1], 0
.LBB84_8:                               ; =>This Inner Loop Header: Depth=1
	global_load_dword v7, v[8:9], off
	v_lshl_add_u64 v[0:1], v[0:1], 0, 2
	v_cmp_ge_i64_e32 vcc, v[0:1], v[4:5]
	v_lshl_add_u64 v[8:9], v[8:9], 0, 8
	s_or_b64 s[0:1], vcc, s[0:1]
	s_waitcnt vmcnt(0)
	v_add_u32_e32 v10, v6, v7
	v_ashrrev_i32_e32 v11, 31, v10
	v_lshl_add_u64 v[10:11], v[10:11], 1, s[2:3]
	global_load_ushort v7, v[10:11], off
	s_waitcnt vmcnt(0)
	global_store_short v[2:3], v7, off
	v_lshl_add_u64 v[2:3], v[2:3], 0, 4
	s_andn2_b64 exec, exec, s[0:1]
	s_cbranch_execnz .LBB84_8
.LBB84_9:
	s_endpgm
	.section	.rodata,"a",@progbits
	.p2align	6, 0x0
	.amdhsa_kernel _ZN9rocsparseL23sddmm_csx_sample_kernelILi512ELi2EL20rocsparse_direction_1EDF16_liDF16_EEvT4_S2_T3_PKT5_S2_PS4_PKS3_PKS2_21rocsparse_index_base_
		.amdhsa_group_segment_fixed_size 0
		.amdhsa_private_segment_fixed_size 0
		.amdhsa_kernarg_size 60
		.amdhsa_user_sgpr_count 2
		.amdhsa_user_sgpr_dispatch_ptr 0
		.amdhsa_user_sgpr_queue_ptr 0
		.amdhsa_user_sgpr_kernarg_segment_ptr 1
		.amdhsa_user_sgpr_dispatch_id 0
		.amdhsa_user_sgpr_kernarg_preload_length 0
		.amdhsa_user_sgpr_kernarg_preload_offset 0
		.amdhsa_user_sgpr_private_segment_size 0
		.amdhsa_uses_dynamic_stack 0
		.amdhsa_enable_private_segment 0
		.amdhsa_system_sgpr_workgroup_id_x 1
		.amdhsa_system_sgpr_workgroup_id_y 0
		.amdhsa_system_sgpr_workgroup_id_z 0
		.amdhsa_system_sgpr_workgroup_info 0
		.amdhsa_system_vgpr_workitem_id 0
		.amdhsa_next_free_vgpr 22
		.amdhsa_next_free_sgpr 11
		.amdhsa_accum_offset 24
		.amdhsa_reserve_vcc 1
		.amdhsa_float_round_mode_32 0
		.amdhsa_float_round_mode_16_64 0
		.amdhsa_float_denorm_mode_32 3
		.amdhsa_float_denorm_mode_16_64 3
		.amdhsa_dx10_clamp 1
		.amdhsa_ieee_mode 1
		.amdhsa_fp16_overflow 0
		.amdhsa_tg_split 0
		.amdhsa_exception_fp_ieee_invalid_op 0
		.amdhsa_exception_fp_denorm_src 0
		.amdhsa_exception_fp_ieee_div_zero 0
		.amdhsa_exception_fp_ieee_overflow 0
		.amdhsa_exception_fp_ieee_underflow 0
		.amdhsa_exception_fp_ieee_inexact 0
		.amdhsa_exception_int_div_zero 0
	.end_amdhsa_kernel
	.section	.text._ZN9rocsparseL23sddmm_csx_sample_kernelILi512ELi2EL20rocsparse_direction_1EDF16_liDF16_EEvT4_S2_T3_PKT5_S2_PS4_PKS3_PKS2_21rocsparse_index_base_,"axG",@progbits,_ZN9rocsparseL23sddmm_csx_sample_kernelILi512ELi2EL20rocsparse_direction_1EDF16_liDF16_EEvT4_S2_T3_PKT5_S2_PS4_PKS3_PKS2_21rocsparse_index_base_,comdat
.Lfunc_end84:
	.size	_ZN9rocsparseL23sddmm_csx_sample_kernelILi512ELi2EL20rocsparse_direction_1EDF16_liDF16_EEvT4_S2_T3_PKT5_S2_PS4_PKS3_PKS2_21rocsparse_index_base_, .Lfunc_end84-_ZN9rocsparseL23sddmm_csx_sample_kernelILi512ELi2EL20rocsparse_direction_1EDF16_liDF16_EEvT4_S2_T3_PKT5_S2_PS4_PKS3_PKS2_21rocsparse_index_base_
                                        ; -- End function
	.set _ZN9rocsparseL23sddmm_csx_sample_kernelILi512ELi2EL20rocsparse_direction_1EDF16_liDF16_EEvT4_S2_T3_PKT5_S2_PS4_PKS3_PKS2_21rocsparse_index_base_.num_vgpr, 22
	.set _ZN9rocsparseL23sddmm_csx_sample_kernelILi512ELi2EL20rocsparse_direction_1EDF16_liDF16_EEvT4_S2_T3_PKT5_S2_PS4_PKS3_PKS2_21rocsparse_index_base_.num_agpr, 0
	.set _ZN9rocsparseL23sddmm_csx_sample_kernelILi512ELi2EL20rocsparse_direction_1EDF16_liDF16_EEvT4_S2_T3_PKT5_S2_PS4_PKS3_PKS2_21rocsparse_index_base_.numbered_sgpr, 11
	.set _ZN9rocsparseL23sddmm_csx_sample_kernelILi512ELi2EL20rocsparse_direction_1EDF16_liDF16_EEvT4_S2_T3_PKT5_S2_PS4_PKS3_PKS2_21rocsparse_index_base_.num_named_barrier, 0
	.set _ZN9rocsparseL23sddmm_csx_sample_kernelILi512ELi2EL20rocsparse_direction_1EDF16_liDF16_EEvT4_S2_T3_PKT5_S2_PS4_PKS3_PKS2_21rocsparse_index_base_.private_seg_size, 0
	.set _ZN9rocsparseL23sddmm_csx_sample_kernelILi512ELi2EL20rocsparse_direction_1EDF16_liDF16_EEvT4_S2_T3_PKT5_S2_PS4_PKS3_PKS2_21rocsparse_index_base_.uses_vcc, 1
	.set _ZN9rocsparseL23sddmm_csx_sample_kernelILi512ELi2EL20rocsparse_direction_1EDF16_liDF16_EEvT4_S2_T3_PKT5_S2_PS4_PKS3_PKS2_21rocsparse_index_base_.uses_flat_scratch, 0
	.set _ZN9rocsparseL23sddmm_csx_sample_kernelILi512ELi2EL20rocsparse_direction_1EDF16_liDF16_EEvT4_S2_T3_PKT5_S2_PS4_PKS3_PKS2_21rocsparse_index_base_.has_dyn_sized_stack, 0
	.set _ZN9rocsparseL23sddmm_csx_sample_kernelILi512ELi2EL20rocsparse_direction_1EDF16_liDF16_EEvT4_S2_T3_PKT5_S2_PS4_PKS3_PKS2_21rocsparse_index_base_.has_recursion, 0
	.set _ZN9rocsparseL23sddmm_csx_sample_kernelILi512ELi2EL20rocsparse_direction_1EDF16_liDF16_EEvT4_S2_T3_PKT5_S2_PS4_PKS3_PKS2_21rocsparse_index_base_.has_indirect_call, 0
	.section	.AMDGPU.csdata,"",@progbits
; Kernel info:
; codeLenInByte = 620
; TotalNumSgprs: 17
; NumVgprs: 22
; NumAgprs: 0
; TotalNumVgprs: 22
; ScratchSize: 0
; MemoryBound: 0
; FloatMode: 240
; IeeeMode: 1
; LDSByteSize: 0 bytes/workgroup (compile time only)
; SGPRBlocks: 2
; VGPRBlocks: 2
; NumSGPRsForWavesPerEU: 17
; NumVGPRsForWavesPerEU: 22
; AccumOffset: 24
; Occupancy: 8
; WaveLimiterHint : 1
; COMPUTE_PGM_RSRC2:SCRATCH_EN: 0
; COMPUTE_PGM_RSRC2:USER_SGPR: 2
; COMPUTE_PGM_RSRC2:TRAP_HANDLER: 0
; COMPUTE_PGM_RSRC2:TGID_X_EN: 1
; COMPUTE_PGM_RSRC2:TGID_Y_EN: 0
; COMPUTE_PGM_RSRC2:TGID_Z_EN: 0
; COMPUTE_PGM_RSRC2:TIDIG_COMP_CNT: 0
; COMPUTE_PGM_RSRC3_GFX90A:ACCUM_OFFSET: 5
; COMPUTE_PGM_RSRC3_GFX90A:TG_SPLIT: 0
	.section	.text._ZN9rocsparseL23sddmm_csx_sample_kernelILi512ELi1EL20rocsparse_direction_1EDF16_liDF16_EEvT4_S2_T3_PKT5_S2_PS4_PKS3_PKS2_21rocsparse_index_base_,"axG",@progbits,_ZN9rocsparseL23sddmm_csx_sample_kernelILi512ELi1EL20rocsparse_direction_1EDF16_liDF16_EEvT4_S2_T3_PKT5_S2_PS4_PKS3_PKS2_21rocsparse_index_base_,comdat
	.globl	_ZN9rocsparseL23sddmm_csx_sample_kernelILi512ELi1EL20rocsparse_direction_1EDF16_liDF16_EEvT4_S2_T3_PKT5_S2_PS4_PKS3_PKS2_21rocsparse_index_base_ ; -- Begin function _ZN9rocsparseL23sddmm_csx_sample_kernelILi512ELi1EL20rocsparse_direction_1EDF16_liDF16_EEvT4_S2_T3_PKT5_S2_PS4_PKS3_PKS2_21rocsparse_index_base_
	.p2align	8
	.type	_ZN9rocsparseL23sddmm_csx_sample_kernelILi512ELi1EL20rocsparse_direction_1EDF16_liDF16_EEvT4_S2_T3_PKT5_S2_PS4_PKS3_PKS2_21rocsparse_index_base_,@function
_ZN9rocsparseL23sddmm_csx_sample_kernelILi512ELi1EL20rocsparse_direction_1EDF16_liDF16_EEvT4_S2_T3_PKT5_S2_PS4_PKS3_PKS2_21rocsparse_index_base_: ; @_ZN9rocsparseL23sddmm_csx_sample_kernelILi512ELi1EL20rocsparse_direction_1EDF16_liDF16_EEvT4_S2_T3_PKT5_S2_PS4_PKS3_PKS2_21rocsparse_index_base_
; %bb.0:
	s_load_dword s3, s[0:1], 0x4
	v_lshl_or_b32 v6, s2, 9, v0
	s_waitcnt lgkmcnt(0)
	v_cmp_gt_u32_e32 vcc, s3, v6
	s_and_saveexec_b64 s[2:3], vcc
	s_cbranch_execz .LBB85_9
; %bb.1:
	s_load_dwordx2 s[2:3], s[0:1], 0x28
	v_mov_b32_e32 v7, 0
	s_waitcnt lgkmcnt(0)
	v_lshl_add_u64 v[0:1], v[6:7], 3, s[2:3]
	global_load_dwordx4 v[0:3], v[0:1], off
	s_waitcnt vmcnt(0)
	v_cmp_lt_i64_e32 vcc, v[0:1], v[2:3]
	s_and_b64 exec, exec, vcc
	s_cbranch_execz .LBB85_9
; %bb.2:
	s_load_dword s8, s[0:1], 0x38
	s_load_dwordx2 s[2:3], s[0:1], 0x10
	s_load_dwordx2 s[4:5], s[0:1], 0x20
	;; [unrolled: 1-line block ×3, first 2 shown]
	s_load_dword s10, s[0:1], 0x18
	s_waitcnt lgkmcnt(0)
	v_subrev_co_u32_e32 v2, vcc, s8, v2
	s_mov_b32 s9, 0
	s_nop 0
	v_subbrev_co_u32_e32 v3, vcc, 0, v3, vcc
	v_subrev_co_u32_e32 v4, vcc, s8, v0
	v_mul_lo_u32 v6, s10, v6
	s_nop 0
	v_subbrev_co_u32_e32 v5, vcc, 0, v1, vcc
	v_lshl_add_u64 v[8:9], v[4:5], 0, 1
	v_cmp_gt_i64_e32 vcc, v[8:9], v[2:3]
	v_subrev_u32_e32 v6, s8, v6
	s_mov_b64 s[10:11], -1
	v_cndmask_b32_e32 v9, v3, v9, vcc
	v_cndmask_b32_e32 v8, v2, v8, vcc
	v_lshl_add_u64 v[8:9], v[8:9], 0, s[8:9]
	v_sub_co_u32_e32 v8, vcc, v8, v0
	s_nop 1
	v_subb_co_u32_e32 v9, vcc, v9, v1, vcc
	v_cmp_lt_u64_e32 vcc, 1, v[8:9]
	s_and_saveexec_b64 s[0:1], vcc
	s_cbranch_execz .LBB85_6
; %bb.3:
	v_lshlrev_b64 v[12:13], 1, v[0:1]
	s_lshl_b64 s[10:11], s[8:9], 1
	v_mov_b32_e32 v14, s11
	v_subrev_co_u32_e32 v12, vcc, s10, v12
	v_lshlrev_b64 v[0:1], 2, v[0:1]
	s_nop 0
	v_subb_co_u32_e32 v13, vcc, v13, v14, vcc
	s_lshl_b64 s[8:9], s[8:9], 2
	v_mov_b32_e32 v14, s9
	v_subrev_co_u32_e32 v0, vcc, s8, v0
	v_and_b32_e32 v10, -2, v8
	v_mov_b32_e32 v11, v9
	v_subb_co_u32_e32 v1, vcc, v1, v14, vcc
	v_mov_b32_e32 v7, v6
	v_lshl_add_u64 v[12:13], s[4:5], 0, v[12:13]
	v_lshl_add_u64 v[0:1], s[6:7], 0, v[0:1]
	s_mov_b64 s[8:9], 0
	s_mov_b32 s10, 0x5040100
	v_mov_b64_e32 v[14:15], v[10:11]
.LBB85_4:                               ; =>This Inner Loop Header: Depth=1
	global_load_dwordx2 v[16:17], v[0:1], off
	v_lshl_add_u64 v[14:15], v[14:15], 0, -2
	v_cmp_eq_u64_e32 vcc, 0, v[14:15]
	v_lshl_add_u64 v[0:1], v[0:1], 0, 8
	s_or_b64 s[8:9], vcc, s[8:9]
	s_waitcnt vmcnt(0)
	v_add_u32_e32 v16, v6, v16
	v_add_u32_e32 v18, v7, v17
	v_ashrrev_i32_e32 v17, 31, v16
	v_ashrrev_i32_e32 v19, 31, v18
	v_lshl_add_u64 v[16:17], v[16:17], 1, s[2:3]
	v_lshl_add_u64 v[18:19], v[18:19], 1, s[2:3]
	global_load_ushort v20, v[16:17], off
	global_load_ushort v21, v[18:19], off
	s_waitcnt vmcnt(0)
	v_perm_b32 v16, v21, v20, s10
	global_store_dword v[12:13], v16, off
	v_lshl_add_u64 v[12:13], v[12:13], 0, 4
	s_andn2_b64 exec, exec, s[8:9]
	s_cbranch_execnz .LBB85_4
; %bb.5:
	s_or_b64 exec, exec, s[8:9]
	v_cmp_ne_u64_e32 vcc, v[8:9], v[10:11]
	v_lshl_add_u64 v[4:5], v[4:5], 0, v[10:11]
	s_orn2_b64 s[10:11], vcc, exec
.LBB85_6:
	s_or_b64 exec, exec, s[0:1]
	s_and_b64 exec, exec, s[10:11]
	s_cbranch_execz .LBB85_9
; %bb.7:
	v_lshl_add_u64 v[0:1], v[4:5], 1, s[4:5]
	v_lshl_add_u64 v[8:9], v[4:5], 2, s[6:7]
	s_mov_b64 s[0:1], 0
.LBB85_8:                               ; =>This Inner Loop Header: Depth=1
	global_load_dword v7, v[8:9], off
	v_lshl_add_u64 v[4:5], v[4:5], 0, 1
	v_cmp_ge_i64_e32 vcc, v[4:5], v[2:3]
	v_lshl_add_u64 v[8:9], v[8:9], 0, 4
	s_or_b64 s[0:1], vcc, s[0:1]
	s_waitcnt vmcnt(0)
	v_add_u32_e32 v10, v6, v7
	v_ashrrev_i32_e32 v11, 31, v10
	v_lshl_add_u64 v[10:11], v[10:11], 1, s[2:3]
	global_load_ushort v7, v[10:11], off
	s_waitcnt vmcnt(0)
	global_store_short v[0:1], v7, off
	v_lshl_add_u64 v[0:1], v[0:1], 0, 2
	s_andn2_b64 exec, exec, s[0:1]
	s_cbranch_execnz .LBB85_8
.LBB85_9:
	s_endpgm
	.section	.rodata,"a",@progbits
	.p2align	6, 0x0
	.amdhsa_kernel _ZN9rocsparseL23sddmm_csx_sample_kernelILi512ELi1EL20rocsparse_direction_1EDF16_liDF16_EEvT4_S2_T3_PKT5_S2_PS4_PKS3_PKS2_21rocsparse_index_base_
		.amdhsa_group_segment_fixed_size 0
		.amdhsa_private_segment_fixed_size 0
		.amdhsa_kernarg_size 60
		.amdhsa_user_sgpr_count 2
		.amdhsa_user_sgpr_dispatch_ptr 0
		.amdhsa_user_sgpr_queue_ptr 0
		.amdhsa_user_sgpr_kernarg_segment_ptr 1
		.amdhsa_user_sgpr_dispatch_id 0
		.amdhsa_user_sgpr_kernarg_preload_length 0
		.amdhsa_user_sgpr_kernarg_preload_offset 0
		.amdhsa_user_sgpr_private_segment_size 0
		.amdhsa_uses_dynamic_stack 0
		.amdhsa_enable_private_segment 0
		.amdhsa_system_sgpr_workgroup_id_x 1
		.amdhsa_system_sgpr_workgroup_id_y 0
		.amdhsa_system_sgpr_workgroup_id_z 0
		.amdhsa_system_sgpr_workgroup_info 0
		.amdhsa_system_vgpr_workitem_id 0
		.amdhsa_next_free_vgpr 22
		.amdhsa_next_free_sgpr 12
		.amdhsa_accum_offset 24
		.amdhsa_reserve_vcc 1
		.amdhsa_float_round_mode_32 0
		.amdhsa_float_round_mode_16_64 0
		.amdhsa_float_denorm_mode_32 3
		.amdhsa_float_denorm_mode_16_64 3
		.amdhsa_dx10_clamp 1
		.amdhsa_ieee_mode 1
		.amdhsa_fp16_overflow 0
		.amdhsa_tg_split 0
		.amdhsa_exception_fp_ieee_invalid_op 0
		.amdhsa_exception_fp_denorm_src 0
		.amdhsa_exception_fp_ieee_div_zero 0
		.amdhsa_exception_fp_ieee_overflow 0
		.amdhsa_exception_fp_ieee_underflow 0
		.amdhsa_exception_fp_ieee_inexact 0
		.amdhsa_exception_int_div_zero 0
	.end_amdhsa_kernel
	.section	.text._ZN9rocsparseL23sddmm_csx_sample_kernelILi512ELi1EL20rocsparse_direction_1EDF16_liDF16_EEvT4_S2_T3_PKT5_S2_PS4_PKS3_PKS2_21rocsparse_index_base_,"axG",@progbits,_ZN9rocsparseL23sddmm_csx_sample_kernelILi512ELi1EL20rocsparse_direction_1EDF16_liDF16_EEvT4_S2_T3_PKT5_S2_PS4_PKS3_PKS2_21rocsparse_index_base_,comdat
.Lfunc_end85:
	.size	_ZN9rocsparseL23sddmm_csx_sample_kernelILi512ELi1EL20rocsparse_direction_1EDF16_liDF16_EEvT4_S2_T3_PKT5_S2_PS4_PKS3_PKS2_21rocsparse_index_base_, .Lfunc_end85-_ZN9rocsparseL23sddmm_csx_sample_kernelILi512ELi1EL20rocsparse_direction_1EDF16_liDF16_EEvT4_S2_T3_PKT5_S2_PS4_PKS3_PKS2_21rocsparse_index_base_
                                        ; -- End function
	.set _ZN9rocsparseL23sddmm_csx_sample_kernelILi512ELi1EL20rocsparse_direction_1EDF16_liDF16_EEvT4_S2_T3_PKT5_S2_PS4_PKS3_PKS2_21rocsparse_index_base_.num_vgpr, 22
	.set _ZN9rocsparseL23sddmm_csx_sample_kernelILi512ELi1EL20rocsparse_direction_1EDF16_liDF16_EEvT4_S2_T3_PKT5_S2_PS4_PKS3_PKS2_21rocsparse_index_base_.num_agpr, 0
	.set _ZN9rocsparseL23sddmm_csx_sample_kernelILi512ELi1EL20rocsparse_direction_1EDF16_liDF16_EEvT4_S2_T3_PKT5_S2_PS4_PKS3_PKS2_21rocsparse_index_base_.numbered_sgpr, 12
	.set _ZN9rocsparseL23sddmm_csx_sample_kernelILi512ELi1EL20rocsparse_direction_1EDF16_liDF16_EEvT4_S2_T3_PKT5_S2_PS4_PKS3_PKS2_21rocsparse_index_base_.num_named_barrier, 0
	.set _ZN9rocsparseL23sddmm_csx_sample_kernelILi512ELi1EL20rocsparse_direction_1EDF16_liDF16_EEvT4_S2_T3_PKT5_S2_PS4_PKS3_PKS2_21rocsparse_index_base_.private_seg_size, 0
	.set _ZN9rocsparseL23sddmm_csx_sample_kernelILi512ELi1EL20rocsparse_direction_1EDF16_liDF16_EEvT4_S2_T3_PKT5_S2_PS4_PKS3_PKS2_21rocsparse_index_base_.uses_vcc, 1
	.set _ZN9rocsparseL23sddmm_csx_sample_kernelILi512ELi1EL20rocsparse_direction_1EDF16_liDF16_EEvT4_S2_T3_PKT5_S2_PS4_PKS3_PKS2_21rocsparse_index_base_.uses_flat_scratch, 0
	.set _ZN9rocsparseL23sddmm_csx_sample_kernelILi512ELi1EL20rocsparse_direction_1EDF16_liDF16_EEvT4_S2_T3_PKT5_S2_PS4_PKS3_PKS2_21rocsparse_index_base_.has_dyn_sized_stack, 0
	.set _ZN9rocsparseL23sddmm_csx_sample_kernelILi512ELi1EL20rocsparse_direction_1EDF16_liDF16_EEvT4_S2_T3_PKT5_S2_PS4_PKS3_PKS2_21rocsparse_index_base_.has_recursion, 0
	.set _ZN9rocsparseL23sddmm_csx_sample_kernelILi512ELi1EL20rocsparse_direction_1EDF16_liDF16_EEvT4_S2_T3_PKT5_S2_PS4_PKS3_PKS2_21rocsparse_index_base_.has_indirect_call, 0
	.section	.AMDGPU.csdata,"",@progbits
; Kernel info:
; codeLenInByte = 580
; TotalNumSgprs: 18
; NumVgprs: 22
; NumAgprs: 0
; TotalNumVgprs: 22
; ScratchSize: 0
; MemoryBound: 0
; FloatMode: 240
; IeeeMode: 1
; LDSByteSize: 0 bytes/workgroup (compile time only)
; SGPRBlocks: 2
; VGPRBlocks: 2
; NumSGPRsForWavesPerEU: 18
; NumVGPRsForWavesPerEU: 22
; AccumOffset: 24
; Occupancy: 8
; WaveLimiterHint : 1
; COMPUTE_PGM_RSRC2:SCRATCH_EN: 0
; COMPUTE_PGM_RSRC2:USER_SGPR: 2
; COMPUTE_PGM_RSRC2:TRAP_HANDLER: 0
; COMPUTE_PGM_RSRC2:TGID_X_EN: 1
; COMPUTE_PGM_RSRC2:TGID_Y_EN: 0
; COMPUTE_PGM_RSRC2:TGID_Z_EN: 0
; COMPUTE_PGM_RSRC2:TIDIG_COMP_CNT: 0
; COMPUTE_PGM_RSRC3_GFX90A:ACCUM_OFFSET: 5
; COMPUTE_PGM_RSRC3_GFX90A:TG_SPLIT: 0
	.section	.text._ZN9rocsparseL16sddmm_csx_kernelILi512ELi8EL20rocsparse_direction_0EDF16_liDF16_DF16_DF16_EEv20rocsparse_operation_S2_16rocsparse_order_S3_T4_S4_S4_T3_NS_24const_host_device_scalarIT2_EEPKT5_lPKT6_lS8_PT7_PKS5_PKS4_21rocsparse_index_base_b,"axG",@progbits,_ZN9rocsparseL16sddmm_csx_kernelILi512ELi8EL20rocsparse_direction_0EDF16_liDF16_DF16_DF16_EEv20rocsparse_operation_S2_16rocsparse_order_S3_T4_S4_S4_T3_NS_24const_host_device_scalarIT2_EEPKT5_lPKT6_lS8_PT7_PKS5_PKS4_21rocsparse_index_base_b,comdat
	.globl	_ZN9rocsparseL16sddmm_csx_kernelILi512ELi8EL20rocsparse_direction_0EDF16_liDF16_DF16_DF16_EEv20rocsparse_operation_S2_16rocsparse_order_S3_T4_S4_S4_T3_NS_24const_host_device_scalarIT2_EEPKT5_lPKT6_lS8_PT7_PKS5_PKS4_21rocsparse_index_base_b ; -- Begin function _ZN9rocsparseL16sddmm_csx_kernelILi512ELi8EL20rocsparse_direction_0EDF16_liDF16_DF16_DF16_EEv20rocsparse_operation_S2_16rocsparse_order_S3_T4_S4_S4_T3_NS_24const_host_device_scalarIT2_EEPKT5_lPKT6_lS8_PT7_PKS5_PKS4_21rocsparse_index_base_b
	.p2align	8
	.type	_ZN9rocsparseL16sddmm_csx_kernelILi512ELi8EL20rocsparse_direction_0EDF16_liDF16_DF16_DF16_EEv20rocsparse_operation_S2_16rocsparse_order_S3_T4_S4_S4_T3_NS_24const_host_device_scalarIT2_EEPKT5_lPKT6_lS8_PT7_PKS5_PKS4_21rocsparse_index_base_b,@function
_ZN9rocsparseL16sddmm_csx_kernelILi512ELi8EL20rocsparse_direction_0EDF16_liDF16_DF16_DF16_EEv20rocsparse_operation_S2_16rocsparse_order_S3_T4_S4_S4_T3_NS_24const_host_device_scalarIT2_EEPKT5_lPKT6_lS8_PT7_PKS5_PKS4_21rocsparse_index_base_b: ; @_ZN9rocsparseL16sddmm_csx_kernelILi512ELi8EL20rocsparse_direction_0EDF16_liDF16_DF16_DF16_EEv20rocsparse_operation_S2_16rocsparse_order_S3_T4_S4_S4_T3_NS_24const_host_device_scalarIT2_EEPKT5_lPKT6_lS8_PT7_PKS5_PKS4_21rocsparse_index_base_b
; %bb.0:
	s_load_dwordx2 s[16:17], s[0:1], 0x70
	s_load_dwordx2 s[6:7], s[0:1], 0x28
	s_load_dwordx4 s[12:15], s[0:1], 0x48
	s_waitcnt lgkmcnt(0)
	s_bitcmp1_b32 s17, 0
	s_cselect_b64 s[8:9], -1, 0
	s_xor_b64 s[4:5], s[8:9], -1
	s_and_b64 vcc, exec, s[8:9]
	v_mov_b32_e32 v12, s6
	s_cbranch_vccnz .LBB86_2
; %bb.1:
	v_mov_b32_e32 v1, 0
	global_load_ushort v12, v1, s[6:7]
.LBB86_2:
	s_andn2_b64 vcc, exec, s[4:5]
	v_mov_b32_e32 v13, s14
	s_cbranch_vccnz .LBB86_4
; %bb.3:
	v_mov_b32_e32 v1, 0
	global_load_ushort v13, v1, s[14:15]
.LBB86_4:
	s_waitcnt vmcnt(0)
	v_cmp_eq_f16_e32 vcc, 0, v12
	v_cmp_eq_f16_e64 s[4:5], 1.0, v13
	s_and_b64 s[4:5], vcc, s[4:5]
	s_and_b64 vcc, exec, s[4:5]
	s_cbranch_vccnz .LBB86_36
; %bb.5:
	s_load_dword s4, s[0:1], 0x10
	v_lshrrev_b32_e32 v8, 3, v0
	v_lshl_or_b32 v2, s2, 6, v8
	v_mov_b32_e32 v3, 0
	s_waitcnt lgkmcnt(0)
	s_ashr_i32 s5, s4, 31
	v_cmp_gt_i64_e32 vcc, s[4:5], v[2:3]
	s_and_saveexec_b64 s[2:3], vcc
	s_cbranch_execz .LBB86_36
; %bb.6:
	s_load_dwordx4 s[4:7], s[0:1], 0x0
	s_load_dwordx2 s[14:15], s[0:1], 0x60
	s_load_dwordx2 s[2:3], s[0:1], 0x38
	s_waitcnt lgkmcnt(0)
	s_cmp_eq_u32 s6, 1
	s_cselect_b64 s[8:9], -1, 0
	s_cmpk_eq_i32 s4, 0x6f
	s_cselect_b64 s[10:11], -1, 0
	s_cmpk_lg_i32 s4, 0x6f
	s_cselect_b64 s[18:19], -1, 0
	s_cmp_lg_u32 s6, 1
	s_cbranch_scc0 .LBB86_10
; %bb.7:
	s_andn2_b64 vcc, exec, s[10:11]
	v_mov_b64_e32 v[6:7], v[2:3]
	s_cbranch_vccnz .LBB86_9
; %bb.8:
	v_mad_u64_u32 v[6:7], s[20:21], s2, v2, 0
	v_mov_b32_e32 v4, v7
	v_mad_u64_u32 v[4:5], s[20:21], s3, v2, v[4:5]
	v_mov_b32_e32 v7, v4
.LBB86_9:
	s_cbranch_execz .LBB86_11
	s_branch .LBB86_13
.LBB86_10:
                                        ; implicit-def: $vgpr6_vgpr7
.LBB86_11:
	s_andn2_b64 vcc, exec, s[18:19]
	v_mov_b64_e32 v[6:7], v[2:3]
	s_cbranch_vccnz .LBB86_13
; %bb.12:
	v_mad_u64_u32 v[6:7], s[18:19], s2, v2, 0
	v_mov_b32_e32 v4, v7
	v_mad_u64_u32 v[4:5], s[18:19], s3, v2, v[4:5]
	v_mov_b32_e32 v7, v4
.LBB86_13:
	v_lshl_add_u64 v[2:3], v[2:3], 3, s[14:15]
	global_load_dwordx4 v[2:5], v[2:3], off
	s_waitcnt vmcnt(0)
	v_cmp_lt_i64_e32 vcc, v[2:3], v[4:5]
	s_and_b64 exec, exec, vcc
	s_cbranch_execz .LBB86_36
; %bb.14:
	s_xor_b64 s[8:9], s[10:11], s[8:9]
	s_and_b64 s[8:9], s[8:9], exec
	v_and_b32_e32 v14, 7, v0
	v_subrev_co_u32_e32 v0, vcc, s16, v2
	s_cselect_b32 s9, 0, s3
	s_cselect_b32 s8, 1, s2
	s_cmp_lg_u32 s7, 1
	v_subbrev_co_u32_e32 v1, vcc, 0, v3, vcc
	s_cselect_b64 s[18:19], -1, 0
	s_cmp_eq_u32 s7, 1
	v_subrev_co_u32_e32 v2, vcc, s16, v4
	s_cselect_b64 s[2:3], -1, 0
	s_cmpk_eq_i32 s5, 0x6f
	v_subbrev_co_u32_e32 v3, vcc, 0, v5, vcc
	v_mad_u64_u32 v[4:5], s[28:29], s8, v14, 0
	s_cselect_b64 s[6:7], -1, 0
	s_cmpk_lg_i32 s5, 0x6f
	s_load_dwordx2 s[26:27], s[0:1], 0x40
	s_load_dwordx2 s[20:21], s[0:1], 0x58
	;; [unrolled: 1-line block ×3, first 2 shown]
	s_load_dword s17, s[0:1], 0x18
	v_lshlrev_b32_e32 v15, 4, v8
	v_mov_b32_e32 v8, v5
	s_cselect_b64 s[10:11], -1, 0
	s_xor_b64 s[2:3], s[6:7], s[2:3]
	v_mad_u64_u32 v[8:9], s[28:29], s9, v14, v[8:9]
	s_and_b64 s[2:3], s[2:3], exec
	v_mov_b32_e32 v5, v8
	v_lshlrev_b64 v[6:7], 1, v[6:7]
	s_cselect_b32 s24, s12, 1
	v_lshl_add_u64 v[4:5], v[4:5], 1, v[6:7]
	s_load_dwordx2 s[14:15], s[0:1], 0x68
	s_cselect_b32 s25, s13, 0
	s_waitcnt lgkmcnt(0)
	v_lshl_add_u64 v[4:5], s[22:23], 0, v[4:5]
	s_lshl_b64 s[22:23], s[8:9], 4
	v_mad_u64_u32 v[6:7], s[8:9], s24, v14, 0
	v_mov_b32_e32 v8, v7
	v_mad_u64_u32 v[8:9], s[8:9], s25, v14, v[8:9]
	v_cndmask_b32_e64 v10, 0, 1, s[6:7]
	v_mov_b32_e32 v7, v8
	v_cndmask_b32_e64 v8, 0, 1, s[10:11]
	v_cmp_gt_i32_e64 s[0:1], s17, v14
	v_lshl_or_b32 v16, v14, 1, v15
	v_cmp_eq_u32_e64 s[2:3], 0, v14
	v_cmp_gt_u32_e64 s[4:5], 4, v14
	v_cmp_gt_u32_e64 s[6:7], 2, v14
	v_lshl_add_u64 v[6:7], v[6:7], 1, s[26:27]
	s_lshl_b64 s[24:25], s[24:25], 4
	s_mov_b64 s[26:27], 0
	v_cmp_ne_u32_e64 s[8:9], 1, v8
	v_cmp_ne_u32_e64 s[10:11], 1, v10
	s_branch .LBB86_16
.LBB86_15:                              ;   in Loop: Header=BB86_16 Depth=1
	s_or_b64 exec, exec, s[28:29]
	v_lshl_add_u64 v[0:1], v[0:1], 0, 1
	v_cmp_ge_i64_e32 vcc, v[0:1], v[2:3]
	s_or_b64 s[26:27], vcc, s[26:27]
	s_andn2_b64 exec, exec, s[26:27]
	s_cbranch_execz .LBB86_36
.LBB86_16:                              ; =>This Loop Header: Depth=1
                                        ;     Child Loop BB86_26 Depth 2
	v_lshl_add_u64 v[8:9], v[0:1], 2, s[14:15]
	global_load_dword v8, v[8:9], off
	s_mov_b64 s[28:29], -1
	s_and_b64 vcc, exec, s[18:19]
                                        ; implicit-def: $vgpr10_vgpr11
	s_waitcnt vmcnt(0)
	v_subrev_u32_e32 v8, s16, v8
	v_ashrrev_i32_e32 v9, 31, v8
	s_cbranch_vccnz .LBB86_19
; %bb.17:                               ;   in Loop: Header=BB86_16 Depth=1
	s_andn2_b64 vcc, exec, s[28:29]
	s_cbranch_vccz .LBB86_22
.LBB86_18:                              ;   in Loop: Header=BB86_16 Depth=1
	v_mov_b32_e32 v17, 0
	s_and_saveexec_b64 s[28:29], s[0:1]
	s_cbranch_execnz .LBB86_25
	s_branch .LBB86_28
.LBB86_19:                              ;   in Loop: Header=BB86_16 Depth=1
	s_and_b64 vcc, exec, s[8:9]
	v_mov_b64_e32 v[10:11], v[8:9]
	s_cbranch_vccnz .LBB86_21
; %bb.20:                               ;   in Loop: Header=BB86_16 Depth=1
	v_mul_lo_u32 v17, s13, v8
	v_mul_lo_u32 v18, s12, v9
	v_mad_u64_u32 v[10:11], s[28:29], s12, v8, 0
	v_add3_u32 v11, v11, v18, v17
.LBB86_21:                              ;   in Loop: Header=BB86_16 Depth=1
	s_cbranch_execnz .LBB86_18
.LBB86_22:                              ;   in Loop: Header=BB86_16 Depth=1
	s_and_b64 vcc, exec, s[10:11]
	s_cbranch_vccnz .LBB86_24
; %bb.23:                               ;   in Loop: Header=BB86_16 Depth=1
	v_mul_lo_u32 v10, s13, v8
	v_mul_lo_u32 v11, s12, v9
	v_mad_u64_u32 v[8:9], s[28:29], s12, v8, 0
	v_add3_u32 v9, v9, v11, v10
.LBB86_24:                              ;   in Loop: Header=BB86_16 Depth=1
	v_mov_b64_e32 v[10:11], v[8:9]
	v_mov_b32_e32 v17, 0
	s_and_saveexec_b64 s[28:29], s[0:1]
	s_cbranch_execz .LBB86_28
.LBB86_25:                              ;   in Loop: Header=BB86_16 Depth=1
	v_lshl_add_u64 v[8:9], v[10:11], 1, v[6:7]
	v_mov_b32_e32 v17, 0
	s_mov_b64 s[30:31], 0
	v_mov_b64_e32 v[10:11], v[4:5]
	v_mov_b32_e32 v18, v14
.LBB86_26:                              ;   Parent Loop BB86_16 Depth=1
                                        ; =>  This Inner Loop Header: Depth=2
	global_load_ushort v19, v[10:11], off
	global_load_ushort v20, v[8:9], off
	v_add_u32_e32 v18, 8, v18
	v_cmp_le_i32_e32 vcc, s17, v18
	v_lshl_add_u64 v[10:11], v[10:11], 0, s[22:23]
	v_lshl_add_u64 v[8:9], v[8:9], 0, s[24:25]
	s_or_b64 s[30:31], vcc, s[30:31]
	s_waitcnt vmcnt(0)
	v_fma_f16 v17, v19, v20, v17
	s_andn2_b64 exec, exec, s[30:31]
	s_cbranch_execnz .LBB86_26
; %bb.27:                               ;   in Loop: Header=BB86_16 Depth=1
	s_or_b64 exec, exec, s[30:31]
.LBB86_28:                              ;   in Loop: Header=BB86_16 Depth=1
	s_or_b64 exec, exec, s[28:29]
	ds_write_b16 v16, v17
	s_waitcnt lgkmcnt(0)
	s_barrier
	s_and_saveexec_b64 s[28:29], s[4:5]
	s_cbranch_execz .LBB86_30
; %bb.29:                               ;   in Loop: Header=BB86_16 Depth=1
	ds_read_u16 v8, v16
	ds_read_u16 v9, v16 offset:8
	s_waitcnt lgkmcnt(0)
	v_add_f16_e32 v8, v9, v8
	ds_write_b16 v16, v8
.LBB86_30:                              ;   in Loop: Header=BB86_16 Depth=1
	s_or_b64 exec, exec, s[28:29]
	s_waitcnt lgkmcnt(0)
	s_barrier
	s_and_saveexec_b64 s[28:29], s[6:7]
	s_cbranch_execz .LBB86_32
; %bb.31:                               ;   in Loop: Header=BB86_16 Depth=1
	ds_read_u16 v8, v16
	ds_read_u16 v9, v16 offset:4
	s_waitcnt lgkmcnt(0)
	v_add_f16_e32 v8, v9, v8
	ds_write_b16 v16, v8
.LBB86_32:                              ;   in Loop: Header=BB86_16 Depth=1
	s_or_b64 exec, exec, s[28:29]
	s_waitcnt lgkmcnt(0)
	s_barrier
	s_and_saveexec_b64 s[28:29], s[2:3]
	s_cbranch_execz .LBB86_34
; %bb.33:                               ;   in Loop: Header=BB86_16 Depth=1
	ds_read_u16 v8, v16
	ds_read_u16 v9, v16 offset:2
	s_waitcnt lgkmcnt(0)
	v_add_f16_e32 v8, v9, v8
	ds_write_b16 v16, v8
.LBB86_34:                              ;   in Loop: Header=BB86_16 Depth=1
	s_or_b64 exec, exec, s[28:29]
	s_waitcnt lgkmcnt(0)
	s_barrier
	s_and_saveexec_b64 s[28:29], s[2:3]
	s_cbranch_execz .LBB86_15
; %bb.35:                               ;   in Loop: Header=BB86_16 Depth=1
	v_lshl_add_u64 v[8:9], v[0:1], 1, s[20:21]
	global_load_ushort v10, v[8:9], off
	ds_read_u16 v11, v15
	s_waitcnt lgkmcnt(0)
	v_mul_f16_e32 v11, v12, v11
	s_waitcnt vmcnt(0)
	v_fma_f16 v10, v13, v10, v11
	global_store_short v[8:9], v10, off
	s_branch .LBB86_15
.LBB86_36:
	s_endpgm
	.section	.rodata,"a",@progbits
	.p2align	6, 0x0
	.amdhsa_kernel _ZN9rocsparseL16sddmm_csx_kernelILi512ELi8EL20rocsparse_direction_0EDF16_liDF16_DF16_DF16_EEv20rocsparse_operation_S2_16rocsparse_order_S3_T4_S4_S4_T3_NS_24const_host_device_scalarIT2_EEPKT5_lPKT6_lS8_PT7_PKS5_PKS4_21rocsparse_index_base_b
		.amdhsa_group_segment_fixed_size 1024
		.amdhsa_private_segment_fixed_size 0
		.amdhsa_kernarg_size 120
		.amdhsa_user_sgpr_count 2
		.amdhsa_user_sgpr_dispatch_ptr 0
		.amdhsa_user_sgpr_queue_ptr 0
		.amdhsa_user_sgpr_kernarg_segment_ptr 1
		.amdhsa_user_sgpr_dispatch_id 0
		.amdhsa_user_sgpr_kernarg_preload_length 0
		.amdhsa_user_sgpr_kernarg_preload_offset 0
		.amdhsa_user_sgpr_private_segment_size 0
		.amdhsa_uses_dynamic_stack 0
		.amdhsa_enable_private_segment 0
		.amdhsa_system_sgpr_workgroup_id_x 1
		.amdhsa_system_sgpr_workgroup_id_y 0
		.amdhsa_system_sgpr_workgroup_id_z 0
		.amdhsa_system_sgpr_workgroup_info 0
		.amdhsa_system_vgpr_workitem_id 0
		.amdhsa_next_free_vgpr 21
		.amdhsa_next_free_sgpr 32
		.amdhsa_accum_offset 24
		.amdhsa_reserve_vcc 1
		.amdhsa_float_round_mode_32 0
		.amdhsa_float_round_mode_16_64 0
		.amdhsa_float_denorm_mode_32 3
		.amdhsa_float_denorm_mode_16_64 3
		.amdhsa_dx10_clamp 1
		.amdhsa_ieee_mode 1
		.amdhsa_fp16_overflow 0
		.amdhsa_tg_split 0
		.amdhsa_exception_fp_ieee_invalid_op 0
		.amdhsa_exception_fp_denorm_src 0
		.amdhsa_exception_fp_ieee_div_zero 0
		.amdhsa_exception_fp_ieee_overflow 0
		.amdhsa_exception_fp_ieee_underflow 0
		.amdhsa_exception_fp_ieee_inexact 0
		.amdhsa_exception_int_div_zero 0
	.end_amdhsa_kernel
	.section	.text._ZN9rocsparseL16sddmm_csx_kernelILi512ELi8EL20rocsparse_direction_0EDF16_liDF16_DF16_DF16_EEv20rocsparse_operation_S2_16rocsparse_order_S3_T4_S4_S4_T3_NS_24const_host_device_scalarIT2_EEPKT5_lPKT6_lS8_PT7_PKS5_PKS4_21rocsparse_index_base_b,"axG",@progbits,_ZN9rocsparseL16sddmm_csx_kernelILi512ELi8EL20rocsparse_direction_0EDF16_liDF16_DF16_DF16_EEv20rocsparse_operation_S2_16rocsparse_order_S3_T4_S4_S4_T3_NS_24const_host_device_scalarIT2_EEPKT5_lPKT6_lS8_PT7_PKS5_PKS4_21rocsparse_index_base_b,comdat
.Lfunc_end86:
	.size	_ZN9rocsparseL16sddmm_csx_kernelILi512ELi8EL20rocsparse_direction_0EDF16_liDF16_DF16_DF16_EEv20rocsparse_operation_S2_16rocsparse_order_S3_T4_S4_S4_T3_NS_24const_host_device_scalarIT2_EEPKT5_lPKT6_lS8_PT7_PKS5_PKS4_21rocsparse_index_base_b, .Lfunc_end86-_ZN9rocsparseL16sddmm_csx_kernelILi512ELi8EL20rocsparse_direction_0EDF16_liDF16_DF16_DF16_EEv20rocsparse_operation_S2_16rocsparse_order_S3_T4_S4_S4_T3_NS_24const_host_device_scalarIT2_EEPKT5_lPKT6_lS8_PT7_PKS5_PKS4_21rocsparse_index_base_b
                                        ; -- End function
	.set _ZN9rocsparseL16sddmm_csx_kernelILi512ELi8EL20rocsparse_direction_0EDF16_liDF16_DF16_DF16_EEv20rocsparse_operation_S2_16rocsparse_order_S3_T4_S4_S4_T3_NS_24const_host_device_scalarIT2_EEPKT5_lPKT6_lS8_PT7_PKS5_PKS4_21rocsparse_index_base_b.num_vgpr, 21
	.set _ZN9rocsparseL16sddmm_csx_kernelILi512ELi8EL20rocsparse_direction_0EDF16_liDF16_DF16_DF16_EEv20rocsparse_operation_S2_16rocsparse_order_S3_T4_S4_S4_T3_NS_24const_host_device_scalarIT2_EEPKT5_lPKT6_lS8_PT7_PKS5_PKS4_21rocsparse_index_base_b.num_agpr, 0
	.set _ZN9rocsparseL16sddmm_csx_kernelILi512ELi8EL20rocsparse_direction_0EDF16_liDF16_DF16_DF16_EEv20rocsparse_operation_S2_16rocsparse_order_S3_T4_S4_S4_T3_NS_24const_host_device_scalarIT2_EEPKT5_lPKT6_lS8_PT7_PKS5_PKS4_21rocsparse_index_base_b.numbered_sgpr, 32
	.set _ZN9rocsparseL16sddmm_csx_kernelILi512ELi8EL20rocsparse_direction_0EDF16_liDF16_DF16_DF16_EEv20rocsparse_operation_S2_16rocsparse_order_S3_T4_S4_S4_T3_NS_24const_host_device_scalarIT2_EEPKT5_lPKT6_lS8_PT7_PKS5_PKS4_21rocsparse_index_base_b.num_named_barrier, 0
	.set _ZN9rocsparseL16sddmm_csx_kernelILi512ELi8EL20rocsparse_direction_0EDF16_liDF16_DF16_DF16_EEv20rocsparse_operation_S2_16rocsparse_order_S3_T4_S4_S4_T3_NS_24const_host_device_scalarIT2_EEPKT5_lPKT6_lS8_PT7_PKS5_PKS4_21rocsparse_index_base_b.private_seg_size, 0
	.set _ZN9rocsparseL16sddmm_csx_kernelILi512ELi8EL20rocsparse_direction_0EDF16_liDF16_DF16_DF16_EEv20rocsparse_operation_S2_16rocsparse_order_S3_T4_S4_S4_T3_NS_24const_host_device_scalarIT2_EEPKT5_lPKT6_lS8_PT7_PKS5_PKS4_21rocsparse_index_base_b.uses_vcc, 1
	.set _ZN9rocsparseL16sddmm_csx_kernelILi512ELi8EL20rocsparse_direction_0EDF16_liDF16_DF16_DF16_EEv20rocsparse_operation_S2_16rocsparse_order_S3_T4_S4_S4_T3_NS_24const_host_device_scalarIT2_EEPKT5_lPKT6_lS8_PT7_PKS5_PKS4_21rocsparse_index_base_b.uses_flat_scratch, 0
	.set _ZN9rocsparseL16sddmm_csx_kernelILi512ELi8EL20rocsparse_direction_0EDF16_liDF16_DF16_DF16_EEv20rocsparse_operation_S2_16rocsparse_order_S3_T4_S4_S4_T3_NS_24const_host_device_scalarIT2_EEPKT5_lPKT6_lS8_PT7_PKS5_PKS4_21rocsparse_index_base_b.has_dyn_sized_stack, 0
	.set _ZN9rocsparseL16sddmm_csx_kernelILi512ELi8EL20rocsparse_direction_0EDF16_liDF16_DF16_DF16_EEv20rocsparse_operation_S2_16rocsparse_order_S3_T4_S4_S4_T3_NS_24const_host_device_scalarIT2_EEPKT5_lPKT6_lS8_PT7_PKS5_PKS4_21rocsparse_index_base_b.has_recursion, 0
	.set _ZN9rocsparseL16sddmm_csx_kernelILi512ELi8EL20rocsparse_direction_0EDF16_liDF16_DF16_DF16_EEv20rocsparse_operation_S2_16rocsparse_order_S3_T4_S4_S4_T3_NS_24const_host_device_scalarIT2_EEPKT5_lPKT6_lS8_PT7_PKS5_PKS4_21rocsparse_index_base_b.has_indirect_call, 0
	.section	.AMDGPU.csdata,"",@progbits
; Kernel info:
; codeLenInByte = 1164
; TotalNumSgprs: 38
; NumVgprs: 21
; NumAgprs: 0
; TotalNumVgprs: 21
; ScratchSize: 0
; MemoryBound: 0
; FloatMode: 240
; IeeeMode: 1
; LDSByteSize: 1024 bytes/workgroup (compile time only)
; SGPRBlocks: 4
; VGPRBlocks: 2
; NumSGPRsForWavesPerEU: 38
; NumVGPRsForWavesPerEU: 21
; AccumOffset: 24
; Occupancy: 8
; WaveLimiterHint : 0
; COMPUTE_PGM_RSRC2:SCRATCH_EN: 0
; COMPUTE_PGM_RSRC2:USER_SGPR: 2
; COMPUTE_PGM_RSRC2:TRAP_HANDLER: 0
; COMPUTE_PGM_RSRC2:TGID_X_EN: 1
; COMPUTE_PGM_RSRC2:TGID_Y_EN: 0
; COMPUTE_PGM_RSRC2:TGID_Z_EN: 0
; COMPUTE_PGM_RSRC2:TIDIG_COMP_CNT: 0
; COMPUTE_PGM_RSRC3_GFX90A:ACCUM_OFFSET: 5
; COMPUTE_PGM_RSRC3_GFX90A:TG_SPLIT: 0
	.section	.text._ZN9rocsparseL16sddmm_csx_kernelILi512ELi4EL20rocsparse_direction_0EDF16_liDF16_DF16_DF16_EEv20rocsparse_operation_S2_16rocsparse_order_S3_T4_S4_S4_T3_NS_24const_host_device_scalarIT2_EEPKT5_lPKT6_lS8_PT7_PKS5_PKS4_21rocsparse_index_base_b,"axG",@progbits,_ZN9rocsparseL16sddmm_csx_kernelILi512ELi4EL20rocsparse_direction_0EDF16_liDF16_DF16_DF16_EEv20rocsparse_operation_S2_16rocsparse_order_S3_T4_S4_S4_T3_NS_24const_host_device_scalarIT2_EEPKT5_lPKT6_lS8_PT7_PKS5_PKS4_21rocsparse_index_base_b,comdat
	.globl	_ZN9rocsparseL16sddmm_csx_kernelILi512ELi4EL20rocsparse_direction_0EDF16_liDF16_DF16_DF16_EEv20rocsparse_operation_S2_16rocsparse_order_S3_T4_S4_S4_T3_NS_24const_host_device_scalarIT2_EEPKT5_lPKT6_lS8_PT7_PKS5_PKS4_21rocsparse_index_base_b ; -- Begin function _ZN9rocsparseL16sddmm_csx_kernelILi512ELi4EL20rocsparse_direction_0EDF16_liDF16_DF16_DF16_EEv20rocsparse_operation_S2_16rocsparse_order_S3_T4_S4_S4_T3_NS_24const_host_device_scalarIT2_EEPKT5_lPKT6_lS8_PT7_PKS5_PKS4_21rocsparse_index_base_b
	.p2align	8
	.type	_ZN9rocsparseL16sddmm_csx_kernelILi512ELi4EL20rocsparse_direction_0EDF16_liDF16_DF16_DF16_EEv20rocsparse_operation_S2_16rocsparse_order_S3_T4_S4_S4_T3_NS_24const_host_device_scalarIT2_EEPKT5_lPKT6_lS8_PT7_PKS5_PKS4_21rocsparse_index_base_b,@function
_ZN9rocsparseL16sddmm_csx_kernelILi512ELi4EL20rocsparse_direction_0EDF16_liDF16_DF16_DF16_EEv20rocsparse_operation_S2_16rocsparse_order_S3_T4_S4_S4_T3_NS_24const_host_device_scalarIT2_EEPKT5_lPKT6_lS8_PT7_PKS5_PKS4_21rocsparse_index_base_b: ; @_ZN9rocsparseL16sddmm_csx_kernelILi512ELi4EL20rocsparse_direction_0EDF16_liDF16_DF16_DF16_EEv20rocsparse_operation_S2_16rocsparse_order_S3_T4_S4_S4_T3_NS_24const_host_device_scalarIT2_EEPKT5_lPKT6_lS8_PT7_PKS5_PKS4_21rocsparse_index_base_b
; %bb.0:
	s_load_dwordx2 s[10:11], s[0:1], 0x70
	s_load_dwordx2 s[6:7], s[0:1], 0x28
	s_load_dwordx4 s[12:15], s[0:1], 0x48
	s_waitcnt lgkmcnt(0)
	s_bitcmp1_b32 s11, 0
	s_cselect_b64 s[8:9], -1, 0
	s_xor_b64 s[4:5], s[8:9], -1
	s_and_b64 vcc, exec, s[8:9]
	v_mov_b32_e32 v12, s6
	s_cbranch_vccnz .LBB87_2
; %bb.1:
	v_mov_b32_e32 v1, 0
	global_load_ushort v12, v1, s[6:7]
.LBB87_2:
	s_andn2_b64 vcc, exec, s[4:5]
	v_mov_b32_e32 v13, s14
	s_cbranch_vccnz .LBB87_4
; %bb.3:
	v_mov_b32_e32 v1, 0
	global_load_ushort v13, v1, s[14:15]
.LBB87_4:
	s_waitcnt vmcnt(0)
	v_cmp_eq_f16_e32 vcc, 0, v12
	v_cmp_eq_f16_e64 s[4:5], 1.0, v13
	s_and_b64 s[4:5], vcc, s[4:5]
	s_and_b64 vcc, exec, s[4:5]
	s_cbranch_vccnz .LBB87_34
; %bb.5:
	s_load_dword s4, s[0:1], 0x10
	v_lshrrev_b32_e32 v8, 2, v0
	v_lshl_or_b32 v2, s2, 7, v8
	v_mov_b32_e32 v3, 0
	s_waitcnt lgkmcnt(0)
	s_ashr_i32 s5, s4, 31
	v_cmp_gt_i64_e32 vcc, s[4:5], v[2:3]
	s_and_saveexec_b64 s[2:3], vcc
	s_cbranch_execz .LBB87_34
; %bb.6:
	s_load_dwordx4 s[4:7], s[0:1], 0x0
	s_load_dwordx2 s[14:15], s[0:1], 0x60
	s_load_dwordx2 s[2:3], s[0:1], 0x38
	s_waitcnt lgkmcnt(0)
	s_cmp_eq_u32 s6, 1
	s_cselect_b64 s[8:9], -1, 0
	s_cmpk_eq_i32 s4, 0x6f
	s_cselect_b64 s[16:17], -1, 0
	s_cmpk_lg_i32 s4, 0x6f
	s_cselect_b64 s[18:19], -1, 0
	s_cmp_lg_u32 s6, 1
	s_cbranch_scc0 .LBB87_10
; %bb.7:
	s_andn2_b64 vcc, exec, s[16:17]
	v_mov_b64_e32 v[6:7], v[2:3]
	s_cbranch_vccnz .LBB87_9
; %bb.8:
	v_mad_u64_u32 v[6:7], s[20:21], s2, v2, 0
	v_mov_b32_e32 v4, v7
	v_mad_u64_u32 v[4:5], s[20:21], s3, v2, v[4:5]
	v_mov_b32_e32 v7, v4
.LBB87_9:
	s_cbranch_execz .LBB87_11
	s_branch .LBB87_13
.LBB87_10:
                                        ; implicit-def: $vgpr6_vgpr7
.LBB87_11:
	s_andn2_b64 vcc, exec, s[18:19]
	v_mov_b64_e32 v[6:7], v[2:3]
	s_cbranch_vccnz .LBB87_13
; %bb.12:
	v_mad_u64_u32 v[6:7], s[18:19], s2, v2, 0
	v_mov_b32_e32 v4, v7
	v_mad_u64_u32 v[4:5], s[18:19], s3, v2, v[4:5]
	v_mov_b32_e32 v7, v4
.LBB87_13:
	v_lshl_add_u64 v[2:3], v[2:3], 3, s[14:15]
	global_load_dwordx4 v[2:5], v[2:3], off
	s_waitcnt vmcnt(0)
	v_cmp_lt_i64_e32 vcc, v[2:3], v[4:5]
	s_and_b64 exec, exec, vcc
	s_cbranch_execz .LBB87_34
; %bb.14:
	s_xor_b64 s[8:9], s[16:17], s[8:9]
	s_and_b64 s[8:9], s[8:9], exec
	v_and_b32_e32 v14, 3, v0
	v_subrev_co_u32_e32 v0, vcc, s10, v2
	s_cselect_b32 s9, 0, s3
	s_cselect_b32 s8, 1, s2
	s_cmp_lg_u32 s7, 1
	v_subbrev_co_u32_e32 v1, vcc, 0, v3, vcc
	s_cselect_b64 s[16:17], -1, 0
	s_cmp_eq_u32 s7, 1
	v_subrev_co_u32_e32 v2, vcc, s10, v4
	s_cselect_b64 s[2:3], -1, 0
	s_cmpk_eq_i32 s5, 0x6f
	v_subbrev_co_u32_e32 v3, vcc, 0, v5, vcc
	v_mad_u64_u32 v[4:5], s[24:25], s8, v14, 0
	s_cselect_b64 s[6:7], -1, 0
	s_cmpk_lg_i32 s5, 0x6f
	s_load_dwordx2 s[22:23], s[0:1], 0x40
	s_load_dwordx2 s[18:19], s[0:1], 0x58
	;; [unrolled: 1-line block ×3, first 2 shown]
	s_load_dword s11, s[0:1], 0x18
	v_lshlrev_b32_e32 v15, 3, v8
	v_mov_b32_e32 v8, v5
	s_cselect_b64 s[26:27], -1, 0
	s_xor_b64 s[2:3], s[6:7], s[2:3]
	v_mad_u64_u32 v[8:9], s[24:25], s9, v14, v[8:9]
	s_and_b64 s[2:3], s[2:3], exec
	v_mov_b32_e32 v5, v8
	v_lshlrev_b64 v[6:7], 1, v[6:7]
	v_cndmask_b32_e64 v10, 0, 1, s[6:7]
	s_cselect_b32 s6, s12, 1
	v_lshl_add_u64 v[4:5], v[4:5], 1, v[6:7]
	s_load_dwordx2 s[14:15], s[0:1], 0x68
	s_cselect_b32 s7, s13, 0
	s_waitcnt lgkmcnt(0)
	v_lshl_add_u64 v[4:5], s[20:21], 0, v[4:5]
	s_lshl_b64 s[20:21], s[8:9], 3
	v_mad_u64_u32 v[6:7], s[8:9], s6, v14, 0
	v_mov_b32_e32 v8, v7
	v_mad_u64_u32 v[8:9], s[8:9], s7, v14, v[8:9]
	v_mov_b32_e32 v7, v8
	v_cndmask_b32_e64 v8, 0, 1, s[26:27]
	v_cmp_gt_i32_e64 s[0:1], s11, v14
	v_lshl_or_b32 v16, v14, 1, v15
	v_cmp_eq_u32_e64 s[2:3], 0, v14
	v_cmp_gt_u32_e64 s[4:5], 2, v14
	v_lshl_add_u64 v[6:7], v[6:7], 1, s[22:23]
	s_lshl_b64 s[22:23], s[6:7], 3
	s_mov_b64 s[24:25], 0
	v_cmp_ne_u32_e64 s[6:7], 1, v8
	v_cmp_ne_u32_e64 s[8:9], 1, v10
	s_branch .LBB87_16
.LBB87_15:                              ;   in Loop: Header=BB87_16 Depth=1
	s_or_b64 exec, exec, s[26:27]
	v_lshl_add_u64 v[0:1], v[0:1], 0, 1
	v_cmp_ge_i64_e32 vcc, v[0:1], v[2:3]
	s_or_b64 s[24:25], vcc, s[24:25]
	s_andn2_b64 exec, exec, s[24:25]
	s_cbranch_execz .LBB87_34
.LBB87_16:                              ; =>This Loop Header: Depth=1
                                        ;     Child Loop BB87_26 Depth 2
	v_lshl_add_u64 v[8:9], v[0:1], 2, s[14:15]
	global_load_dword v8, v[8:9], off
	s_mov_b64 s[26:27], -1
	s_and_b64 vcc, exec, s[16:17]
                                        ; implicit-def: $vgpr10_vgpr11
	s_waitcnt vmcnt(0)
	v_subrev_u32_e32 v8, s10, v8
	v_ashrrev_i32_e32 v9, 31, v8
	s_cbranch_vccnz .LBB87_19
; %bb.17:                               ;   in Loop: Header=BB87_16 Depth=1
	s_andn2_b64 vcc, exec, s[26:27]
	s_cbranch_vccz .LBB87_22
.LBB87_18:                              ;   in Loop: Header=BB87_16 Depth=1
	v_mov_b32_e32 v17, 0
	s_and_saveexec_b64 s[26:27], s[0:1]
	s_cbranch_execnz .LBB87_25
	s_branch .LBB87_28
.LBB87_19:                              ;   in Loop: Header=BB87_16 Depth=1
	s_and_b64 vcc, exec, s[6:7]
	v_mov_b64_e32 v[10:11], v[8:9]
	s_cbranch_vccnz .LBB87_21
; %bb.20:                               ;   in Loop: Header=BB87_16 Depth=1
	v_mul_lo_u32 v17, s13, v8
	v_mul_lo_u32 v18, s12, v9
	v_mad_u64_u32 v[10:11], s[26:27], s12, v8, 0
	v_add3_u32 v11, v11, v18, v17
.LBB87_21:                              ;   in Loop: Header=BB87_16 Depth=1
	s_cbranch_execnz .LBB87_18
.LBB87_22:                              ;   in Loop: Header=BB87_16 Depth=1
	s_and_b64 vcc, exec, s[8:9]
	s_cbranch_vccnz .LBB87_24
; %bb.23:                               ;   in Loop: Header=BB87_16 Depth=1
	v_mul_lo_u32 v10, s13, v8
	v_mul_lo_u32 v11, s12, v9
	v_mad_u64_u32 v[8:9], s[26:27], s12, v8, 0
	v_add3_u32 v9, v9, v11, v10
.LBB87_24:                              ;   in Loop: Header=BB87_16 Depth=1
	v_mov_b64_e32 v[10:11], v[8:9]
	v_mov_b32_e32 v17, 0
	s_and_saveexec_b64 s[26:27], s[0:1]
	s_cbranch_execz .LBB87_28
.LBB87_25:                              ;   in Loop: Header=BB87_16 Depth=1
	v_lshl_add_u64 v[8:9], v[10:11], 1, v[6:7]
	v_mov_b32_e32 v17, 0
	s_mov_b64 s[28:29], 0
	v_mov_b64_e32 v[10:11], v[4:5]
	v_mov_b32_e32 v18, v14
.LBB87_26:                              ;   Parent Loop BB87_16 Depth=1
                                        ; =>  This Inner Loop Header: Depth=2
	global_load_ushort v19, v[10:11], off
	global_load_ushort v20, v[8:9], off
	v_add_u32_e32 v18, 4, v18
	v_cmp_le_i32_e32 vcc, s11, v18
	v_lshl_add_u64 v[10:11], v[10:11], 0, s[20:21]
	v_lshl_add_u64 v[8:9], v[8:9], 0, s[22:23]
	s_or_b64 s[28:29], vcc, s[28:29]
	s_waitcnt vmcnt(0)
	v_fma_f16 v17, v19, v20, v17
	s_andn2_b64 exec, exec, s[28:29]
	s_cbranch_execnz .LBB87_26
; %bb.27:                               ;   in Loop: Header=BB87_16 Depth=1
	s_or_b64 exec, exec, s[28:29]
.LBB87_28:                              ;   in Loop: Header=BB87_16 Depth=1
	s_or_b64 exec, exec, s[26:27]
	ds_write_b16 v16, v17
	s_waitcnt lgkmcnt(0)
	s_barrier
	s_and_saveexec_b64 s[26:27], s[4:5]
	s_cbranch_execz .LBB87_30
; %bb.29:                               ;   in Loop: Header=BB87_16 Depth=1
	ds_read_u16 v8, v16
	ds_read_u16 v9, v16 offset:4
	s_waitcnt lgkmcnt(0)
	v_add_f16_e32 v8, v9, v8
	ds_write_b16 v16, v8
.LBB87_30:                              ;   in Loop: Header=BB87_16 Depth=1
	s_or_b64 exec, exec, s[26:27]
	s_waitcnt lgkmcnt(0)
	s_barrier
	s_and_saveexec_b64 s[26:27], s[2:3]
	s_cbranch_execz .LBB87_32
; %bb.31:                               ;   in Loop: Header=BB87_16 Depth=1
	ds_read_u16 v8, v16
	ds_read_u16 v9, v16 offset:2
	s_waitcnt lgkmcnt(0)
	v_add_f16_e32 v8, v9, v8
	ds_write_b16 v16, v8
.LBB87_32:                              ;   in Loop: Header=BB87_16 Depth=1
	s_or_b64 exec, exec, s[26:27]
	s_waitcnt lgkmcnt(0)
	s_barrier
	s_and_saveexec_b64 s[26:27], s[2:3]
	s_cbranch_execz .LBB87_15
; %bb.33:                               ;   in Loop: Header=BB87_16 Depth=1
	v_lshl_add_u64 v[8:9], v[0:1], 1, s[18:19]
	global_load_ushort v10, v[8:9], off
	ds_read_u16 v11, v15
	s_waitcnt lgkmcnt(0)
	v_mul_f16_e32 v11, v12, v11
	s_waitcnt vmcnt(0)
	v_fma_f16 v10, v13, v10, v11
	global_store_short v[8:9], v10, off
	s_branch .LBB87_15
.LBB87_34:
	s_endpgm
	.section	.rodata,"a",@progbits
	.p2align	6, 0x0
	.amdhsa_kernel _ZN9rocsparseL16sddmm_csx_kernelILi512ELi4EL20rocsparse_direction_0EDF16_liDF16_DF16_DF16_EEv20rocsparse_operation_S2_16rocsparse_order_S3_T4_S4_S4_T3_NS_24const_host_device_scalarIT2_EEPKT5_lPKT6_lS8_PT7_PKS5_PKS4_21rocsparse_index_base_b
		.amdhsa_group_segment_fixed_size 1024
		.amdhsa_private_segment_fixed_size 0
		.amdhsa_kernarg_size 120
		.amdhsa_user_sgpr_count 2
		.amdhsa_user_sgpr_dispatch_ptr 0
		.amdhsa_user_sgpr_queue_ptr 0
		.amdhsa_user_sgpr_kernarg_segment_ptr 1
		.amdhsa_user_sgpr_dispatch_id 0
		.amdhsa_user_sgpr_kernarg_preload_length 0
		.amdhsa_user_sgpr_kernarg_preload_offset 0
		.amdhsa_user_sgpr_private_segment_size 0
		.amdhsa_uses_dynamic_stack 0
		.amdhsa_enable_private_segment 0
		.amdhsa_system_sgpr_workgroup_id_x 1
		.amdhsa_system_sgpr_workgroup_id_y 0
		.amdhsa_system_sgpr_workgroup_id_z 0
		.amdhsa_system_sgpr_workgroup_info 0
		.amdhsa_system_vgpr_workitem_id 0
		.amdhsa_next_free_vgpr 21
		.amdhsa_next_free_sgpr 30
		.amdhsa_accum_offset 24
		.amdhsa_reserve_vcc 1
		.amdhsa_float_round_mode_32 0
		.amdhsa_float_round_mode_16_64 0
		.amdhsa_float_denorm_mode_32 3
		.amdhsa_float_denorm_mode_16_64 3
		.amdhsa_dx10_clamp 1
		.amdhsa_ieee_mode 1
		.amdhsa_fp16_overflow 0
		.amdhsa_tg_split 0
		.amdhsa_exception_fp_ieee_invalid_op 0
		.amdhsa_exception_fp_denorm_src 0
		.amdhsa_exception_fp_ieee_div_zero 0
		.amdhsa_exception_fp_ieee_overflow 0
		.amdhsa_exception_fp_ieee_underflow 0
		.amdhsa_exception_fp_ieee_inexact 0
		.amdhsa_exception_int_div_zero 0
	.end_amdhsa_kernel
	.section	.text._ZN9rocsparseL16sddmm_csx_kernelILi512ELi4EL20rocsparse_direction_0EDF16_liDF16_DF16_DF16_EEv20rocsparse_operation_S2_16rocsparse_order_S3_T4_S4_S4_T3_NS_24const_host_device_scalarIT2_EEPKT5_lPKT6_lS8_PT7_PKS5_PKS4_21rocsparse_index_base_b,"axG",@progbits,_ZN9rocsparseL16sddmm_csx_kernelILi512ELi4EL20rocsparse_direction_0EDF16_liDF16_DF16_DF16_EEv20rocsparse_operation_S2_16rocsparse_order_S3_T4_S4_S4_T3_NS_24const_host_device_scalarIT2_EEPKT5_lPKT6_lS8_PT7_PKS5_PKS4_21rocsparse_index_base_b,comdat
.Lfunc_end87:
	.size	_ZN9rocsparseL16sddmm_csx_kernelILi512ELi4EL20rocsparse_direction_0EDF16_liDF16_DF16_DF16_EEv20rocsparse_operation_S2_16rocsparse_order_S3_T4_S4_S4_T3_NS_24const_host_device_scalarIT2_EEPKT5_lPKT6_lS8_PT7_PKS5_PKS4_21rocsparse_index_base_b, .Lfunc_end87-_ZN9rocsparseL16sddmm_csx_kernelILi512ELi4EL20rocsparse_direction_0EDF16_liDF16_DF16_DF16_EEv20rocsparse_operation_S2_16rocsparse_order_S3_T4_S4_S4_T3_NS_24const_host_device_scalarIT2_EEPKT5_lPKT6_lS8_PT7_PKS5_PKS4_21rocsparse_index_base_b
                                        ; -- End function
	.set _ZN9rocsparseL16sddmm_csx_kernelILi512ELi4EL20rocsparse_direction_0EDF16_liDF16_DF16_DF16_EEv20rocsparse_operation_S2_16rocsparse_order_S3_T4_S4_S4_T3_NS_24const_host_device_scalarIT2_EEPKT5_lPKT6_lS8_PT7_PKS5_PKS4_21rocsparse_index_base_b.num_vgpr, 21
	.set _ZN9rocsparseL16sddmm_csx_kernelILi512ELi4EL20rocsparse_direction_0EDF16_liDF16_DF16_DF16_EEv20rocsparse_operation_S2_16rocsparse_order_S3_T4_S4_S4_T3_NS_24const_host_device_scalarIT2_EEPKT5_lPKT6_lS8_PT7_PKS5_PKS4_21rocsparse_index_base_b.num_agpr, 0
	.set _ZN9rocsparseL16sddmm_csx_kernelILi512ELi4EL20rocsparse_direction_0EDF16_liDF16_DF16_DF16_EEv20rocsparse_operation_S2_16rocsparse_order_S3_T4_S4_S4_T3_NS_24const_host_device_scalarIT2_EEPKT5_lPKT6_lS8_PT7_PKS5_PKS4_21rocsparse_index_base_b.numbered_sgpr, 30
	.set _ZN9rocsparseL16sddmm_csx_kernelILi512ELi4EL20rocsparse_direction_0EDF16_liDF16_DF16_DF16_EEv20rocsparse_operation_S2_16rocsparse_order_S3_T4_S4_S4_T3_NS_24const_host_device_scalarIT2_EEPKT5_lPKT6_lS8_PT7_PKS5_PKS4_21rocsparse_index_base_b.num_named_barrier, 0
	.set _ZN9rocsparseL16sddmm_csx_kernelILi512ELi4EL20rocsparse_direction_0EDF16_liDF16_DF16_DF16_EEv20rocsparse_operation_S2_16rocsparse_order_S3_T4_S4_S4_T3_NS_24const_host_device_scalarIT2_EEPKT5_lPKT6_lS8_PT7_PKS5_PKS4_21rocsparse_index_base_b.private_seg_size, 0
	.set _ZN9rocsparseL16sddmm_csx_kernelILi512ELi4EL20rocsparse_direction_0EDF16_liDF16_DF16_DF16_EEv20rocsparse_operation_S2_16rocsparse_order_S3_T4_S4_S4_T3_NS_24const_host_device_scalarIT2_EEPKT5_lPKT6_lS8_PT7_PKS5_PKS4_21rocsparse_index_base_b.uses_vcc, 1
	.set _ZN9rocsparseL16sddmm_csx_kernelILi512ELi4EL20rocsparse_direction_0EDF16_liDF16_DF16_DF16_EEv20rocsparse_operation_S2_16rocsparse_order_S3_T4_S4_S4_T3_NS_24const_host_device_scalarIT2_EEPKT5_lPKT6_lS8_PT7_PKS5_PKS4_21rocsparse_index_base_b.uses_flat_scratch, 0
	.set _ZN9rocsparseL16sddmm_csx_kernelILi512ELi4EL20rocsparse_direction_0EDF16_liDF16_DF16_DF16_EEv20rocsparse_operation_S2_16rocsparse_order_S3_T4_S4_S4_T3_NS_24const_host_device_scalarIT2_EEPKT5_lPKT6_lS8_PT7_PKS5_PKS4_21rocsparse_index_base_b.has_dyn_sized_stack, 0
	.set _ZN9rocsparseL16sddmm_csx_kernelILi512ELi4EL20rocsparse_direction_0EDF16_liDF16_DF16_DF16_EEv20rocsparse_operation_S2_16rocsparse_order_S3_T4_S4_S4_T3_NS_24const_host_device_scalarIT2_EEPKT5_lPKT6_lS8_PT7_PKS5_PKS4_21rocsparse_index_base_b.has_recursion, 0
	.set _ZN9rocsparseL16sddmm_csx_kernelILi512ELi4EL20rocsparse_direction_0EDF16_liDF16_DF16_DF16_EEv20rocsparse_operation_S2_16rocsparse_order_S3_T4_S4_S4_T3_NS_24const_host_device_scalarIT2_EEPKT5_lPKT6_lS8_PT7_PKS5_PKS4_21rocsparse_index_base_b.has_indirect_call, 0
	.section	.AMDGPU.csdata,"",@progbits
; Kernel info:
; codeLenInByte = 1104
; TotalNumSgprs: 36
; NumVgprs: 21
; NumAgprs: 0
; TotalNumVgprs: 21
; ScratchSize: 0
; MemoryBound: 0
; FloatMode: 240
; IeeeMode: 1
; LDSByteSize: 1024 bytes/workgroup (compile time only)
; SGPRBlocks: 4
; VGPRBlocks: 2
; NumSGPRsForWavesPerEU: 36
; NumVGPRsForWavesPerEU: 21
; AccumOffset: 24
; Occupancy: 8
; WaveLimiterHint : 0
; COMPUTE_PGM_RSRC2:SCRATCH_EN: 0
; COMPUTE_PGM_RSRC2:USER_SGPR: 2
; COMPUTE_PGM_RSRC2:TRAP_HANDLER: 0
; COMPUTE_PGM_RSRC2:TGID_X_EN: 1
; COMPUTE_PGM_RSRC2:TGID_Y_EN: 0
; COMPUTE_PGM_RSRC2:TGID_Z_EN: 0
; COMPUTE_PGM_RSRC2:TIDIG_COMP_CNT: 0
; COMPUTE_PGM_RSRC3_GFX90A:ACCUM_OFFSET: 5
; COMPUTE_PGM_RSRC3_GFX90A:TG_SPLIT: 0
	.section	.text._ZN9rocsparseL16sddmm_csx_kernelILi512ELi2EL20rocsparse_direction_0EDF16_liDF16_DF16_DF16_EEv20rocsparse_operation_S2_16rocsparse_order_S3_T4_S4_S4_T3_NS_24const_host_device_scalarIT2_EEPKT5_lPKT6_lS8_PT7_PKS5_PKS4_21rocsparse_index_base_b,"axG",@progbits,_ZN9rocsparseL16sddmm_csx_kernelILi512ELi2EL20rocsparse_direction_0EDF16_liDF16_DF16_DF16_EEv20rocsparse_operation_S2_16rocsparse_order_S3_T4_S4_S4_T3_NS_24const_host_device_scalarIT2_EEPKT5_lPKT6_lS8_PT7_PKS5_PKS4_21rocsparse_index_base_b,comdat
	.globl	_ZN9rocsparseL16sddmm_csx_kernelILi512ELi2EL20rocsparse_direction_0EDF16_liDF16_DF16_DF16_EEv20rocsparse_operation_S2_16rocsparse_order_S3_T4_S4_S4_T3_NS_24const_host_device_scalarIT2_EEPKT5_lPKT6_lS8_PT7_PKS5_PKS4_21rocsparse_index_base_b ; -- Begin function _ZN9rocsparseL16sddmm_csx_kernelILi512ELi2EL20rocsparse_direction_0EDF16_liDF16_DF16_DF16_EEv20rocsparse_operation_S2_16rocsparse_order_S3_T4_S4_S4_T3_NS_24const_host_device_scalarIT2_EEPKT5_lPKT6_lS8_PT7_PKS5_PKS4_21rocsparse_index_base_b
	.p2align	8
	.type	_ZN9rocsparseL16sddmm_csx_kernelILi512ELi2EL20rocsparse_direction_0EDF16_liDF16_DF16_DF16_EEv20rocsparse_operation_S2_16rocsparse_order_S3_T4_S4_S4_T3_NS_24const_host_device_scalarIT2_EEPKT5_lPKT6_lS8_PT7_PKS5_PKS4_21rocsparse_index_base_b,@function
_ZN9rocsparseL16sddmm_csx_kernelILi512ELi2EL20rocsparse_direction_0EDF16_liDF16_DF16_DF16_EEv20rocsparse_operation_S2_16rocsparse_order_S3_T4_S4_S4_T3_NS_24const_host_device_scalarIT2_EEPKT5_lPKT6_lS8_PT7_PKS5_PKS4_21rocsparse_index_base_b: ; @_ZN9rocsparseL16sddmm_csx_kernelILi512ELi2EL20rocsparse_direction_0EDF16_liDF16_DF16_DF16_EEv20rocsparse_operation_S2_16rocsparse_order_S3_T4_S4_S4_T3_NS_24const_host_device_scalarIT2_EEPKT5_lPKT6_lS8_PT7_PKS5_PKS4_21rocsparse_index_base_b
; %bb.0:
	s_load_dwordx2 s[12:13], s[0:1], 0x70
	s_load_dwordx2 s[6:7], s[0:1], 0x28
	s_load_dwordx4 s[8:11], s[0:1], 0x48
	s_waitcnt lgkmcnt(0)
	s_bitcmp1_b32 s13, 0
	s_cselect_b64 s[14:15], -1, 0
	s_xor_b64 s[4:5], s[14:15], -1
	s_and_b64 vcc, exec, s[14:15]
	v_mov_b32_e32 v12, s6
	s_cbranch_vccnz .LBB88_2
; %bb.1:
	v_mov_b32_e32 v1, 0
	global_load_ushort v12, v1, s[6:7]
.LBB88_2:
	s_andn2_b64 vcc, exec, s[4:5]
	v_mov_b32_e32 v13, s10
	s_cbranch_vccnz .LBB88_4
; %bb.3:
	v_mov_b32_e32 v1, 0
	global_load_ushort v13, v1, s[10:11]
.LBB88_4:
	s_waitcnt vmcnt(0)
	v_cmp_eq_f16_e32 vcc, 0, v12
	v_cmp_eq_f16_e64 s[4:5], 1.0, v13
	s_and_b64 s[4:5], vcc, s[4:5]
	s_and_b64 vcc, exec, s[4:5]
	s_cbranch_vccnz .LBB88_32
; %bb.5:
	s_load_dword s4, s[0:1], 0x10
	v_lshrrev_b32_e32 v8, 1, v0
	v_lshl_or_b32 v2, s2, 8, v8
	v_mov_b32_e32 v3, 0
	s_waitcnt lgkmcnt(0)
	s_ashr_i32 s5, s4, 31
	v_cmp_gt_i64_e32 vcc, s[4:5], v[2:3]
	s_and_saveexec_b64 s[2:3], vcc
	s_cbranch_execz .LBB88_32
; %bb.6:
	s_load_dwordx4 s[4:7], s[0:1], 0x0
	s_load_dwordx2 s[10:11], s[0:1], 0x60
	s_load_dwordx2 s[2:3], s[0:1], 0x38
	s_waitcnt lgkmcnt(0)
	s_cmp_eq_u32 s6, 1
	s_cselect_b64 s[14:15], -1, 0
	s_cmpk_eq_i32 s4, 0x6f
	s_cselect_b64 s[16:17], -1, 0
	s_cmpk_lg_i32 s4, 0x6f
	s_cselect_b64 s[18:19], -1, 0
	s_cmp_lg_u32 s6, 1
	s_cbranch_scc0 .LBB88_10
; %bb.7:
	s_andn2_b64 vcc, exec, s[16:17]
	v_mov_b64_e32 v[6:7], v[2:3]
	s_cbranch_vccnz .LBB88_9
; %bb.8:
	v_mad_u64_u32 v[6:7], s[20:21], s2, v2, 0
	v_mov_b32_e32 v4, v7
	v_mad_u64_u32 v[4:5], s[20:21], s3, v2, v[4:5]
	v_mov_b32_e32 v7, v4
.LBB88_9:
	s_cbranch_execz .LBB88_11
	s_branch .LBB88_13
.LBB88_10:
                                        ; implicit-def: $vgpr6_vgpr7
.LBB88_11:
	s_andn2_b64 vcc, exec, s[18:19]
	v_mov_b64_e32 v[6:7], v[2:3]
	s_cbranch_vccnz .LBB88_13
; %bb.12:
	v_mad_u64_u32 v[6:7], s[18:19], s2, v2, 0
	v_mov_b32_e32 v4, v7
	v_mad_u64_u32 v[4:5], s[18:19], s3, v2, v[4:5]
	v_mov_b32_e32 v7, v4
.LBB88_13:
	v_lshl_add_u64 v[2:3], v[2:3], 3, s[10:11]
	global_load_dwordx4 v[2:5], v[2:3], off
	s_waitcnt vmcnt(0)
	v_cmp_lt_i64_e32 vcc, v[2:3], v[4:5]
	s_and_b64 exec, exec, vcc
	s_cbranch_execz .LBB88_32
; %bb.14:
	s_xor_b64 s[14:15], s[16:17], s[14:15]
	s_and_b64 s[14:15], s[14:15], exec
	s_cselect_b32 s19, 0, s3
	s_cselect_b32 s18, 1, s2
	s_cmp_lg_u32 s7, 1
	s_cselect_b64 s[14:15], -1, 0
	s_cmp_eq_u32 s7, 1
	s_cselect_b64 s[2:3], -1, 0
	s_cmpk_eq_i32 s5, 0x6f
	s_cselect_b64 s[6:7], -1, 0
	s_cmpk_lg_i32 s5, 0x6f
	v_and_b32_e32 v14, 1, v0
	s_load_dwordx2 s[20:21], s[0:1], 0x40
	s_load_dwordx2 s[16:17], s[0:1], 0x58
	;; [unrolled: 1-line block ×3, first 2 shown]
	s_load_dword s13, s[0:1], 0x18
	v_subrev_co_u32_e32 v0, vcc, s12, v2
	s_load_dwordx2 s[10:11], s[0:1], 0x68
	s_cselect_b64 s[4:5], -1, 0
	s_xor_b64 s[2:3], s[6:7], s[2:3]
	v_subbrev_co_u32_e32 v1, vcc, 0, v3, vcc
	s_and_b64 s[2:3], s[2:3], exec
	v_subrev_co_u32_e32 v2, vcc, s12, v4
	v_cndmask_b32_e64 v9, 0, 1, s[6:7]
	s_cselect_b32 s7, s9, 0
	s_cselect_b32 s6, s8, 1
	v_subbrev_co_u32_e32 v3, vcc, 0, v5, vcc
	v_mul_lo_u32 v5, s19, v14
	v_mul_lo_u32 v4, s18, v14
	v_lshlrev_b64 v[6:7], 1, v[6:7]
	v_lshlrev_b32_e32 v15, 2, v8
	v_lshl_add_u64 v[4:5], v[4:5], 1, v[6:7]
	v_mul_lo_u32 v7, s7, v14
	v_mul_lo_u32 v6, s6, v14
	v_cndmask_b32_e64 v8, 0, 1, s[4:5]
	s_waitcnt lgkmcnt(0)
	v_cmp_gt_i32_e64 s[0:1], s13, v14
	v_lshl_or_b32 v16, v14, 1, v15
	v_cmp_eq_u32_e64 s[2:3], 0, v14
	v_lshl_add_u64 v[4:5], s[22:23], 0, v[4:5]
	s_lshl_b64 s[18:19], s[18:19], 2
	v_lshl_add_u64 v[6:7], v[6:7], 1, s[20:21]
	s_lshl_b64 s[20:21], s[6:7], 2
	s_mov_b64 s[22:23], 0
	v_cmp_ne_u32_e64 s[4:5], 1, v8
	v_cmp_ne_u32_e64 s[6:7], 1, v9
	s_branch .LBB88_16
.LBB88_15:                              ;   in Loop: Header=BB88_16 Depth=1
	s_or_b64 exec, exec, s[24:25]
	v_lshl_add_u64 v[0:1], v[0:1], 0, 1
	v_cmp_ge_i64_e32 vcc, v[0:1], v[2:3]
	s_or_b64 s[22:23], vcc, s[22:23]
	s_andn2_b64 exec, exec, s[22:23]
	s_cbranch_execz .LBB88_32
.LBB88_16:                              ; =>This Loop Header: Depth=1
                                        ;     Child Loop BB88_26 Depth 2
	v_lshl_add_u64 v[8:9], v[0:1], 2, s[10:11]
	global_load_dword v8, v[8:9], off
	s_mov_b64 s[24:25], -1
	s_and_b64 vcc, exec, s[14:15]
                                        ; implicit-def: $vgpr10_vgpr11
	s_waitcnt vmcnt(0)
	v_subrev_u32_e32 v8, s12, v8
	v_ashrrev_i32_e32 v9, 31, v8
	s_cbranch_vccnz .LBB88_19
; %bb.17:                               ;   in Loop: Header=BB88_16 Depth=1
	s_andn2_b64 vcc, exec, s[24:25]
	s_cbranch_vccz .LBB88_22
.LBB88_18:                              ;   in Loop: Header=BB88_16 Depth=1
	v_mov_b32_e32 v17, 0
	s_and_saveexec_b64 s[24:25], s[0:1]
	s_cbranch_execnz .LBB88_25
	s_branch .LBB88_28
.LBB88_19:                              ;   in Loop: Header=BB88_16 Depth=1
	s_and_b64 vcc, exec, s[4:5]
	v_mov_b64_e32 v[10:11], v[8:9]
	s_cbranch_vccnz .LBB88_21
; %bb.20:                               ;   in Loop: Header=BB88_16 Depth=1
	v_mul_lo_u32 v17, s9, v8
	v_mul_lo_u32 v18, s8, v9
	v_mad_u64_u32 v[10:11], s[24:25], s8, v8, 0
	v_add3_u32 v11, v11, v18, v17
.LBB88_21:                              ;   in Loop: Header=BB88_16 Depth=1
	s_cbranch_execnz .LBB88_18
.LBB88_22:                              ;   in Loop: Header=BB88_16 Depth=1
	s_and_b64 vcc, exec, s[6:7]
	s_cbranch_vccnz .LBB88_24
; %bb.23:                               ;   in Loop: Header=BB88_16 Depth=1
	v_mul_lo_u32 v10, s9, v8
	v_mul_lo_u32 v11, s8, v9
	v_mad_u64_u32 v[8:9], s[24:25], s8, v8, 0
	v_add3_u32 v9, v9, v11, v10
.LBB88_24:                              ;   in Loop: Header=BB88_16 Depth=1
	v_mov_b64_e32 v[10:11], v[8:9]
	v_mov_b32_e32 v17, 0
	s_and_saveexec_b64 s[24:25], s[0:1]
	s_cbranch_execz .LBB88_28
.LBB88_25:                              ;   in Loop: Header=BB88_16 Depth=1
	v_lshl_add_u64 v[8:9], v[10:11], 1, v[6:7]
	v_mov_b32_e32 v17, 0
	s_mov_b64 s[26:27], 0
	v_mov_b64_e32 v[10:11], v[4:5]
	v_mov_b32_e32 v18, v14
.LBB88_26:                              ;   Parent Loop BB88_16 Depth=1
                                        ; =>  This Inner Loop Header: Depth=2
	global_load_ushort v19, v[10:11], off
	global_load_ushort v20, v[8:9], off
	v_add_u32_e32 v18, 2, v18
	v_cmp_le_i32_e32 vcc, s13, v18
	v_lshl_add_u64 v[10:11], v[10:11], 0, s[18:19]
	v_lshl_add_u64 v[8:9], v[8:9], 0, s[20:21]
	s_or_b64 s[26:27], vcc, s[26:27]
	s_waitcnt vmcnt(0)
	v_fma_f16 v17, v19, v20, v17
	s_andn2_b64 exec, exec, s[26:27]
	s_cbranch_execnz .LBB88_26
; %bb.27:                               ;   in Loop: Header=BB88_16 Depth=1
	s_or_b64 exec, exec, s[26:27]
.LBB88_28:                              ;   in Loop: Header=BB88_16 Depth=1
	s_or_b64 exec, exec, s[24:25]
	ds_write_b16 v16, v17
	s_waitcnt lgkmcnt(0)
	s_barrier
	s_and_saveexec_b64 s[24:25], s[2:3]
	s_cbranch_execz .LBB88_30
; %bb.29:                               ;   in Loop: Header=BB88_16 Depth=1
	ds_read_u16 v8, v15 offset:2
	ds_read_u16 v9, v16
	s_waitcnt lgkmcnt(0)
	v_add_f16_e32 v8, v8, v9
	ds_write_b16 v16, v8
.LBB88_30:                              ;   in Loop: Header=BB88_16 Depth=1
	s_or_b64 exec, exec, s[24:25]
	s_waitcnt lgkmcnt(0)
	s_barrier
	s_and_saveexec_b64 s[24:25], s[2:3]
	s_cbranch_execz .LBB88_15
; %bb.31:                               ;   in Loop: Header=BB88_16 Depth=1
	v_lshl_add_u64 v[8:9], v[0:1], 1, s[16:17]
	global_load_ushort v10, v[8:9], off
	ds_read_u16 v11, v15
	s_waitcnt lgkmcnt(0)
	v_mul_f16_e32 v11, v12, v11
	s_waitcnt vmcnt(0)
	v_fma_f16 v10, v13, v10, v11
	global_store_short v[8:9], v10, off
	s_branch .LBB88_15
.LBB88_32:
	s_endpgm
	.section	.rodata,"a",@progbits
	.p2align	6, 0x0
	.amdhsa_kernel _ZN9rocsparseL16sddmm_csx_kernelILi512ELi2EL20rocsparse_direction_0EDF16_liDF16_DF16_DF16_EEv20rocsparse_operation_S2_16rocsparse_order_S3_T4_S4_S4_T3_NS_24const_host_device_scalarIT2_EEPKT5_lPKT6_lS8_PT7_PKS5_PKS4_21rocsparse_index_base_b
		.amdhsa_group_segment_fixed_size 1024
		.amdhsa_private_segment_fixed_size 0
		.amdhsa_kernarg_size 120
		.amdhsa_user_sgpr_count 2
		.amdhsa_user_sgpr_dispatch_ptr 0
		.amdhsa_user_sgpr_queue_ptr 0
		.amdhsa_user_sgpr_kernarg_segment_ptr 1
		.amdhsa_user_sgpr_dispatch_id 0
		.amdhsa_user_sgpr_kernarg_preload_length 0
		.amdhsa_user_sgpr_kernarg_preload_offset 0
		.amdhsa_user_sgpr_private_segment_size 0
		.amdhsa_uses_dynamic_stack 0
		.amdhsa_enable_private_segment 0
		.amdhsa_system_sgpr_workgroup_id_x 1
		.amdhsa_system_sgpr_workgroup_id_y 0
		.amdhsa_system_sgpr_workgroup_id_z 0
		.amdhsa_system_sgpr_workgroup_info 0
		.amdhsa_system_vgpr_workitem_id 0
		.amdhsa_next_free_vgpr 21
		.amdhsa_next_free_sgpr 28
		.amdhsa_accum_offset 24
		.amdhsa_reserve_vcc 1
		.amdhsa_float_round_mode_32 0
		.amdhsa_float_round_mode_16_64 0
		.amdhsa_float_denorm_mode_32 3
		.amdhsa_float_denorm_mode_16_64 3
		.amdhsa_dx10_clamp 1
		.amdhsa_ieee_mode 1
		.amdhsa_fp16_overflow 0
		.amdhsa_tg_split 0
		.amdhsa_exception_fp_ieee_invalid_op 0
		.amdhsa_exception_fp_denorm_src 0
		.amdhsa_exception_fp_ieee_div_zero 0
		.amdhsa_exception_fp_ieee_overflow 0
		.amdhsa_exception_fp_ieee_underflow 0
		.amdhsa_exception_fp_ieee_inexact 0
		.amdhsa_exception_int_div_zero 0
	.end_amdhsa_kernel
	.section	.text._ZN9rocsparseL16sddmm_csx_kernelILi512ELi2EL20rocsparse_direction_0EDF16_liDF16_DF16_DF16_EEv20rocsparse_operation_S2_16rocsparse_order_S3_T4_S4_S4_T3_NS_24const_host_device_scalarIT2_EEPKT5_lPKT6_lS8_PT7_PKS5_PKS4_21rocsparse_index_base_b,"axG",@progbits,_ZN9rocsparseL16sddmm_csx_kernelILi512ELi2EL20rocsparse_direction_0EDF16_liDF16_DF16_DF16_EEv20rocsparse_operation_S2_16rocsparse_order_S3_T4_S4_S4_T3_NS_24const_host_device_scalarIT2_EEPKT5_lPKT6_lS8_PT7_PKS5_PKS4_21rocsparse_index_base_b,comdat
.Lfunc_end88:
	.size	_ZN9rocsparseL16sddmm_csx_kernelILi512ELi2EL20rocsparse_direction_0EDF16_liDF16_DF16_DF16_EEv20rocsparse_operation_S2_16rocsparse_order_S3_T4_S4_S4_T3_NS_24const_host_device_scalarIT2_EEPKT5_lPKT6_lS8_PT7_PKS5_PKS4_21rocsparse_index_base_b, .Lfunc_end88-_ZN9rocsparseL16sddmm_csx_kernelILi512ELi2EL20rocsparse_direction_0EDF16_liDF16_DF16_DF16_EEv20rocsparse_operation_S2_16rocsparse_order_S3_T4_S4_S4_T3_NS_24const_host_device_scalarIT2_EEPKT5_lPKT6_lS8_PT7_PKS5_PKS4_21rocsparse_index_base_b
                                        ; -- End function
	.set _ZN9rocsparseL16sddmm_csx_kernelILi512ELi2EL20rocsparse_direction_0EDF16_liDF16_DF16_DF16_EEv20rocsparse_operation_S2_16rocsparse_order_S3_T4_S4_S4_T3_NS_24const_host_device_scalarIT2_EEPKT5_lPKT6_lS8_PT7_PKS5_PKS4_21rocsparse_index_base_b.num_vgpr, 21
	.set _ZN9rocsparseL16sddmm_csx_kernelILi512ELi2EL20rocsparse_direction_0EDF16_liDF16_DF16_DF16_EEv20rocsparse_operation_S2_16rocsparse_order_S3_T4_S4_S4_T3_NS_24const_host_device_scalarIT2_EEPKT5_lPKT6_lS8_PT7_PKS5_PKS4_21rocsparse_index_base_b.num_agpr, 0
	.set _ZN9rocsparseL16sddmm_csx_kernelILi512ELi2EL20rocsparse_direction_0EDF16_liDF16_DF16_DF16_EEv20rocsparse_operation_S2_16rocsparse_order_S3_T4_S4_S4_T3_NS_24const_host_device_scalarIT2_EEPKT5_lPKT6_lS8_PT7_PKS5_PKS4_21rocsparse_index_base_b.numbered_sgpr, 28
	.set _ZN9rocsparseL16sddmm_csx_kernelILi512ELi2EL20rocsparse_direction_0EDF16_liDF16_DF16_DF16_EEv20rocsparse_operation_S2_16rocsparse_order_S3_T4_S4_S4_T3_NS_24const_host_device_scalarIT2_EEPKT5_lPKT6_lS8_PT7_PKS5_PKS4_21rocsparse_index_base_b.num_named_barrier, 0
	.set _ZN9rocsparseL16sddmm_csx_kernelILi512ELi2EL20rocsparse_direction_0EDF16_liDF16_DF16_DF16_EEv20rocsparse_operation_S2_16rocsparse_order_S3_T4_S4_S4_T3_NS_24const_host_device_scalarIT2_EEPKT5_lPKT6_lS8_PT7_PKS5_PKS4_21rocsparse_index_base_b.private_seg_size, 0
	.set _ZN9rocsparseL16sddmm_csx_kernelILi512ELi2EL20rocsparse_direction_0EDF16_liDF16_DF16_DF16_EEv20rocsparse_operation_S2_16rocsparse_order_S3_T4_S4_S4_T3_NS_24const_host_device_scalarIT2_EEPKT5_lPKT6_lS8_PT7_PKS5_PKS4_21rocsparse_index_base_b.uses_vcc, 1
	.set _ZN9rocsparseL16sddmm_csx_kernelILi512ELi2EL20rocsparse_direction_0EDF16_liDF16_DF16_DF16_EEv20rocsparse_operation_S2_16rocsparse_order_S3_T4_S4_S4_T3_NS_24const_host_device_scalarIT2_EEPKT5_lPKT6_lS8_PT7_PKS5_PKS4_21rocsparse_index_base_b.uses_flat_scratch, 0
	.set _ZN9rocsparseL16sddmm_csx_kernelILi512ELi2EL20rocsparse_direction_0EDF16_liDF16_DF16_DF16_EEv20rocsparse_operation_S2_16rocsparse_order_S3_T4_S4_S4_T3_NS_24const_host_device_scalarIT2_EEPKT5_lPKT6_lS8_PT7_PKS5_PKS4_21rocsparse_index_base_b.has_dyn_sized_stack, 0
	.set _ZN9rocsparseL16sddmm_csx_kernelILi512ELi2EL20rocsparse_direction_0EDF16_liDF16_DF16_DF16_EEv20rocsparse_operation_S2_16rocsparse_order_S3_T4_S4_S4_T3_NS_24const_host_device_scalarIT2_EEPKT5_lPKT6_lS8_PT7_PKS5_PKS4_21rocsparse_index_base_b.has_recursion, 0
	.set _ZN9rocsparseL16sddmm_csx_kernelILi512ELi2EL20rocsparse_direction_0EDF16_liDF16_DF16_DF16_EEv20rocsparse_operation_S2_16rocsparse_order_S3_T4_S4_S4_T3_NS_24const_host_device_scalarIT2_EEPKT5_lPKT6_lS8_PT7_PKS5_PKS4_21rocsparse_index_base_b.has_indirect_call, 0
	.section	.AMDGPU.csdata,"",@progbits
; Kernel info:
; codeLenInByte = 1028
; TotalNumSgprs: 34
; NumVgprs: 21
; NumAgprs: 0
; TotalNumVgprs: 21
; ScratchSize: 0
; MemoryBound: 0
; FloatMode: 240
; IeeeMode: 1
; LDSByteSize: 1024 bytes/workgroup (compile time only)
; SGPRBlocks: 4
; VGPRBlocks: 2
; NumSGPRsForWavesPerEU: 34
; NumVGPRsForWavesPerEU: 21
; AccumOffset: 24
; Occupancy: 8
; WaveLimiterHint : 0
; COMPUTE_PGM_RSRC2:SCRATCH_EN: 0
; COMPUTE_PGM_RSRC2:USER_SGPR: 2
; COMPUTE_PGM_RSRC2:TRAP_HANDLER: 0
; COMPUTE_PGM_RSRC2:TGID_X_EN: 1
; COMPUTE_PGM_RSRC2:TGID_Y_EN: 0
; COMPUTE_PGM_RSRC2:TGID_Z_EN: 0
; COMPUTE_PGM_RSRC2:TIDIG_COMP_CNT: 0
; COMPUTE_PGM_RSRC3_GFX90A:ACCUM_OFFSET: 5
; COMPUTE_PGM_RSRC3_GFX90A:TG_SPLIT: 0
	.section	.text._ZN9rocsparseL16sddmm_csx_kernelILi512ELi1EL20rocsparse_direction_0EDF16_liDF16_DF16_DF16_EEv20rocsparse_operation_S2_16rocsparse_order_S3_T4_S4_S4_T3_NS_24const_host_device_scalarIT2_EEPKT5_lPKT6_lS8_PT7_PKS5_PKS4_21rocsparse_index_base_b,"axG",@progbits,_ZN9rocsparseL16sddmm_csx_kernelILi512ELi1EL20rocsparse_direction_0EDF16_liDF16_DF16_DF16_EEv20rocsparse_operation_S2_16rocsparse_order_S3_T4_S4_S4_T3_NS_24const_host_device_scalarIT2_EEPKT5_lPKT6_lS8_PT7_PKS5_PKS4_21rocsparse_index_base_b,comdat
	.globl	_ZN9rocsparseL16sddmm_csx_kernelILi512ELi1EL20rocsparse_direction_0EDF16_liDF16_DF16_DF16_EEv20rocsparse_operation_S2_16rocsparse_order_S3_T4_S4_S4_T3_NS_24const_host_device_scalarIT2_EEPKT5_lPKT6_lS8_PT7_PKS5_PKS4_21rocsparse_index_base_b ; -- Begin function _ZN9rocsparseL16sddmm_csx_kernelILi512ELi1EL20rocsparse_direction_0EDF16_liDF16_DF16_DF16_EEv20rocsparse_operation_S2_16rocsparse_order_S3_T4_S4_S4_T3_NS_24const_host_device_scalarIT2_EEPKT5_lPKT6_lS8_PT7_PKS5_PKS4_21rocsparse_index_base_b
	.p2align	8
	.type	_ZN9rocsparseL16sddmm_csx_kernelILi512ELi1EL20rocsparse_direction_0EDF16_liDF16_DF16_DF16_EEv20rocsparse_operation_S2_16rocsparse_order_S3_T4_S4_S4_T3_NS_24const_host_device_scalarIT2_EEPKT5_lPKT6_lS8_PT7_PKS5_PKS4_21rocsparse_index_base_b,@function
_ZN9rocsparseL16sddmm_csx_kernelILi512ELi1EL20rocsparse_direction_0EDF16_liDF16_DF16_DF16_EEv20rocsparse_operation_S2_16rocsparse_order_S3_T4_S4_S4_T3_NS_24const_host_device_scalarIT2_EEPKT5_lPKT6_lS8_PT7_PKS5_PKS4_21rocsparse_index_base_b: ; @_ZN9rocsparseL16sddmm_csx_kernelILi512ELi1EL20rocsparse_direction_0EDF16_liDF16_DF16_DF16_EEv20rocsparse_operation_S2_16rocsparse_order_S3_T4_S4_S4_T3_NS_24const_host_device_scalarIT2_EEPKT5_lPKT6_lS8_PT7_PKS5_PKS4_21rocsparse_index_base_b
; %bb.0:
	s_load_dwordx2 s[12:13], s[0:1], 0x70
	s_load_dwordx2 s[6:7], s[0:1], 0x28
	s_load_dwordx4 s[8:11], s[0:1], 0x48
	s_waitcnt lgkmcnt(0)
	s_bitcmp1_b32 s13, 0
	s_cselect_b64 s[14:15], -1, 0
	s_xor_b64 s[4:5], s[14:15], -1
	s_and_b64 vcc, exec, s[14:15]
	v_mov_b32_e32 v10, s6
	s_cbranch_vccnz .LBB89_2
; %bb.1:
	v_mov_b32_e32 v1, 0
	global_load_ushort v10, v1, s[6:7]
.LBB89_2:
	s_andn2_b64 vcc, exec, s[4:5]
	v_mov_b32_e32 v11, s10
	s_cbranch_vccnz .LBB89_4
; %bb.3:
	v_mov_b32_e32 v1, 0
	global_load_ushort v11, v1, s[10:11]
.LBB89_4:
	s_waitcnt vmcnt(0)
	v_cmp_eq_f16_e32 vcc, 0, v10
	v_cmp_eq_f16_e64 s[4:5], 1.0, v11
	s_and_b64 s[4:5], vcc, s[4:5]
	s_and_b64 vcc, exec, s[4:5]
	s_cbranch_vccnz .LBB89_28
; %bb.5:
	s_load_dword s4, s[0:1], 0x10
	v_lshl_or_b32 v2, s2, 9, v0
	v_mov_b32_e32 v3, 0
	s_waitcnt lgkmcnt(0)
	s_ashr_i32 s5, s4, 31
	v_cmp_gt_i64_e32 vcc, s[4:5], v[2:3]
	s_and_saveexec_b64 s[2:3], vcc
	s_cbranch_execz .LBB89_28
; %bb.6:
	s_load_dwordx4 s[4:7], s[0:1], 0x0
	s_load_dwordx2 s[10:11], s[0:1], 0x60
	s_load_dwordx2 s[2:3], s[0:1], 0x38
	s_waitcnt lgkmcnt(0)
	s_cmp_eq_u32 s6, 1
	s_cselect_b64 s[18:19], -1, 0
	s_cmpk_eq_i32 s4, 0x6f
	s_cselect_b64 s[20:21], -1, 0
	s_cmpk_lg_i32 s4, 0x6f
	s_cselect_b64 s[14:15], -1, 0
	s_cmp_lg_u32 s6, 1
	s_cbranch_scc0 .LBB89_10
; %bb.7:
	s_andn2_b64 vcc, exec, s[20:21]
	v_mov_b64_e32 v[6:7], v[2:3]
	s_cbranch_vccnz .LBB89_9
; %bb.8:
	v_mad_u64_u32 v[6:7], s[16:17], s2, v2, 0
	v_mov_b32_e32 v4, v7
	v_mad_u64_u32 v[4:5], s[16:17], s3, v2, v[4:5]
	v_mov_b32_e32 v7, v4
.LBB89_9:
	s_cbranch_execz .LBB89_11
	s_branch .LBB89_13
.LBB89_10:
                                        ; implicit-def: $vgpr6_vgpr7
.LBB89_11:
	s_andn2_b64 vcc, exec, s[14:15]
	v_mov_b64_e32 v[6:7], v[2:3]
	s_cbranch_vccnz .LBB89_13
; %bb.12:
	v_mad_u64_u32 v[6:7], s[14:15], s2, v2, 0
	v_mov_b32_e32 v4, v7
	v_mad_u64_u32 v[4:5], s[14:15], s3, v2, v[4:5]
	v_mov_b32_e32 v7, v4
.LBB89_13:
	v_lshl_add_u64 v[2:3], v[2:3], 3, s[10:11]
	global_load_dwordx4 v[2:5], v[2:3], off
	s_waitcnt vmcnt(0)
	v_cmp_lt_i64_e32 vcc, v[2:3], v[4:5]
	s_and_b64 exec, exec, vcc
	s_cbranch_execz .LBB89_28
; %bb.14:
	s_load_dwordx2 s[22:23], s[0:1], 0x30
	s_load_dwordx2 s[10:11], s[0:1], 0x68
	;; [unrolled: 1-line block ×4, first 2 shown]
	s_load_dword s13, s[0:1], 0x18
	s_xor_b64 s[0:1], s[20:21], s[18:19]
	s_and_b64 s[0:1], s[0:1], exec
	s_cselect_b32 s1, 0, s3
	s_cselect_b32 s0, 1, s2
	s_cmp_lg_u32 s7, 1
	s_cselect_b64 s[18:19], -1, 0
	s_cmp_eq_u32 s7, 1
	s_cselect_b64 s[2:3], -1, 0
	s_cmpk_eq_i32 s5, 0x6f
	s_cselect_b64 s[6:7], -1, 0
	s_cmpk_lg_i32 s5, 0x6f
	s_cselect_b64 s[4:5], -1, 0
	s_xor_b64 s[2:3], s[6:7], s[2:3]
	s_and_b64 s[2:3], s[2:3], exec
	v_subrev_co_u32_e32 v2, vcc, s12, v2
	s_cselect_b32 s3, s9, 0
	s_cselect_b32 s2, s8, 1
	v_subbrev_co_u32_e32 v3, vcc, 0, v3, vcc
	s_waitcnt lgkmcnt(0)
	s_cmp_gt_i32 s13, 0
	s_cselect_b64 s[24:25], -1, 0
	v_lshlrev_b32_e32 v12, 1, v0
	v_subrev_co_u32_e32 v0, vcc, s12, v4
	v_cndmask_b32_e64 v4, 0, 1, s[4:5]
	v_cndmask_b32_e64 v8, 0, 1, s[6:7]
	s_lshl_b64 s[6:7], s[0:1], 1
	v_cmp_ne_u32_e64 s[0:1], 1, v4
	v_cndmask_b32_e64 v4, 0, 1, s[24:25]
	v_lshl_add_u64 v[6:7], v[6:7], 1, s[22:23]
	v_subbrev_co_u32_e32 v1, vcc, 0, v5, vcc
	s_lshl_b64 s[20:21], s[2:3], 1
	s_mov_b64 s[22:23], 0
	v_cmp_ne_u32_e64 s[2:3], 1, v8
	v_cmp_ne_u32_e64 s[4:5], 1, v4
	s_branch .LBB89_17
.LBB89_15:                              ;   in Loop: Header=BB89_17 Depth=1
	v_mov_b32_e32 v13, 0
.LBB89_16:                              ;   in Loop: Header=BB89_17 Depth=1
	v_lshl_add_u64 v[4:5], v[2:3], 1, s[16:17]
	ds_write_b16 v12, v13
	s_waitcnt lgkmcnt(0)
	s_barrier
	global_load_ushort v8, v[4:5], off
	ds_read_u16 v9, v12
	v_lshl_add_u64 v[2:3], v[2:3], 0, 1
	v_cmp_ge_i64_e32 vcc, v[2:3], v[0:1]
	s_or_b64 s[22:23], vcc, s[22:23]
	s_waitcnt lgkmcnt(0)
	v_mul_f16_e32 v9, v10, v9
	s_waitcnt vmcnt(0)
	v_fma_f16 v8, v11, v8, v9
	global_store_short v[4:5], v8, off
	s_andn2_b64 exec, exec, s[22:23]
	s_cbranch_execz .LBB89_28
.LBB89_17:                              ; =>This Loop Header: Depth=1
                                        ;     Child Loop BB89_27 Depth 2
	v_lshl_add_u64 v[4:5], v[2:3], 2, s[10:11]
	global_load_dword v4, v[4:5], off
	s_mov_b64 s[24:25], -1
	s_and_b64 vcc, exec, s[18:19]
                                        ; implicit-def: $vgpr8_vgpr9
	s_waitcnt vmcnt(0)
	v_subrev_u32_e32 v4, s12, v4
	v_ashrrev_i32_e32 v5, 31, v4
	s_cbranch_vccnz .LBB89_20
; %bb.18:                               ;   in Loop: Header=BB89_17 Depth=1
	s_andn2_b64 vcc, exec, s[24:25]
	s_cbranch_vccz .LBB89_23
.LBB89_19:                              ;   in Loop: Header=BB89_17 Depth=1
	s_and_b64 vcc, exec, s[4:5]
	s_cbranch_vccz .LBB89_26
	s_branch .LBB89_15
.LBB89_20:                              ;   in Loop: Header=BB89_17 Depth=1
	s_and_b64 vcc, exec, s[0:1]
	v_mov_b64_e32 v[8:9], v[4:5]
	s_cbranch_vccnz .LBB89_22
; %bb.21:                               ;   in Loop: Header=BB89_17 Depth=1
	v_mul_lo_u32 v13, s9, v4
	v_mul_lo_u32 v14, s8, v5
	v_mad_u64_u32 v[8:9], s[24:25], s8, v4, 0
	v_add3_u32 v9, v9, v14, v13
.LBB89_22:                              ;   in Loop: Header=BB89_17 Depth=1
	s_cbranch_execnz .LBB89_19
.LBB89_23:                              ;   in Loop: Header=BB89_17 Depth=1
	s_and_b64 vcc, exec, s[2:3]
	s_cbranch_vccnz .LBB89_25
; %bb.24:                               ;   in Loop: Header=BB89_17 Depth=1
	v_mul_lo_u32 v8, s9, v4
	v_mul_lo_u32 v9, s8, v5
	v_mad_u64_u32 v[4:5], s[24:25], s8, v4, 0
	v_add3_u32 v5, v5, v9, v8
.LBB89_25:                              ;   in Loop: Header=BB89_17 Depth=1
	v_mov_b64_e32 v[8:9], v[4:5]
	s_and_b64 vcc, exec, s[4:5]
	s_cbranch_vccnz .LBB89_15
.LBB89_26:                              ;   in Loop: Header=BB89_17 Depth=1
	v_lshl_add_u64 v[4:5], v[8:9], 1, s[14:15]
	v_mov_b32_e32 v13, 0
	v_mov_b64_e32 v[8:9], v[6:7]
	s_mov_b32 s24, s13
.LBB89_27:                              ;   Parent Loop BB89_17 Depth=1
                                        ; =>  This Inner Loop Header: Depth=2
	global_load_ushort v14, v[8:9], off
	global_load_ushort v15, v[4:5], off
	s_add_i32 s24, s24, -1
	v_lshl_add_u64 v[8:9], v[8:9], 0, s[6:7]
	v_lshl_add_u64 v[4:5], v[4:5], 0, s[20:21]
	s_cmp_eq_u32 s24, 0
	s_waitcnt vmcnt(0)
	v_fma_f16 v13, v14, v15, v13
	s_cbranch_scc0 .LBB89_27
	s_branch .LBB89_16
.LBB89_28:
	s_endpgm
	.section	.rodata,"a",@progbits
	.p2align	6, 0x0
	.amdhsa_kernel _ZN9rocsparseL16sddmm_csx_kernelILi512ELi1EL20rocsparse_direction_0EDF16_liDF16_DF16_DF16_EEv20rocsparse_operation_S2_16rocsparse_order_S3_T4_S4_S4_T3_NS_24const_host_device_scalarIT2_EEPKT5_lPKT6_lS8_PT7_PKS5_PKS4_21rocsparse_index_base_b
		.amdhsa_group_segment_fixed_size 1024
		.amdhsa_private_segment_fixed_size 0
		.amdhsa_kernarg_size 120
		.amdhsa_user_sgpr_count 2
		.amdhsa_user_sgpr_dispatch_ptr 0
		.amdhsa_user_sgpr_queue_ptr 0
		.amdhsa_user_sgpr_kernarg_segment_ptr 1
		.amdhsa_user_sgpr_dispatch_id 0
		.amdhsa_user_sgpr_kernarg_preload_length 0
		.amdhsa_user_sgpr_kernarg_preload_offset 0
		.amdhsa_user_sgpr_private_segment_size 0
		.amdhsa_uses_dynamic_stack 0
		.amdhsa_enable_private_segment 0
		.amdhsa_system_sgpr_workgroup_id_x 1
		.amdhsa_system_sgpr_workgroup_id_y 0
		.amdhsa_system_sgpr_workgroup_id_z 0
		.amdhsa_system_sgpr_workgroup_info 0
		.amdhsa_system_vgpr_workitem_id 0
		.amdhsa_next_free_vgpr 16
		.amdhsa_next_free_sgpr 26
		.amdhsa_accum_offset 16
		.amdhsa_reserve_vcc 1
		.amdhsa_float_round_mode_32 0
		.amdhsa_float_round_mode_16_64 0
		.amdhsa_float_denorm_mode_32 3
		.amdhsa_float_denorm_mode_16_64 3
		.amdhsa_dx10_clamp 1
		.amdhsa_ieee_mode 1
		.amdhsa_fp16_overflow 0
		.amdhsa_tg_split 0
		.amdhsa_exception_fp_ieee_invalid_op 0
		.amdhsa_exception_fp_denorm_src 0
		.amdhsa_exception_fp_ieee_div_zero 0
		.amdhsa_exception_fp_ieee_overflow 0
		.amdhsa_exception_fp_ieee_underflow 0
		.amdhsa_exception_fp_ieee_inexact 0
		.amdhsa_exception_int_div_zero 0
	.end_amdhsa_kernel
	.section	.text._ZN9rocsparseL16sddmm_csx_kernelILi512ELi1EL20rocsparse_direction_0EDF16_liDF16_DF16_DF16_EEv20rocsparse_operation_S2_16rocsparse_order_S3_T4_S4_S4_T3_NS_24const_host_device_scalarIT2_EEPKT5_lPKT6_lS8_PT7_PKS5_PKS4_21rocsparse_index_base_b,"axG",@progbits,_ZN9rocsparseL16sddmm_csx_kernelILi512ELi1EL20rocsparse_direction_0EDF16_liDF16_DF16_DF16_EEv20rocsparse_operation_S2_16rocsparse_order_S3_T4_S4_S4_T3_NS_24const_host_device_scalarIT2_EEPKT5_lPKT6_lS8_PT7_PKS5_PKS4_21rocsparse_index_base_b,comdat
.Lfunc_end89:
	.size	_ZN9rocsparseL16sddmm_csx_kernelILi512ELi1EL20rocsparse_direction_0EDF16_liDF16_DF16_DF16_EEv20rocsparse_operation_S2_16rocsparse_order_S3_T4_S4_S4_T3_NS_24const_host_device_scalarIT2_EEPKT5_lPKT6_lS8_PT7_PKS5_PKS4_21rocsparse_index_base_b, .Lfunc_end89-_ZN9rocsparseL16sddmm_csx_kernelILi512ELi1EL20rocsparse_direction_0EDF16_liDF16_DF16_DF16_EEv20rocsparse_operation_S2_16rocsparse_order_S3_T4_S4_S4_T3_NS_24const_host_device_scalarIT2_EEPKT5_lPKT6_lS8_PT7_PKS5_PKS4_21rocsparse_index_base_b
                                        ; -- End function
	.set _ZN9rocsparseL16sddmm_csx_kernelILi512ELi1EL20rocsparse_direction_0EDF16_liDF16_DF16_DF16_EEv20rocsparse_operation_S2_16rocsparse_order_S3_T4_S4_S4_T3_NS_24const_host_device_scalarIT2_EEPKT5_lPKT6_lS8_PT7_PKS5_PKS4_21rocsparse_index_base_b.num_vgpr, 16
	.set _ZN9rocsparseL16sddmm_csx_kernelILi512ELi1EL20rocsparse_direction_0EDF16_liDF16_DF16_DF16_EEv20rocsparse_operation_S2_16rocsparse_order_S3_T4_S4_S4_T3_NS_24const_host_device_scalarIT2_EEPKT5_lPKT6_lS8_PT7_PKS5_PKS4_21rocsparse_index_base_b.num_agpr, 0
	.set _ZN9rocsparseL16sddmm_csx_kernelILi512ELi1EL20rocsparse_direction_0EDF16_liDF16_DF16_DF16_EEv20rocsparse_operation_S2_16rocsparse_order_S3_T4_S4_S4_T3_NS_24const_host_device_scalarIT2_EEPKT5_lPKT6_lS8_PT7_PKS5_PKS4_21rocsparse_index_base_b.numbered_sgpr, 26
	.set _ZN9rocsparseL16sddmm_csx_kernelILi512ELi1EL20rocsparse_direction_0EDF16_liDF16_DF16_DF16_EEv20rocsparse_operation_S2_16rocsparse_order_S3_T4_S4_S4_T3_NS_24const_host_device_scalarIT2_EEPKT5_lPKT6_lS8_PT7_PKS5_PKS4_21rocsparse_index_base_b.num_named_barrier, 0
	.set _ZN9rocsparseL16sddmm_csx_kernelILi512ELi1EL20rocsparse_direction_0EDF16_liDF16_DF16_DF16_EEv20rocsparse_operation_S2_16rocsparse_order_S3_T4_S4_S4_T3_NS_24const_host_device_scalarIT2_EEPKT5_lPKT6_lS8_PT7_PKS5_PKS4_21rocsparse_index_base_b.private_seg_size, 0
	.set _ZN9rocsparseL16sddmm_csx_kernelILi512ELi1EL20rocsparse_direction_0EDF16_liDF16_DF16_DF16_EEv20rocsparse_operation_S2_16rocsparse_order_S3_T4_S4_S4_T3_NS_24const_host_device_scalarIT2_EEPKT5_lPKT6_lS8_PT7_PKS5_PKS4_21rocsparse_index_base_b.uses_vcc, 1
	.set _ZN9rocsparseL16sddmm_csx_kernelILi512ELi1EL20rocsparse_direction_0EDF16_liDF16_DF16_DF16_EEv20rocsparse_operation_S2_16rocsparse_order_S3_T4_S4_S4_T3_NS_24const_host_device_scalarIT2_EEPKT5_lPKT6_lS8_PT7_PKS5_PKS4_21rocsparse_index_base_b.uses_flat_scratch, 0
	.set _ZN9rocsparseL16sddmm_csx_kernelILi512ELi1EL20rocsparse_direction_0EDF16_liDF16_DF16_DF16_EEv20rocsparse_operation_S2_16rocsparse_order_S3_T4_S4_S4_T3_NS_24const_host_device_scalarIT2_EEPKT5_lPKT6_lS8_PT7_PKS5_PKS4_21rocsparse_index_base_b.has_dyn_sized_stack, 0
	.set _ZN9rocsparseL16sddmm_csx_kernelILi512ELi1EL20rocsparse_direction_0EDF16_liDF16_DF16_DF16_EEv20rocsparse_operation_S2_16rocsparse_order_S3_T4_S4_S4_T3_NS_24const_host_device_scalarIT2_EEPKT5_lPKT6_lS8_PT7_PKS5_PKS4_21rocsparse_index_base_b.has_recursion, 0
	.set _ZN9rocsparseL16sddmm_csx_kernelILi512ELi1EL20rocsparse_direction_0EDF16_liDF16_DF16_DF16_EEv20rocsparse_operation_S2_16rocsparse_order_S3_T4_S4_S4_T3_NS_24const_host_device_scalarIT2_EEPKT5_lPKT6_lS8_PT7_PKS5_PKS4_21rocsparse_index_base_b.has_indirect_call, 0
	.section	.AMDGPU.csdata,"",@progbits
; Kernel info:
; codeLenInByte = 876
; TotalNumSgprs: 32
; NumVgprs: 16
; NumAgprs: 0
; TotalNumVgprs: 16
; ScratchSize: 0
; MemoryBound: 0
; FloatMode: 240
; IeeeMode: 1
; LDSByteSize: 1024 bytes/workgroup (compile time only)
; SGPRBlocks: 3
; VGPRBlocks: 1
; NumSGPRsForWavesPerEU: 32
; NumVGPRsForWavesPerEU: 16
; AccumOffset: 16
; Occupancy: 8
; WaveLimiterHint : 0
; COMPUTE_PGM_RSRC2:SCRATCH_EN: 0
; COMPUTE_PGM_RSRC2:USER_SGPR: 2
; COMPUTE_PGM_RSRC2:TRAP_HANDLER: 0
; COMPUTE_PGM_RSRC2:TGID_X_EN: 1
; COMPUTE_PGM_RSRC2:TGID_Y_EN: 0
; COMPUTE_PGM_RSRC2:TGID_Z_EN: 0
; COMPUTE_PGM_RSRC2:TIDIG_COMP_CNT: 0
; COMPUTE_PGM_RSRC3_GFX90A:ACCUM_OFFSET: 3
; COMPUTE_PGM_RSRC3_GFX90A:TG_SPLIT: 0
	.section	.text._ZN9rocsparseL16csr2dense_kernelILi16ELi32ElifEEviT2_S1_PKT3_PKT1_PKS1_PS2_l16rocsparse_order_,"axG",@progbits,_ZN9rocsparseL16csr2dense_kernelILi16ELi32ElifEEviT2_S1_PKT3_PKT1_PKS1_PS2_l16rocsparse_order_,comdat
	.globl	_ZN9rocsparseL16csr2dense_kernelILi16ELi32ElifEEviT2_S1_PKT3_PKT1_PKS1_PS2_l16rocsparse_order_ ; -- Begin function _ZN9rocsparseL16csr2dense_kernelILi16ELi32ElifEEviT2_S1_PKT3_PKT1_PKS1_PS2_l16rocsparse_order_
	.p2align	8
	.type	_ZN9rocsparseL16csr2dense_kernelILi16ELi32ElifEEviT2_S1_PKT3_PKT1_PKS1_PS2_l16rocsparse_order_,@function
_ZN9rocsparseL16csr2dense_kernelILi16ELi32ElifEEviT2_S1_PKT3_PKT1_PKS1_PS2_l16rocsparse_order_: ; @_ZN9rocsparseL16csr2dense_kernelILi16ELi32ElifEEviT2_S1_PKT3_PKT1_PKS1_PS2_l16rocsparse_order_
; %bb.0:
	s_load_dwordx2 s[4:5], s[0:1], 0x0
	v_lshrrev_b32_e32 v1, 5, v0
	v_lshl_or_b32 v8, s2, 4, v1
	s_waitcnt lgkmcnt(0)
	v_cmp_gt_i32_e32 vcc, s5, v8
	s_and_saveexec_b64 s[2:3], vcc
	s_cbranch_execz .LBB90_8
; %bb.1:
	s_load_dwordx2 s[2:3], s[0:1], 0x18
	v_ashrrev_i32_e32 v9, 31, v8
	v_and_b32_e32 v0, 31, v0
	v_mov_b32_e32 v1, 0
	s_waitcnt lgkmcnt(0)
	v_lshl_add_u64 v[2:3], v[8:9], 3, s[2:3]
	global_load_dwordx4 v[2:5], v[2:3], off
	s_waitcnt vmcnt(0)
	v_sub_co_u32_e32 v4, vcc, v4, v2
	s_nop 1
	v_subb_co_u32_e32 v5, vcc, v5, v3, vcc
	v_cmp_gt_i64_e32 vcc, v[4:5], v[0:1]
	s_and_b64 exec, exec, vcc
	s_cbranch_execz .LBB90_8
; %bb.2:
	s_load_dwordx4 s[8:11], s[0:1], 0x20
	s_load_dword s5, s[0:1], 0x38
	s_load_dwordx2 s[6:7], s[0:1], 0x10
	s_load_dwordx2 s[2:3], s[0:1], 0x30
	s_ashr_i32 s14, s4, 31
	s_waitcnt lgkmcnt(0)
	v_lshl_add_u64 v[6:7], v[8:9], 2, s[10:11]
	v_lshl_add_u64 v[2:3], v[2:3], 0, v[0:1]
	v_subrev_co_u32_e32 v2, vcc, s4, v2
	v_mul_lo_u32 v10, s3, v8
	v_mul_lo_u32 v11, s2, v9
	v_mad_u64_u32 v[8:9], s[12:13], s2, v8, 0
	v_add3_u32 v9, v9, v11, v10
	v_mov_b32_e32 v10, s14
	v_subb_co_u32_e32 v3, vcc, v3, v10, vcc
	s_cmp_lg_u32 s5, 1
	v_lshlrev_b64 v[10:11], 2, v[2:3]
	s_cselect_b64 s[0:1], -1, 0
	v_lshl_add_u64 v[8:9], v[8:9], 2, s[10:11]
	v_lshl_add_u64 v[2:3], s[8:9], 0, v[10:11]
	v_lshl_add_u64 v[10:11], s[6:7], 0, v[10:11]
	s_mov_b64 s[6:7], 0
	s_mov_b64 s[8:9], 0x80
	s_branch .LBB90_4
.LBB90_3:                               ;   in Loop: Header=BB90_4 Depth=1
	v_lshl_add_u64 v[0:1], v[0:1], 0, 32
	v_cmp_ge_i64_e32 vcc, v[0:1], v[4:5]
	v_lshl_add_u64 v[2:3], v[2:3], 0, s[8:9]
	s_or_b64 s[6:7], vcc, s[6:7]
	v_lshl_add_u64 v[10:11], v[10:11], 0, s[8:9]
	s_andn2_b64 exec, exec, s[6:7]
	s_cbranch_execz .LBB90_8
.LBB90_4:                               ; =>This Inner Loop Header: Depth=1
	s_barrier
	global_load_dword v12, v[2:3], off
	global_load_dword v14, v[10:11], off
	s_mov_b64 s[10:11], -1
	s_and_b64 vcc, exec, s[0:1]
	s_waitcnt vmcnt(1)
	v_subrev_u32_e32 v12, s4, v12
	v_ashrrev_i32_e32 v13, 31, v12
	s_cbranch_vccz .LBB90_6
; %bb.5:                                ;   in Loop: Header=BB90_4 Depth=1
	v_lshl_add_u64 v[16:17], v[12:13], 2, v[8:9]
	s_waitcnt vmcnt(0)
	global_store_dword v[16:17], v14, off
	s_mov_b64 s[10:11], 0
.LBB90_6:                               ;   in Loop: Header=BB90_4 Depth=1
	s_andn2_b64 vcc, exec, s[10:11]
	s_cbranch_vccnz .LBB90_3
; %bb.7:                                ;   in Loop: Header=BB90_4 Depth=1
	v_mul_lo_u32 v15, s3, v12
	v_mul_lo_u32 v16, s2, v13
	v_mad_u64_u32 v[12:13], s[10:11], s2, v12, 0
	v_add3_u32 v13, v13, v16, v15
	v_lshl_add_u64 v[12:13], v[12:13], 2, v[6:7]
	s_waitcnt vmcnt(0)
	global_store_dword v[12:13], v14, off
	s_branch .LBB90_3
.LBB90_8:
	s_endpgm
	.section	.rodata,"a",@progbits
	.p2align	6, 0x0
	.amdhsa_kernel _ZN9rocsparseL16csr2dense_kernelILi16ELi32ElifEEviT2_S1_PKT3_PKT1_PKS1_PS2_l16rocsparse_order_
		.amdhsa_group_segment_fixed_size 0
		.amdhsa_private_segment_fixed_size 0
		.amdhsa_kernarg_size 60
		.amdhsa_user_sgpr_count 2
		.amdhsa_user_sgpr_dispatch_ptr 0
		.amdhsa_user_sgpr_queue_ptr 0
		.amdhsa_user_sgpr_kernarg_segment_ptr 1
		.amdhsa_user_sgpr_dispatch_id 0
		.amdhsa_user_sgpr_kernarg_preload_length 0
		.amdhsa_user_sgpr_kernarg_preload_offset 0
		.amdhsa_user_sgpr_private_segment_size 0
		.amdhsa_uses_dynamic_stack 0
		.amdhsa_enable_private_segment 0
		.amdhsa_system_sgpr_workgroup_id_x 1
		.amdhsa_system_sgpr_workgroup_id_y 0
		.amdhsa_system_sgpr_workgroup_id_z 0
		.amdhsa_system_sgpr_workgroup_info 0
		.amdhsa_system_vgpr_workitem_id 0
		.amdhsa_next_free_vgpr 18
		.amdhsa_next_free_sgpr 15
		.amdhsa_accum_offset 20
		.amdhsa_reserve_vcc 1
		.amdhsa_float_round_mode_32 0
		.amdhsa_float_round_mode_16_64 0
		.amdhsa_float_denorm_mode_32 3
		.amdhsa_float_denorm_mode_16_64 3
		.amdhsa_dx10_clamp 1
		.amdhsa_ieee_mode 1
		.amdhsa_fp16_overflow 0
		.amdhsa_tg_split 0
		.amdhsa_exception_fp_ieee_invalid_op 0
		.amdhsa_exception_fp_denorm_src 0
		.amdhsa_exception_fp_ieee_div_zero 0
		.amdhsa_exception_fp_ieee_overflow 0
		.amdhsa_exception_fp_ieee_underflow 0
		.amdhsa_exception_fp_ieee_inexact 0
		.amdhsa_exception_int_div_zero 0
	.end_amdhsa_kernel
	.section	.text._ZN9rocsparseL16csr2dense_kernelILi16ELi32ElifEEviT2_S1_PKT3_PKT1_PKS1_PS2_l16rocsparse_order_,"axG",@progbits,_ZN9rocsparseL16csr2dense_kernelILi16ELi32ElifEEviT2_S1_PKT3_PKT1_PKS1_PS2_l16rocsparse_order_,comdat
.Lfunc_end90:
	.size	_ZN9rocsparseL16csr2dense_kernelILi16ELi32ElifEEviT2_S1_PKT3_PKT1_PKS1_PS2_l16rocsparse_order_, .Lfunc_end90-_ZN9rocsparseL16csr2dense_kernelILi16ELi32ElifEEviT2_S1_PKT3_PKT1_PKS1_PS2_l16rocsparse_order_
                                        ; -- End function
	.set _ZN9rocsparseL16csr2dense_kernelILi16ELi32ElifEEviT2_S1_PKT3_PKT1_PKS1_PS2_l16rocsparse_order_.num_vgpr, 18
	.set _ZN9rocsparseL16csr2dense_kernelILi16ELi32ElifEEviT2_S1_PKT3_PKT1_PKS1_PS2_l16rocsparse_order_.num_agpr, 0
	.set _ZN9rocsparseL16csr2dense_kernelILi16ELi32ElifEEviT2_S1_PKT3_PKT1_PKS1_PS2_l16rocsparse_order_.numbered_sgpr, 15
	.set _ZN9rocsparseL16csr2dense_kernelILi16ELi32ElifEEviT2_S1_PKT3_PKT1_PKS1_PS2_l16rocsparse_order_.num_named_barrier, 0
	.set _ZN9rocsparseL16csr2dense_kernelILi16ELi32ElifEEviT2_S1_PKT3_PKT1_PKS1_PS2_l16rocsparse_order_.private_seg_size, 0
	.set _ZN9rocsparseL16csr2dense_kernelILi16ELi32ElifEEviT2_S1_PKT3_PKT1_PKS1_PS2_l16rocsparse_order_.uses_vcc, 1
	.set _ZN9rocsparseL16csr2dense_kernelILi16ELi32ElifEEviT2_S1_PKT3_PKT1_PKS1_PS2_l16rocsparse_order_.uses_flat_scratch, 0
	.set _ZN9rocsparseL16csr2dense_kernelILi16ELi32ElifEEviT2_S1_PKT3_PKT1_PKS1_PS2_l16rocsparse_order_.has_dyn_sized_stack, 0
	.set _ZN9rocsparseL16csr2dense_kernelILi16ELi32ElifEEviT2_S1_PKT3_PKT1_PKS1_PS2_l16rocsparse_order_.has_recursion, 0
	.set _ZN9rocsparseL16csr2dense_kernelILi16ELi32ElifEEviT2_S1_PKT3_PKT1_PKS1_PS2_l16rocsparse_order_.has_indirect_call, 0
	.section	.AMDGPU.csdata,"",@progbits
; Kernel info:
; codeLenInByte = 436
; TotalNumSgprs: 21
; NumVgprs: 18
; NumAgprs: 0
; TotalNumVgprs: 18
; ScratchSize: 0
; MemoryBound: 0
; FloatMode: 240
; IeeeMode: 1
; LDSByteSize: 0 bytes/workgroup (compile time only)
; SGPRBlocks: 2
; VGPRBlocks: 2
; NumSGPRsForWavesPerEU: 21
; NumVGPRsForWavesPerEU: 18
; AccumOffset: 20
; Occupancy: 8
; WaveLimiterHint : 1
; COMPUTE_PGM_RSRC2:SCRATCH_EN: 0
; COMPUTE_PGM_RSRC2:USER_SGPR: 2
; COMPUTE_PGM_RSRC2:TRAP_HANDLER: 0
; COMPUTE_PGM_RSRC2:TGID_X_EN: 1
; COMPUTE_PGM_RSRC2:TGID_Y_EN: 0
; COMPUTE_PGM_RSRC2:TGID_Z_EN: 0
; COMPUTE_PGM_RSRC2:TIDIG_COMP_CNT: 0
; COMPUTE_PGM_RSRC3_GFX90A:ACCUM_OFFSET: 4
; COMPUTE_PGM_RSRC3_GFX90A:TG_SPLIT: 0
	.section	.text._ZN9rocsparseL16csr2dense_kernelILi16ELi64ElifEEviT2_S1_PKT3_PKT1_PKS1_PS2_l16rocsparse_order_,"axG",@progbits,_ZN9rocsparseL16csr2dense_kernelILi16ELi64ElifEEviT2_S1_PKT3_PKT1_PKS1_PS2_l16rocsparse_order_,comdat
	.globl	_ZN9rocsparseL16csr2dense_kernelILi16ELi64ElifEEviT2_S1_PKT3_PKT1_PKS1_PS2_l16rocsparse_order_ ; -- Begin function _ZN9rocsparseL16csr2dense_kernelILi16ELi64ElifEEviT2_S1_PKT3_PKT1_PKS1_PS2_l16rocsparse_order_
	.p2align	8
	.type	_ZN9rocsparseL16csr2dense_kernelILi16ELi64ElifEEviT2_S1_PKT3_PKT1_PKS1_PS2_l16rocsparse_order_,@function
_ZN9rocsparseL16csr2dense_kernelILi16ELi64ElifEEviT2_S1_PKT3_PKT1_PKS1_PS2_l16rocsparse_order_: ; @_ZN9rocsparseL16csr2dense_kernelILi16ELi64ElifEEviT2_S1_PKT3_PKT1_PKS1_PS2_l16rocsparse_order_
; %bb.0:
	s_load_dwordx2 s[4:5], s[0:1], 0x0
	v_lshrrev_b32_e32 v1, 6, v0
	v_lshl_or_b32 v8, s2, 4, v1
	s_waitcnt lgkmcnt(0)
	v_cmp_gt_i32_e32 vcc, s5, v8
	s_and_saveexec_b64 s[2:3], vcc
	s_cbranch_execz .LBB91_8
; %bb.1:
	s_load_dwordx2 s[2:3], s[0:1], 0x18
	v_ashrrev_i32_e32 v9, 31, v8
	v_and_b32_e32 v0, 63, v0
	v_mov_b32_e32 v1, 0
	s_waitcnt lgkmcnt(0)
	v_lshl_add_u64 v[2:3], v[8:9], 3, s[2:3]
	global_load_dwordx4 v[2:5], v[2:3], off
	s_waitcnt vmcnt(0)
	v_sub_co_u32_e32 v4, vcc, v4, v2
	s_nop 1
	v_subb_co_u32_e32 v5, vcc, v5, v3, vcc
	v_cmp_gt_i64_e32 vcc, v[4:5], v[0:1]
	s_and_b64 exec, exec, vcc
	s_cbranch_execz .LBB91_8
; %bb.2:
	s_load_dwordx4 s[8:11], s[0:1], 0x20
	s_load_dword s5, s[0:1], 0x38
	s_load_dwordx2 s[6:7], s[0:1], 0x10
	s_load_dwordx2 s[2:3], s[0:1], 0x30
	s_ashr_i32 s14, s4, 31
	s_waitcnt lgkmcnt(0)
	v_lshl_add_u64 v[6:7], v[8:9], 2, s[10:11]
	v_lshl_add_u64 v[2:3], v[2:3], 0, v[0:1]
	v_subrev_co_u32_e32 v2, vcc, s4, v2
	v_mul_lo_u32 v10, s3, v8
	v_mul_lo_u32 v11, s2, v9
	v_mad_u64_u32 v[8:9], s[12:13], s2, v8, 0
	v_add3_u32 v9, v9, v11, v10
	v_mov_b32_e32 v10, s14
	v_subb_co_u32_e32 v3, vcc, v3, v10, vcc
	s_cmp_lg_u32 s5, 1
	v_lshlrev_b64 v[10:11], 2, v[2:3]
	s_cselect_b64 s[0:1], -1, 0
	v_lshl_add_u64 v[8:9], v[8:9], 2, s[10:11]
	v_lshl_add_u64 v[2:3], s[8:9], 0, v[10:11]
	;; [unrolled: 1-line block ×3, first 2 shown]
	s_mov_b64 s[6:7], 0
	s_mov_b64 s[8:9], 0x100
	s_branch .LBB91_4
.LBB91_3:                               ;   in Loop: Header=BB91_4 Depth=1
	v_lshl_add_u64 v[0:1], v[0:1], 0, 64
	v_cmp_ge_i64_e32 vcc, v[0:1], v[4:5]
	v_lshl_add_u64 v[2:3], v[2:3], 0, s[8:9]
	s_or_b64 s[6:7], vcc, s[6:7]
	v_lshl_add_u64 v[10:11], v[10:11], 0, s[8:9]
	s_andn2_b64 exec, exec, s[6:7]
	s_cbranch_execz .LBB91_8
.LBB91_4:                               ; =>This Inner Loop Header: Depth=1
	s_barrier
	global_load_dword v12, v[2:3], off
	global_load_dword v14, v[10:11], off
	s_mov_b64 s[10:11], -1
	s_and_b64 vcc, exec, s[0:1]
	s_waitcnt vmcnt(1)
	v_subrev_u32_e32 v12, s4, v12
	v_ashrrev_i32_e32 v13, 31, v12
	s_cbranch_vccz .LBB91_6
; %bb.5:                                ;   in Loop: Header=BB91_4 Depth=1
	v_lshl_add_u64 v[16:17], v[12:13], 2, v[8:9]
	s_waitcnt vmcnt(0)
	global_store_dword v[16:17], v14, off
	s_mov_b64 s[10:11], 0
.LBB91_6:                               ;   in Loop: Header=BB91_4 Depth=1
	s_andn2_b64 vcc, exec, s[10:11]
	s_cbranch_vccnz .LBB91_3
; %bb.7:                                ;   in Loop: Header=BB91_4 Depth=1
	v_mul_lo_u32 v15, s3, v12
	v_mul_lo_u32 v16, s2, v13
	v_mad_u64_u32 v[12:13], s[10:11], s2, v12, 0
	v_add3_u32 v13, v13, v16, v15
	v_lshl_add_u64 v[12:13], v[12:13], 2, v[6:7]
	s_waitcnt vmcnt(0)
	global_store_dword v[12:13], v14, off
	s_branch .LBB91_3
.LBB91_8:
	s_endpgm
	.section	.rodata,"a",@progbits
	.p2align	6, 0x0
	.amdhsa_kernel _ZN9rocsparseL16csr2dense_kernelILi16ELi64ElifEEviT2_S1_PKT3_PKT1_PKS1_PS2_l16rocsparse_order_
		.amdhsa_group_segment_fixed_size 0
		.amdhsa_private_segment_fixed_size 0
		.amdhsa_kernarg_size 60
		.amdhsa_user_sgpr_count 2
		.amdhsa_user_sgpr_dispatch_ptr 0
		.amdhsa_user_sgpr_queue_ptr 0
		.amdhsa_user_sgpr_kernarg_segment_ptr 1
		.amdhsa_user_sgpr_dispatch_id 0
		.amdhsa_user_sgpr_kernarg_preload_length 0
		.amdhsa_user_sgpr_kernarg_preload_offset 0
		.amdhsa_user_sgpr_private_segment_size 0
		.amdhsa_uses_dynamic_stack 0
		.amdhsa_enable_private_segment 0
		.amdhsa_system_sgpr_workgroup_id_x 1
		.amdhsa_system_sgpr_workgroup_id_y 0
		.amdhsa_system_sgpr_workgroup_id_z 0
		.amdhsa_system_sgpr_workgroup_info 0
		.amdhsa_system_vgpr_workitem_id 0
		.amdhsa_next_free_vgpr 18
		.amdhsa_next_free_sgpr 15
		.amdhsa_accum_offset 20
		.amdhsa_reserve_vcc 1
		.amdhsa_float_round_mode_32 0
		.amdhsa_float_round_mode_16_64 0
		.amdhsa_float_denorm_mode_32 3
		.amdhsa_float_denorm_mode_16_64 3
		.amdhsa_dx10_clamp 1
		.amdhsa_ieee_mode 1
		.amdhsa_fp16_overflow 0
		.amdhsa_tg_split 0
		.amdhsa_exception_fp_ieee_invalid_op 0
		.amdhsa_exception_fp_denorm_src 0
		.amdhsa_exception_fp_ieee_div_zero 0
		.amdhsa_exception_fp_ieee_overflow 0
		.amdhsa_exception_fp_ieee_underflow 0
		.amdhsa_exception_fp_ieee_inexact 0
		.amdhsa_exception_int_div_zero 0
	.end_amdhsa_kernel
	.section	.text._ZN9rocsparseL16csr2dense_kernelILi16ELi64ElifEEviT2_S1_PKT3_PKT1_PKS1_PS2_l16rocsparse_order_,"axG",@progbits,_ZN9rocsparseL16csr2dense_kernelILi16ELi64ElifEEviT2_S1_PKT3_PKT1_PKS1_PS2_l16rocsparse_order_,comdat
.Lfunc_end91:
	.size	_ZN9rocsparseL16csr2dense_kernelILi16ELi64ElifEEviT2_S1_PKT3_PKT1_PKS1_PS2_l16rocsparse_order_, .Lfunc_end91-_ZN9rocsparseL16csr2dense_kernelILi16ELi64ElifEEviT2_S1_PKT3_PKT1_PKS1_PS2_l16rocsparse_order_
                                        ; -- End function
	.set _ZN9rocsparseL16csr2dense_kernelILi16ELi64ElifEEviT2_S1_PKT3_PKT1_PKS1_PS2_l16rocsparse_order_.num_vgpr, 18
	.set _ZN9rocsparseL16csr2dense_kernelILi16ELi64ElifEEviT2_S1_PKT3_PKT1_PKS1_PS2_l16rocsparse_order_.num_agpr, 0
	.set _ZN9rocsparseL16csr2dense_kernelILi16ELi64ElifEEviT2_S1_PKT3_PKT1_PKS1_PS2_l16rocsparse_order_.numbered_sgpr, 15
	.set _ZN9rocsparseL16csr2dense_kernelILi16ELi64ElifEEviT2_S1_PKT3_PKT1_PKS1_PS2_l16rocsparse_order_.num_named_barrier, 0
	.set _ZN9rocsparseL16csr2dense_kernelILi16ELi64ElifEEviT2_S1_PKT3_PKT1_PKS1_PS2_l16rocsparse_order_.private_seg_size, 0
	.set _ZN9rocsparseL16csr2dense_kernelILi16ELi64ElifEEviT2_S1_PKT3_PKT1_PKS1_PS2_l16rocsparse_order_.uses_vcc, 1
	.set _ZN9rocsparseL16csr2dense_kernelILi16ELi64ElifEEviT2_S1_PKT3_PKT1_PKS1_PS2_l16rocsparse_order_.uses_flat_scratch, 0
	.set _ZN9rocsparseL16csr2dense_kernelILi16ELi64ElifEEviT2_S1_PKT3_PKT1_PKS1_PS2_l16rocsparse_order_.has_dyn_sized_stack, 0
	.set _ZN9rocsparseL16csr2dense_kernelILi16ELi64ElifEEviT2_S1_PKT3_PKT1_PKS1_PS2_l16rocsparse_order_.has_recursion, 0
	.set _ZN9rocsparseL16csr2dense_kernelILi16ELi64ElifEEviT2_S1_PKT3_PKT1_PKS1_PS2_l16rocsparse_order_.has_indirect_call, 0
	.section	.AMDGPU.csdata,"",@progbits
; Kernel info:
; codeLenInByte = 436
; TotalNumSgprs: 21
; NumVgprs: 18
; NumAgprs: 0
; TotalNumVgprs: 18
; ScratchSize: 0
; MemoryBound: 0
; FloatMode: 240
; IeeeMode: 1
; LDSByteSize: 0 bytes/workgroup (compile time only)
; SGPRBlocks: 2
; VGPRBlocks: 2
; NumSGPRsForWavesPerEU: 21
; NumVGPRsForWavesPerEU: 18
; AccumOffset: 20
; Occupancy: 8
; WaveLimiterHint : 1
; COMPUTE_PGM_RSRC2:SCRATCH_EN: 0
; COMPUTE_PGM_RSRC2:USER_SGPR: 2
; COMPUTE_PGM_RSRC2:TRAP_HANDLER: 0
; COMPUTE_PGM_RSRC2:TGID_X_EN: 1
; COMPUTE_PGM_RSRC2:TGID_Y_EN: 0
; COMPUTE_PGM_RSRC2:TGID_Z_EN: 0
; COMPUTE_PGM_RSRC2:TIDIG_COMP_CNT: 0
; COMPUTE_PGM_RSRC3_GFX90A:ACCUM_OFFSET: 4
; COMPUTE_PGM_RSRC3_GFX90A:TG_SPLIT: 0
	.section	.text._ZN9rocsparseL16csc2dense_kernelILi16ELi32ElifEEviT2_S1_PKT3_PKT1_PKS1_PS2_l16rocsparse_order_,"axG",@progbits,_ZN9rocsparseL16csc2dense_kernelILi16ELi32ElifEEviT2_S1_PKT3_PKT1_PKS1_PS2_l16rocsparse_order_,comdat
	.globl	_ZN9rocsparseL16csc2dense_kernelILi16ELi32ElifEEviT2_S1_PKT3_PKT1_PKS1_PS2_l16rocsparse_order_ ; -- Begin function _ZN9rocsparseL16csc2dense_kernelILi16ELi32ElifEEviT2_S1_PKT3_PKT1_PKS1_PS2_l16rocsparse_order_
	.p2align	8
	.type	_ZN9rocsparseL16csc2dense_kernelILi16ELi32ElifEEviT2_S1_PKT3_PKT1_PKS1_PS2_l16rocsparse_order_,@function
_ZN9rocsparseL16csc2dense_kernelILi16ELi32ElifEEviT2_S1_PKT3_PKT1_PKS1_PS2_l16rocsparse_order_: ; @_ZN9rocsparseL16csc2dense_kernelILi16ELi32ElifEEviT2_S1_PKT3_PKT1_PKS1_PS2_l16rocsparse_order_
; %bb.0:
	s_load_dword s3, s[0:1], 0x8
	v_lshrrev_b32_e32 v1, 5, v0
	v_lshl_or_b32 v8, s2, 4, v1
	s_waitcnt lgkmcnt(0)
	v_cmp_gt_i32_e32 vcc, s3, v8
	s_and_saveexec_b64 s[2:3], vcc
	s_cbranch_execz .LBB92_8
; %bb.1:
	s_load_dwordx2 s[2:3], s[0:1], 0x18
	v_ashrrev_i32_e32 v9, 31, v8
	v_and_b32_e32 v0, 31, v0
	v_mov_b32_e32 v1, 0
	s_waitcnt lgkmcnt(0)
	v_lshl_add_u64 v[2:3], v[8:9], 3, s[2:3]
	global_load_dwordx4 v[2:5], v[2:3], off
	s_waitcnt vmcnt(0)
	v_sub_co_u32_e32 v4, vcc, v4, v2
	s_nop 1
	v_subb_co_u32_e32 v5, vcc, v5, v3, vcc
	v_cmp_gt_i64_e32 vcc, v[4:5], v[0:1]
	s_and_b64 exec, exec, vcc
	s_cbranch_execz .LBB92_8
; %bb.2:
	s_load_dword s10, s[0:1], 0x0
	s_load_dwordx4 s[4:7], s[0:1], 0x20
	s_load_dword s11, s[0:1], 0x38
	s_load_dwordx2 s[8:9], s[0:1], 0x10
	s_load_dwordx2 s[2:3], s[0:1], 0x30
	s_waitcnt lgkmcnt(0)
	s_ashr_i32 s14, s10, 31
	v_lshl_add_u64 v[6:7], v[8:9], 2, s[6:7]
	v_lshl_add_u64 v[2:3], v[2:3], 0, v[0:1]
	v_subrev_co_u32_e32 v2, vcc, s10, v2
	v_mul_lo_u32 v10, s3, v8
	v_mul_lo_u32 v11, s2, v9
	v_mad_u64_u32 v[8:9], s[12:13], s2, v8, 0
	v_add3_u32 v9, v9, v11, v10
	v_mov_b32_e32 v10, s14
	v_subb_co_u32_e32 v3, vcc, v3, v10, vcc
	s_cmp_lg_u32 s11, 1
	v_lshlrev_b64 v[10:11], 2, v[2:3]
	s_cselect_b64 s[0:1], -1, 0
	v_lshl_add_u64 v[8:9], v[8:9], 2, s[6:7]
	v_lshl_add_u64 v[2:3], s[4:5], 0, v[10:11]
	v_lshl_add_u64 v[10:11], s[8:9], 0, v[10:11]
	s_mov_b64 s[4:5], 0
	s_mov_b64 s[6:7], 0x80
	s_branch .LBB92_4
.LBB92_3:                               ;   in Loop: Header=BB92_4 Depth=1
	v_lshl_add_u64 v[0:1], v[0:1], 0, 32
	v_cmp_ge_i64_e32 vcc, v[0:1], v[4:5]
	v_lshl_add_u64 v[2:3], v[2:3], 0, s[6:7]
	s_or_b64 s[4:5], vcc, s[4:5]
	v_lshl_add_u64 v[10:11], v[10:11], 0, s[6:7]
	s_andn2_b64 exec, exec, s[4:5]
	s_cbranch_execz .LBB92_8
.LBB92_4:                               ; =>This Inner Loop Header: Depth=1
	global_load_dword v12, v[2:3], off
	global_load_dword v14, v[10:11], off
	s_mov_b64 s[8:9], -1
	s_and_b64 vcc, exec, s[0:1]
	s_waitcnt vmcnt(1)
	v_subrev_u32_e32 v12, s10, v12
	v_ashrrev_i32_e32 v13, 31, v12
	s_cbranch_vccz .LBB92_6
; %bb.5:                                ;   in Loop: Header=BB92_4 Depth=1
	v_mul_lo_u32 v15, s3, v12
	v_mul_lo_u32 v18, s2, v13
	v_mad_u64_u32 v[16:17], s[8:9], s2, v12, 0
	v_add3_u32 v17, v17, v18, v15
	v_lshl_add_u64 v[16:17], v[16:17], 2, v[6:7]
	s_waitcnt vmcnt(0)
	global_store_dword v[16:17], v14, off
	s_mov_b64 s[8:9], 0
.LBB92_6:                               ;   in Loop: Header=BB92_4 Depth=1
	s_andn2_b64 vcc, exec, s[8:9]
	s_cbranch_vccnz .LBB92_3
; %bb.7:                                ;   in Loop: Header=BB92_4 Depth=1
	v_lshl_add_u64 v[12:13], v[12:13], 2, v[8:9]
	s_waitcnt vmcnt(0)
	global_store_dword v[12:13], v14, off
	s_branch .LBB92_3
.LBB92_8:
	s_endpgm
	.section	.rodata,"a",@progbits
	.p2align	6, 0x0
	.amdhsa_kernel _ZN9rocsparseL16csc2dense_kernelILi16ELi32ElifEEviT2_S1_PKT3_PKT1_PKS1_PS2_l16rocsparse_order_
		.amdhsa_group_segment_fixed_size 0
		.amdhsa_private_segment_fixed_size 0
		.amdhsa_kernarg_size 60
		.amdhsa_user_sgpr_count 2
		.amdhsa_user_sgpr_dispatch_ptr 0
		.amdhsa_user_sgpr_queue_ptr 0
		.amdhsa_user_sgpr_kernarg_segment_ptr 1
		.amdhsa_user_sgpr_dispatch_id 0
		.amdhsa_user_sgpr_kernarg_preload_length 0
		.amdhsa_user_sgpr_kernarg_preload_offset 0
		.amdhsa_user_sgpr_private_segment_size 0
		.amdhsa_uses_dynamic_stack 0
		.amdhsa_enable_private_segment 0
		.amdhsa_system_sgpr_workgroup_id_x 1
		.amdhsa_system_sgpr_workgroup_id_y 0
		.amdhsa_system_sgpr_workgroup_id_z 0
		.amdhsa_system_sgpr_workgroup_info 0
		.amdhsa_system_vgpr_workitem_id 0
		.amdhsa_next_free_vgpr 19
		.amdhsa_next_free_sgpr 15
		.amdhsa_accum_offset 20
		.amdhsa_reserve_vcc 1
		.amdhsa_float_round_mode_32 0
		.amdhsa_float_round_mode_16_64 0
		.amdhsa_float_denorm_mode_32 3
		.amdhsa_float_denorm_mode_16_64 3
		.amdhsa_dx10_clamp 1
		.amdhsa_ieee_mode 1
		.amdhsa_fp16_overflow 0
		.amdhsa_tg_split 0
		.amdhsa_exception_fp_ieee_invalid_op 0
		.amdhsa_exception_fp_denorm_src 0
		.amdhsa_exception_fp_ieee_div_zero 0
		.amdhsa_exception_fp_ieee_overflow 0
		.amdhsa_exception_fp_ieee_underflow 0
		.amdhsa_exception_fp_ieee_inexact 0
		.amdhsa_exception_int_div_zero 0
	.end_amdhsa_kernel
	.section	.text._ZN9rocsparseL16csc2dense_kernelILi16ELi32ElifEEviT2_S1_PKT3_PKT1_PKS1_PS2_l16rocsparse_order_,"axG",@progbits,_ZN9rocsparseL16csc2dense_kernelILi16ELi32ElifEEviT2_S1_PKT3_PKT1_PKS1_PS2_l16rocsparse_order_,comdat
.Lfunc_end92:
	.size	_ZN9rocsparseL16csc2dense_kernelILi16ELi32ElifEEviT2_S1_PKT3_PKT1_PKS1_PS2_l16rocsparse_order_, .Lfunc_end92-_ZN9rocsparseL16csc2dense_kernelILi16ELi32ElifEEviT2_S1_PKT3_PKT1_PKS1_PS2_l16rocsparse_order_
                                        ; -- End function
	.set _ZN9rocsparseL16csc2dense_kernelILi16ELi32ElifEEviT2_S1_PKT3_PKT1_PKS1_PS2_l16rocsparse_order_.num_vgpr, 19
	.set _ZN9rocsparseL16csc2dense_kernelILi16ELi32ElifEEviT2_S1_PKT3_PKT1_PKS1_PS2_l16rocsparse_order_.num_agpr, 0
	.set _ZN9rocsparseL16csc2dense_kernelILi16ELi32ElifEEviT2_S1_PKT3_PKT1_PKS1_PS2_l16rocsparse_order_.numbered_sgpr, 15
	.set _ZN9rocsparseL16csc2dense_kernelILi16ELi32ElifEEviT2_S1_PKT3_PKT1_PKS1_PS2_l16rocsparse_order_.num_named_barrier, 0
	.set _ZN9rocsparseL16csc2dense_kernelILi16ELi32ElifEEviT2_S1_PKT3_PKT1_PKS1_PS2_l16rocsparse_order_.private_seg_size, 0
	.set _ZN9rocsparseL16csc2dense_kernelILi16ELi32ElifEEviT2_S1_PKT3_PKT1_PKS1_PS2_l16rocsparse_order_.uses_vcc, 1
	.set _ZN9rocsparseL16csc2dense_kernelILi16ELi32ElifEEviT2_S1_PKT3_PKT1_PKS1_PS2_l16rocsparse_order_.uses_flat_scratch, 0
	.set _ZN9rocsparseL16csc2dense_kernelILi16ELi32ElifEEviT2_S1_PKT3_PKT1_PKS1_PS2_l16rocsparse_order_.has_dyn_sized_stack, 0
	.set _ZN9rocsparseL16csc2dense_kernelILi16ELi32ElifEEviT2_S1_PKT3_PKT1_PKS1_PS2_l16rocsparse_order_.has_recursion, 0
	.set _ZN9rocsparseL16csc2dense_kernelILi16ELi32ElifEEviT2_S1_PKT3_PKT1_PKS1_PS2_l16rocsparse_order_.has_indirect_call, 0
	.section	.AMDGPU.csdata,"",@progbits
; Kernel info:
; codeLenInByte = 440
; TotalNumSgprs: 21
; NumVgprs: 19
; NumAgprs: 0
; TotalNumVgprs: 19
; ScratchSize: 0
; MemoryBound: 0
; FloatMode: 240
; IeeeMode: 1
; LDSByteSize: 0 bytes/workgroup (compile time only)
; SGPRBlocks: 2
; VGPRBlocks: 2
; NumSGPRsForWavesPerEU: 21
; NumVGPRsForWavesPerEU: 19
; AccumOffset: 20
; Occupancy: 8
; WaveLimiterHint : 1
; COMPUTE_PGM_RSRC2:SCRATCH_EN: 0
; COMPUTE_PGM_RSRC2:USER_SGPR: 2
; COMPUTE_PGM_RSRC2:TRAP_HANDLER: 0
; COMPUTE_PGM_RSRC2:TGID_X_EN: 1
; COMPUTE_PGM_RSRC2:TGID_Y_EN: 0
; COMPUTE_PGM_RSRC2:TGID_Z_EN: 0
; COMPUTE_PGM_RSRC2:TIDIG_COMP_CNT: 0
; COMPUTE_PGM_RSRC3_GFX90A:ACCUM_OFFSET: 4
; COMPUTE_PGM_RSRC3_GFX90A:TG_SPLIT: 0
	.section	.text._ZN9rocsparseL16csc2dense_kernelILi16ELi64ElifEEviT2_S1_PKT3_PKT1_PKS1_PS2_l16rocsparse_order_,"axG",@progbits,_ZN9rocsparseL16csc2dense_kernelILi16ELi64ElifEEviT2_S1_PKT3_PKT1_PKS1_PS2_l16rocsparse_order_,comdat
	.globl	_ZN9rocsparseL16csc2dense_kernelILi16ELi64ElifEEviT2_S1_PKT3_PKT1_PKS1_PS2_l16rocsparse_order_ ; -- Begin function _ZN9rocsparseL16csc2dense_kernelILi16ELi64ElifEEviT2_S1_PKT3_PKT1_PKS1_PS2_l16rocsparse_order_
	.p2align	8
	.type	_ZN9rocsparseL16csc2dense_kernelILi16ELi64ElifEEviT2_S1_PKT3_PKT1_PKS1_PS2_l16rocsparse_order_,@function
_ZN9rocsparseL16csc2dense_kernelILi16ELi64ElifEEviT2_S1_PKT3_PKT1_PKS1_PS2_l16rocsparse_order_: ; @_ZN9rocsparseL16csc2dense_kernelILi16ELi64ElifEEviT2_S1_PKT3_PKT1_PKS1_PS2_l16rocsparse_order_
; %bb.0:
	s_load_dword s3, s[0:1], 0x8
	v_lshrrev_b32_e32 v1, 6, v0
	v_lshl_or_b32 v8, s2, 4, v1
	s_waitcnt lgkmcnt(0)
	v_cmp_gt_i32_e32 vcc, s3, v8
	s_and_saveexec_b64 s[2:3], vcc
	s_cbranch_execz .LBB93_8
; %bb.1:
	s_load_dwordx2 s[2:3], s[0:1], 0x18
	v_ashrrev_i32_e32 v9, 31, v8
	v_and_b32_e32 v0, 63, v0
	v_mov_b32_e32 v1, 0
	s_waitcnt lgkmcnt(0)
	v_lshl_add_u64 v[2:3], v[8:9], 3, s[2:3]
	global_load_dwordx4 v[2:5], v[2:3], off
	s_waitcnt vmcnt(0)
	v_sub_co_u32_e32 v4, vcc, v4, v2
	s_nop 1
	v_subb_co_u32_e32 v5, vcc, v5, v3, vcc
	v_cmp_gt_i64_e32 vcc, v[4:5], v[0:1]
	s_and_b64 exec, exec, vcc
	s_cbranch_execz .LBB93_8
; %bb.2:
	s_load_dword s10, s[0:1], 0x0
	s_load_dwordx4 s[4:7], s[0:1], 0x20
	s_load_dword s11, s[0:1], 0x38
	s_load_dwordx2 s[8:9], s[0:1], 0x10
	s_load_dwordx2 s[2:3], s[0:1], 0x30
	s_waitcnt lgkmcnt(0)
	s_ashr_i32 s14, s10, 31
	v_lshl_add_u64 v[6:7], v[8:9], 2, s[6:7]
	v_lshl_add_u64 v[2:3], v[2:3], 0, v[0:1]
	v_subrev_co_u32_e32 v2, vcc, s10, v2
	v_mul_lo_u32 v10, s3, v8
	v_mul_lo_u32 v11, s2, v9
	v_mad_u64_u32 v[8:9], s[12:13], s2, v8, 0
	v_add3_u32 v9, v9, v11, v10
	v_mov_b32_e32 v10, s14
	v_subb_co_u32_e32 v3, vcc, v3, v10, vcc
	s_cmp_lg_u32 s11, 1
	v_lshlrev_b64 v[10:11], 2, v[2:3]
	s_cselect_b64 s[0:1], -1, 0
	v_lshl_add_u64 v[8:9], v[8:9], 2, s[6:7]
	v_lshl_add_u64 v[2:3], s[4:5], 0, v[10:11]
	;; [unrolled: 1-line block ×3, first 2 shown]
	s_mov_b64 s[4:5], 0
	s_mov_b64 s[6:7], 0x100
	s_branch .LBB93_4
.LBB93_3:                               ;   in Loop: Header=BB93_4 Depth=1
	v_lshl_add_u64 v[0:1], v[0:1], 0, 64
	v_cmp_ge_i64_e32 vcc, v[0:1], v[4:5]
	v_lshl_add_u64 v[2:3], v[2:3], 0, s[6:7]
	s_or_b64 s[4:5], vcc, s[4:5]
	v_lshl_add_u64 v[10:11], v[10:11], 0, s[6:7]
	s_andn2_b64 exec, exec, s[4:5]
	s_cbranch_execz .LBB93_8
.LBB93_4:                               ; =>This Inner Loop Header: Depth=1
	global_load_dword v12, v[2:3], off
	global_load_dword v14, v[10:11], off
	s_mov_b64 s[8:9], -1
	s_and_b64 vcc, exec, s[0:1]
	s_waitcnt vmcnt(1)
	v_subrev_u32_e32 v12, s10, v12
	v_ashrrev_i32_e32 v13, 31, v12
	s_cbranch_vccz .LBB93_6
; %bb.5:                                ;   in Loop: Header=BB93_4 Depth=1
	v_mul_lo_u32 v15, s3, v12
	v_mul_lo_u32 v18, s2, v13
	v_mad_u64_u32 v[16:17], s[8:9], s2, v12, 0
	v_add3_u32 v17, v17, v18, v15
	v_lshl_add_u64 v[16:17], v[16:17], 2, v[6:7]
	s_waitcnt vmcnt(0)
	global_store_dword v[16:17], v14, off
	s_mov_b64 s[8:9], 0
.LBB93_6:                               ;   in Loop: Header=BB93_4 Depth=1
	s_andn2_b64 vcc, exec, s[8:9]
	s_cbranch_vccnz .LBB93_3
; %bb.7:                                ;   in Loop: Header=BB93_4 Depth=1
	v_lshl_add_u64 v[12:13], v[12:13], 2, v[8:9]
	s_waitcnt vmcnt(0)
	global_store_dword v[12:13], v14, off
	s_branch .LBB93_3
.LBB93_8:
	s_endpgm
	.section	.rodata,"a",@progbits
	.p2align	6, 0x0
	.amdhsa_kernel _ZN9rocsparseL16csc2dense_kernelILi16ELi64ElifEEviT2_S1_PKT3_PKT1_PKS1_PS2_l16rocsparse_order_
		.amdhsa_group_segment_fixed_size 0
		.amdhsa_private_segment_fixed_size 0
		.amdhsa_kernarg_size 60
		.amdhsa_user_sgpr_count 2
		.amdhsa_user_sgpr_dispatch_ptr 0
		.amdhsa_user_sgpr_queue_ptr 0
		.amdhsa_user_sgpr_kernarg_segment_ptr 1
		.amdhsa_user_sgpr_dispatch_id 0
		.amdhsa_user_sgpr_kernarg_preload_length 0
		.amdhsa_user_sgpr_kernarg_preload_offset 0
		.amdhsa_user_sgpr_private_segment_size 0
		.amdhsa_uses_dynamic_stack 0
		.amdhsa_enable_private_segment 0
		.amdhsa_system_sgpr_workgroup_id_x 1
		.amdhsa_system_sgpr_workgroup_id_y 0
		.amdhsa_system_sgpr_workgroup_id_z 0
		.amdhsa_system_sgpr_workgroup_info 0
		.amdhsa_system_vgpr_workitem_id 0
		.amdhsa_next_free_vgpr 19
		.amdhsa_next_free_sgpr 15
		.amdhsa_accum_offset 20
		.amdhsa_reserve_vcc 1
		.amdhsa_float_round_mode_32 0
		.amdhsa_float_round_mode_16_64 0
		.amdhsa_float_denorm_mode_32 3
		.amdhsa_float_denorm_mode_16_64 3
		.amdhsa_dx10_clamp 1
		.amdhsa_ieee_mode 1
		.amdhsa_fp16_overflow 0
		.amdhsa_tg_split 0
		.amdhsa_exception_fp_ieee_invalid_op 0
		.amdhsa_exception_fp_denorm_src 0
		.amdhsa_exception_fp_ieee_div_zero 0
		.amdhsa_exception_fp_ieee_overflow 0
		.amdhsa_exception_fp_ieee_underflow 0
		.amdhsa_exception_fp_ieee_inexact 0
		.amdhsa_exception_int_div_zero 0
	.end_amdhsa_kernel
	.section	.text._ZN9rocsparseL16csc2dense_kernelILi16ELi64ElifEEviT2_S1_PKT3_PKT1_PKS1_PS2_l16rocsparse_order_,"axG",@progbits,_ZN9rocsparseL16csc2dense_kernelILi16ELi64ElifEEviT2_S1_PKT3_PKT1_PKS1_PS2_l16rocsparse_order_,comdat
.Lfunc_end93:
	.size	_ZN9rocsparseL16csc2dense_kernelILi16ELi64ElifEEviT2_S1_PKT3_PKT1_PKS1_PS2_l16rocsparse_order_, .Lfunc_end93-_ZN9rocsparseL16csc2dense_kernelILi16ELi64ElifEEviT2_S1_PKT3_PKT1_PKS1_PS2_l16rocsparse_order_
                                        ; -- End function
	.set _ZN9rocsparseL16csc2dense_kernelILi16ELi64ElifEEviT2_S1_PKT3_PKT1_PKS1_PS2_l16rocsparse_order_.num_vgpr, 19
	.set _ZN9rocsparseL16csc2dense_kernelILi16ELi64ElifEEviT2_S1_PKT3_PKT1_PKS1_PS2_l16rocsparse_order_.num_agpr, 0
	.set _ZN9rocsparseL16csc2dense_kernelILi16ELi64ElifEEviT2_S1_PKT3_PKT1_PKS1_PS2_l16rocsparse_order_.numbered_sgpr, 15
	.set _ZN9rocsparseL16csc2dense_kernelILi16ELi64ElifEEviT2_S1_PKT3_PKT1_PKS1_PS2_l16rocsparse_order_.num_named_barrier, 0
	.set _ZN9rocsparseL16csc2dense_kernelILi16ELi64ElifEEviT2_S1_PKT3_PKT1_PKS1_PS2_l16rocsparse_order_.private_seg_size, 0
	.set _ZN9rocsparseL16csc2dense_kernelILi16ELi64ElifEEviT2_S1_PKT3_PKT1_PKS1_PS2_l16rocsparse_order_.uses_vcc, 1
	.set _ZN9rocsparseL16csc2dense_kernelILi16ELi64ElifEEviT2_S1_PKT3_PKT1_PKS1_PS2_l16rocsparse_order_.uses_flat_scratch, 0
	.set _ZN9rocsparseL16csc2dense_kernelILi16ELi64ElifEEviT2_S1_PKT3_PKT1_PKS1_PS2_l16rocsparse_order_.has_dyn_sized_stack, 0
	.set _ZN9rocsparseL16csc2dense_kernelILi16ELi64ElifEEviT2_S1_PKT3_PKT1_PKS1_PS2_l16rocsparse_order_.has_recursion, 0
	.set _ZN9rocsparseL16csc2dense_kernelILi16ELi64ElifEEviT2_S1_PKT3_PKT1_PKS1_PS2_l16rocsparse_order_.has_indirect_call, 0
	.section	.AMDGPU.csdata,"",@progbits
; Kernel info:
; codeLenInByte = 440
; TotalNumSgprs: 21
; NumVgprs: 19
; NumAgprs: 0
; TotalNumVgprs: 19
; ScratchSize: 0
; MemoryBound: 0
; FloatMode: 240
; IeeeMode: 1
; LDSByteSize: 0 bytes/workgroup (compile time only)
; SGPRBlocks: 2
; VGPRBlocks: 2
; NumSGPRsForWavesPerEU: 21
; NumVGPRsForWavesPerEU: 19
; AccumOffset: 20
; Occupancy: 8
; WaveLimiterHint : 1
; COMPUTE_PGM_RSRC2:SCRATCH_EN: 0
; COMPUTE_PGM_RSRC2:USER_SGPR: 2
; COMPUTE_PGM_RSRC2:TRAP_HANDLER: 0
; COMPUTE_PGM_RSRC2:TGID_X_EN: 1
; COMPUTE_PGM_RSRC2:TGID_Y_EN: 0
; COMPUTE_PGM_RSRC2:TGID_Z_EN: 0
; COMPUTE_PGM_RSRC2:TIDIG_COMP_CNT: 0
; COMPUTE_PGM_RSRC3_GFX90A:ACCUM_OFFSET: 4
; COMPUTE_PGM_RSRC3_GFX90A:TG_SPLIT: 0
	.section	.text._ZN9rocsparseL23sddmm_csx_sample_kernelILi512ELi64EL20rocsparse_direction_1EflifEEvT4_S2_T3_PKT5_S2_PS4_PKS3_PKS2_21rocsparse_index_base_,"axG",@progbits,_ZN9rocsparseL23sddmm_csx_sample_kernelILi512ELi64EL20rocsparse_direction_1EflifEEvT4_S2_T3_PKT5_S2_PS4_PKS3_PKS2_21rocsparse_index_base_,comdat
	.globl	_ZN9rocsparseL23sddmm_csx_sample_kernelILi512ELi64EL20rocsparse_direction_1EflifEEvT4_S2_T3_PKT5_S2_PS4_PKS3_PKS2_21rocsparse_index_base_ ; -- Begin function _ZN9rocsparseL23sddmm_csx_sample_kernelILi512ELi64EL20rocsparse_direction_1EflifEEvT4_S2_T3_PKT5_S2_PS4_PKS3_PKS2_21rocsparse_index_base_
	.p2align	8
	.type	_ZN9rocsparseL23sddmm_csx_sample_kernelILi512ELi64EL20rocsparse_direction_1EflifEEvT4_S2_T3_PKT5_S2_PS4_PKS3_PKS2_21rocsparse_index_base_,@function
_ZN9rocsparseL23sddmm_csx_sample_kernelILi512ELi64EL20rocsparse_direction_1EflifEEvT4_S2_T3_PKT5_S2_PS4_PKS3_PKS2_21rocsparse_index_base_: ; @_ZN9rocsparseL23sddmm_csx_sample_kernelILi512ELi64EL20rocsparse_direction_1EflifEEvT4_S2_T3_PKT5_S2_PS4_PKS3_PKS2_21rocsparse_index_base_
; %bb.0:
	s_load_dword s3, s[0:1], 0x4
	v_lshrrev_b32_e32 v1, 6, v0
	v_lshl_or_b32 v6, s2, 3, v1
	s_waitcnt lgkmcnt(0)
	v_cmp_gt_u32_e32 vcc, s3, v6
	s_and_saveexec_b64 s[2:3], vcc
	s_cbranch_execz .LBB94_9
; %bb.1:
	s_load_dwordx2 s[2:3], s[0:1], 0x28
	s_load_dword s8, s[0:1], 0x38
	v_mov_b32_e32 v7, 0
	v_and_b32_e32 v8, 63, v0
	s_mov_b32 s9, 0
	s_waitcnt lgkmcnt(0)
	v_lshl_add_u64 v[2:3], v[6:7], 3, s[2:3]
	global_load_dwordx4 v[2:5], v[2:3], off
	v_subrev_co_u32_e32 v0, vcc, s8, v8
	v_mov_b32_e32 v9, v7
	s_nop 0
	v_subb_co_u32_e64 v1, s[2:3], 0, 0, vcc
	s_waitcnt vmcnt(0)
	v_subrev_co_u32_e32 v4, vcc, s8, v4
	v_lshl_add_u64 v[0:1], v[0:1], 0, v[2:3]
	s_nop 0
	v_subbrev_co_u32_e32 v5, vcc, 0, v5, vcc
	v_cmp_lt_i64_e32 vcc, v[0:1], v[4:5]
	s_and_b64 exec, exec, vcc
	s_cbranch_execz .LBB94_9
; %bb.2:
	v_lshl_add_u64 v[10:11], v[2:3], 0, v[8:9]
	v_subrev_co_u32_e32 v10, vcc, s8, v10
	s_load_dwordx2 s[4:5], s[0:1], 0x30
	s_load_dword s10, s[0:1], 0x18
	s_load_dwordx2 s[6:7], s[0:1], 0x20
	s_load_dwordx2 s[2:3], s[0:1], 0x10
	v_subbrev_co_u32_e32 v11, vcc, 0, v11, vcc
	v_lshl_add_u64 v[10:11], v[10:11], 0, 64
	v_cmp_gt_i64_e32 vcc, v[10:11], v[4:5]
	v_not_b32_e32 v3, v3
	v_not_b32_e32 v2, v2
	v_cndmask_b32_e32 v11, v5, v11, vcc
	v_cndmask_b32_e32 v10, v4, v10, vcc
	v_lshl_add_u64 v[10:11], v[10:11], 0, s[8:9]
	v_lshl_add_u64 v[2:3], v[10:11], 0, v[2:3]
	v_sub_co_u32_e32 v2, vcc, v2, v8
	s_waitcnt lgkmcnt(0)
	v_mul_lo_u32 v6, s10, v6
	v_subbrev_co_u32_e32 v3, vcc, 0, v3, vcc
	v_subrev_u32_e32 v6, s8, v6
	v_cmp_lt_u64_e32 vcc, 63, v[2:3]
	s_mov_b64 s[8:9], -1
	s_and_saveexec_b64 s[0:1], vcc
	s_cbranch_execz .LBB94_6
; %bb.3:
	v_lshrrev_b64 v[2:3], 6, v[2:3]
	v_lshl_add_u64 v[2:3], v[2:3], 0, 1
	v_mov_b64_e32 v[10:11], 0x100
	v_and_b32_e32 v8, -2, v2
	v_mov_b32_e32 v9, v3
	v_lshl_add_u64 v[12:13], v[0:1], 2, v[10:11]
	v_mov_b32_e32 v7, v6
	v_lshl_add_u64 v[10:11], s[4:5], 0, v[12:13]
	v_lshl_add_u64 v[12:13], s[6:7], 0, v[12:13]
	s_mov_b64 s[8:9], 0
	s_mov_b64 s[10:11], 0x200
	v_mov_b64_e32 v[14:15], v[8:9]
.LBB94_4:                               ; =>This Inner Loop Header: Depth=1
	global_load_dword v16, v[10:11], off offset:-256
	global_load_dword v17, v[10:11], off
	v_lshl_add_u64 v[14:15], v[14:15], 0, -2
	v_cmp_eq_u64_e32 vcc, 0, v[14:15]
	v_lshl_add_u64 v[10:11], v[10:11], 0, s[10:11]
	s_or_b64 s[8:9], vcc, s[8:9]
	s_waitcnt vmcnt(1)
	v_add_u32_e32 v16, v6, v16
	s_waitcnt vmcnt(0)
	v_add_u32_e32 v18, v7, v17
	v_ashrrev_i32_e32 v17, 31, v16
	v_ashrrev_i32_e32 v19, 31, v18
	v_lshl_add_u64 v[16:17], v[16:17], 2, s[2:3]
	v_lshl_add_u64 v[18:19], v[18:19], 2, s[2:3]
	global_load_dword v20, v[16:17], off
	global_load_dword v21, v[18:19], off
	s_waitcnt vmcnt(1)
	global_store_dword v[12:13], v20, off offset:-256
	s_waitcnt vmcnt(1)
	global_store_dword v[12:13], v21, off
	v_lshl_add_u64 v[12:13], v[12:13], 0, s[10:11]
	s_andn2_b64 exec, exec, s[8:9]
	s_cbranch_execnz .LBB94_4
; %bb.5:
	s_or_b64 exec, exec, s[8:9]
	v_lshlrev_b64 v[10:11], 6, v[8:9]
	v_cmp_ne_u64_e32 vcc, v[2:3], v[8:9]
	v_lshl_add_u64 v[0:1], v[0:1], 0, v[10:11]
	s_orn2_b64 s[8:9], vcc, exec
.LBB94_6:
	s_or_b64 exec, exec, s[0:1]
	s_and_b64 exec, exec, s[8:9]
	s_cbranch_execz .LBB94_9
; %bb.7:
	v_lshlrev_b64 v[8:9], 2, v[0:1]
	v_lshl_add_u64 v[2:3], s[6:7], 0, v[8:9]
	v_lshl_add_u64 v[8:9], s[4:5], 0, v[8:9]
	s_mov_b64 s[0:1], 0
	s_mov_b64 s[4:5], 0x100
.LBB94_8:                               ; =>This Inner Loop Header: Depth=1
	global_load_dword v7, v[8:9], off
	v_lshl_add_u64 v[0:1], v[0:1], 0, 64
	v_cmp_ge_i64_e32 vcc, v[0:1], v[4:5]
	v_lshl_add_u64 v[8:9], v[8:9], 0, s[4:5]
	s_or_b64 s[0:1], vcc, s[0:1]
	s_waitcnt vmcnt(0)
	v_add_u32_e32 v10, v6, v7
	v_ashrrev_i32_e32 v11, 31, v10
	v_lshl_add_u64 v[10:11], v[10:11], 2, s[2:3]
	global_load_dword v7, v[10:11], off
	s_waitcnt vmcnt(0)
	global_store_dword v[2:3], v7, off
	v_lshl_add_u64 v[2:3], v[2:3], 0, s[4:5]
	s_andn2_b64 exec, exec, s[0:1]
	s_cbranch_execnz .LBB94_8
.LBB94_9:
	s_endpgm
	.section	.rodata,"a",@progbits
	.p2align	6, 0x0
	.amdhsa_kernel _ZN9rocsparseL23sddmm_csx_sample_kernelILi512ELi64EL20rocsparse_direction_1EflifEEvT4_S2_T3_PKT5_S2_PS4_PKS3_PKS2_21rocsparse_index_base_
		.amdhsa_group_segment_fixed_size 0
		.amdhsa_private_segment_fixed_size 0
		.amdhsa_kernarg_size 60
		.amdhsa_user_sgpr_count 2
		.amdhsa_user_sgpr_dispatch_ptr 0
		.amdhsa_user_sgpr_queue_ptr 0
		.amdhsa_user_sgpr_kernarg_segment_ptr 1
		.amdhsa_user_sgpr_dispatch_id 0
		.amdhsa_user_sgpr_kernarg_preload_length 0
		.amdhsa_user_sgpr_kernarg_preload_offset 0
		.amdhsa_user_sgpr_private_segment_size 0
		.amdhsa_uses_dynamic_stack 0
		.amdhsa_enable_private_segment 0
		.amdhsa_system_sgpr_workgroup_id_x 1
		.amdhsa_system_sgpr_workgroup_id_y 0
		.amdhsa_system_sgpr_workgroup_id_z 0
		.amdhsa_system_sgpr_workgroup_info 0
		.amdhsa_system_vgpr_workitem_id 0
		.amdhsa_next_free_vgpr 22
		.amdhsa_next_free_sgpr 12
		.amdhsa_accum_offset 24
		.amdhsa_reserve_vcc 1
		.amdhsa_float_round_mode_32 0
		.amdhsa_float_round_mode_16_64 0
		.amdhsa_float_denorm_mode_32 3
		.amdhsa_float_denorm_mode_16_64 3
		.amdhsa_dx10_clamp 1
		.amdhsa_ieee_mode 1
		.amdhsa_fp16_overflow 0
		.amdhsa_tg_split 0
		.amdhsa_exception_fp_ieee_invalid_op 0
		.amdhsa_exception_fp_denorm_src 0
		.amdhsa_exception_fp_ieee_div_zero 0
		.amdhsa_exception_fp_ieee_overflow 0
		.amdhsa_exception_fp_ieee_underflow 0
		.amdhsa_exception_fp_ieee_inexact 0
		.amdhsa_exception_int_div_zero 0
	.end_amdhsa_kernel
	.section	.text._ZN9rocsparseL23sddmm_csx_sample_kernelILi512ELi64EL20rocsparse_direction_1EflifEEvT4_S2_T3_PKT5_S2_PS4_PKS3_PKS2_21rocsparse_index_base_,"axG",@progbits,_ZN9rocsparseL23sddmm_csx_sample_kernelILi512ELi64EL20rocsparse_direction_1EflifEEvT4_S2_T3_PKT5_S2_PS4_PKS3_PKS2_21rocsparse_index_base_,comdat
.Lfunc_end94:
	.size	_ZN9rocsparseL23sddmm_csx_sample_kernelILi512ELi64EL20rocsparse_direction_1EflifEEvT4_S2_T3_PKT5_S2_PS4_PKS3_PKS2_21rocsparse_index_base_, .Lfunc_end94-_ZN9rocsparseL23sddmm_csx_sample_kernelILi512ELi64EL20rocsparse_direction_1EflifEEvT4_S2_T3_PKT5_S2_PS4_PKS3_PKS2_21rocsparse_index_base_
                                        ; -- End function
	.set _ZN9rocsparseL23sddmm_csx_sample_kernelILi512ELi64EL20rocsparse_direction_1EflifEEvT4_S2_T3_PKT5_S2_PS4_PKS3_PKS2_21rocsparse_index_base_.num_vgpr, 22
	.set _ZN9rocsparseL23sddmm_csx_sample_kernelILi512ELi64EL20rocsparse_direction_1EflifEEvT4_S2_T3_PKT5_S2_PS4_PKS3_PKS2_21rocsparse_index_base_.num_agpr, 0
	.set _ZN9rocsparseL23sddmm_csx_sample_kernelILi512ELi64EL20rocsparse_direction_1EflifEEvT4_S2_T3_PKT5_S2_PS4_PKS3_PKS2_21rocsparse_index_base_.numbered_sgpr, 12
	.set _ZN9rocsparseL23sddmm_csx_sample_kernelILi512ELi64EL20rocsparse_direction_1EflifEEvT4_S2_T3_PKT5_S2_PS4_PKS3_PKS2_21rocsparse_index_base_.num_named_barrier, 0
	.set _ZN9rocsparseL23sddmm_csx_sample_kernelILi512ELi64EL20rocsparse_direction_1EflifEEvT4_S2_T3_PKT5_S2_PS4_PKS3_PKS2_21rocsparse_index_base_.private_seg_size, 0
	.set _ZN9rocsparseL23sddmm_csx_sample_kernelILi512ELi64EL20rocsparse_direction_1EflifEEvT4_S2_T3_PKT5_S2_PS4_PKS3_PKS2_21rocsparse_index_base_.uses_vcc, 1
	.set _ZN9rocsparseL23sddmm_csx_sample_kernelILi512ELi64EL20rocsparse_direction_1EflifEEvT4_S2_T3_PKT5_S2_PS4_PKS3_PKS2_21rocsparse_index_base_.uses_flat_scratch, 0
	.set _ZN9rocsparseL23sddmm_csx_sample_kernelILi512ELi64EL20rocsparse_direction_1EflifEEvT4_S2_T3_PKT5_S2_PS4_PKS3_PKS2_21rocsparse_index_base_.has_dyn_sized_stack, 0
	.set _ZN9rocsparseL23sddmm_csx_sample_kernelILi512ELi64EL20rocsparse_direction_1EflifEEvT4_S2_T3_PKT5_S2_PS4_PKS3_PKS2_21rocsparse_index_base_.has_recursion, 0
	.set _ZN9rocsparseL23sddmm_csx_sample_kernelILi512ELi64EL20rocsparse_direction_1EflifEEvT4_S2_T3_PKT5_S2_PS4_PKS3_PKS2_21rocsparse_index_base_.has_indirect_call, 0
	.section	.AMDGPU.csdata,"",@progbits
; Kernel info:
; codeLenInByte = 652
; TotalNumSgprs: 18
; NumVgprs: 22
; NumAgprs: 0
; TotalNumVgprs: 22
; ScratchSize: 0
; MemoryBound: 0
; FloatMode: 240
; IeeeMode: 1
; LDSByteSize: 0 bytes/workgroup (compile time only)
; SGPRBlocks: 2
; VGPRBlocks: 2
; NumSGPRsForWavesPerEU: 18
; NumVGPRsForWavesPerEU: 22
; AccumOffset: 24
; Occupancy: 8
; WaveLimiterHint : 1
; COMPUTE_PGM_RSRC2:SCRATCH_EN: 0
; COMPUTE_PGM_RSRC2:USER_SGPR: 2
; COMPUTE_PGM_RSRC2:TRAP_HANDLER: 0
; COMPUTE_PGM_RSRC2:TGID_X_EN: 1
; COMPUTE_PGM_RSRC2:TGID_Y_EN: 0
; COMPUTE_PGM_RSRC2:TGID_Z_EN: 0
; COMPUTE_PGM_RSRC2:TIDIG_COMP_CNT: 0
; COMPUTE_PGM_RSRC3_GFX90A:ACCUM_OFFSET: 5
; COMPUTE_PGM_RSRC3_GFX90A:TG_SPLIT: 0
	.section	.text._ZN9rocsparseL23sddmm_csx_sample_kernelILi512ELi32EL20rocsparse_direction_1EflifEEvT4_S2_T3_PKT5_S2_PS4_PKS3_PKS2_21rocsparse_index_base_,"axG",@progbits,_ZN9rocsparseL23sddmm_csx_sample_kernelILi512ELi32EL20rocsparse_direction_1EflifEEvT4_S2_T3_PKT5_S2_PS4_PKS3_PKS2_21rocsparse_index_base_,comdat
	.globl	_ZN9rocsparseL23sddmm_csx_sample_kernelILi512ELi32EL20rocsparse_direction_1EflifEEvT4_S2_T3_PKT5_S2_PS4_PKS3_PKS2_21rocsparse_index_base_ ; -- Begin function _ZN9rocsparseL23sddmm_csx_sample_kernelILi512ELi32EL20rocsparse_direction_1EflifEEvT4_S2_T3_PKT5_S2_PS4_PKS3_PKS2_21rocsparse_index_base_
	.p2align	8
	.type	_ZN9rocsparseL23sddmm_csx_sample_kernelILi512ELi32EL20rocsparse_direction_1EflifEEvT4_S2_T3_PKT5_S2_PS4_PKS3_PKS2_21rocsparse_index_base_,@function
_ZN9rocsparseL23sddmm_csx_sample_kernelILi512ELi32EL20rocsparse_direction_1EflifEEvT4_S2_T3_PKT5_S2_PS4_PKS3_PKS2_21rocsparse_index_base_: ; @_ZN9rocsparseL23sddmm_csx_sample_kernelILi512ELi32EL20rocsparse_direction_1EflifEEvT4_S2_T3_PKT5_S2_PS4_PKS3_PKS2_21rocsparse_index_base_
; %bb.0:
	s_load_dword s3, s[0:1], 0x4
	v_lshrrev_b32_e32 v1, 5, v0
	v_lshl_or_b32 v6, s2, 4, v1
	s_waitcnt lgkmcnt(0)
	v_cmp_gt_u32_e32 vcc, s3, v6
	s_and_saveexec_b64 s[2:3], vcc
	s_cbranch_execz .LBB95_9
; %bb.1:
	s_load_dwordx2 s[2:3], s[0:1], 0x28
	s_load_dword s8, s[0:1], 0x38
	v_mov_b32_e32 v7, 0
	v_and_b32_e32 v8, 31, v0
	s_mov_b32 s9, 0
	s_waitcnt lgkmcnt(0)
	v_lshl_add_u64 v[2:3], v[6:7], 3, s[2:3]
	global_load_dwordx4 v[2:5], v[2:3], off
	v_subrev_co_u32_e32 v0, vcc, s8, v8
	v_mov_b32_e32 v9, v7
	s_nop 0
	v_subb_co_u32_e64 v1, s[2:3], 0, 0, vcc
	s_waitcnt vmcnt(0)
	v_subrev_co_u32_e32 v4, vcc, s8, v4
	v_lshl_add_u64 v[0:1], v[0:1], 0, v[2:3]
	s_nop 0
	v_subbrev_co_u32_e32 v5, vcc, 0, v5, vcc
	v_cmp_lt_i64_e32 vcc, v[0:1], v[4:5]
	s_and_b64 exec, exec, vcc
	s_cbranch_execz .LBB95_9
; %bb.2:
	v_lshl_add_u64 v[10:11], v[2:3], 0, v[8:9]
	v_subrev_co_u32_e32 v10, vcc, s8, v10
	s_load_dwordx2 s[4:5], s[0:1], 0x30
	s_load_dword s10, s[0:1], 0x18
	s_load_dwordx2 s[6:7], s[0:1], 0x20
	s_load_dwordx2 s[2:3], s[0:1], 0x10
	v_subbrev_co_u32_e32 v11, vcc, 0, v11, vcc
	v_lshl_add_u64 v[10:11], v[10:11], 0, 32
	v_cmp_gt_i64_e32 vcc, v[10:11], v[4:5]
	v_not_b32_e32 v3, v3
	v_not_b32_e32 v2, v2
	v_cndmask_b32_e32 v11, v5, v11, vcc
	v_cndmask_b32_e32 v10, v4, v10, vcc
	v_lshl_add_u64 v[10:11], v[10:11], 0, s[8:9]
	v_lshl_add_u64 v[2:3], v[10:11], 0, v[2:3]
	v_sub_co_u32_e32 v2, vcc, v2, v8
	s_waitcnt lgkmcnt(0)
	v_mul_lo_u32 v6, s10, v6
	v_subbrev_co_u32_e32 v3, vcc, 0, v3, vcc
	v_subrev_u32_e32 v6, s8, v6
	v_cmp_lt_u64_e32 vcc, 31, v[2:3]
	s_mov_b64 s[8:9], -1
	s_and_saveexec_b64 s[0:1], vcc
	s_cbranch_execz .LBB95_6
; %bb.3:
	v_lshrrev_b64 v[2:3], 5, v[2:3]
	v_lshl_add_u64 v[2:3], v[2:3], 0, 1
	v_mov_b64_e32 v[10:11], 0x80
	v_and_b32_e32 v8, -2, v2
	v_mov_b32_e32 v9, v3
	v_lshl_add_u64 v[12:13], v[0:1], 2, v[10:11]
	v_mov_b32_e32 v7, v6
	v_lshl_add_u64 v[10:11], s[4:5], 0, v[12:13]
	v_lshl_add_u64 v[12:13], s[6:7], 0, v[12:13]
	s_mov_b64 s[8:9], 0
	s_mov_b64 s[10:11], 0x100
	v_mov_b64_e32 v[14:15], v[8:9]
.LBB95_4:                               ; =>This Inner Loop Header: Depth=1
	global_load_dword v16, v[10:11], off offset:-128
	global_load_dword v17, v[10:11], off
	v_lshl_add_u64 v[14:15], v[14:15], 0, -2
	v_cmp_eq_u64_e32 vcc, 0, v[14:15]
	v_lshl_add_u64 v[10:11], v[10:11], 0, s[10:11]
	s_or_b64 s[8:9], vcc, s[8:9]
	s_waitcnt vmcnt(1)
	v_add_u32_e32 v16, v6, v16
	s_waitcnt vmcnt(0)
	v_add_u32_e32 v18, v7, v17
	v_ashrrev_i32_e32 v17, 31, v16
	v_ashrrev_i32_e32 v19, 31, v18
	v_lshl_add_u64 v[16:17], v[16:17], 2, s[2:3]
	v_lshl_add_u64 v[18:19], v[18:19], 2, s[2:3]
	global_load_dword v20, v[16:17], off
	global_load_dword v21, v[18:19], off
	s_waitcnt vmcnt(1)
	global_store_dword v[12:13], v20, off offset:-128
	s_waitcnt vmcnt(1)
	global_store_dword v[12:13], v21, off
	v_lshl_add_u64 v[12:13], v[12:13], 0, s[10:11]
	s_andn2_b64 exec, exec, s[8:9]
	s_cbranch_execnz .LBB95_4
; %bb.5:
	s_or_b64 exec, exec, s[8:9]
	v_lshlrev_b64 v[10:11], 5, v[8:9]
	v_cmp_ne_u64_e32 vcc, v[2:3], v[8:9]
	v_lshl_add_u64 v[0:1], v[0:1], 0, v[10:11]
	s_orn2_b64 s[8:9], vcc, exec
.LBB95_6:
	s_or_b64 exec, exec, s[0:1]
	s_and_b64 exec, exec, s[8:9]
	s_cbranch_execz .LBB95_9
; %bb.7:
	v_lshlrev_b64 v[8:9], 2, v[0:1]
	v_lshl_add_u64 v[2:3], s[6:7], 0, v[8:9]
	v_lshl_add_u64 v[8:9], s[4:5], 0, v[8:9]
	s_mov_b64 s[0:1], 0
	s_mov_b64 s[4:5], 0x80
.LBB95_8:                               ; =>This Inner Loop Header: Depth=1
	global_load_dword v7, v[8:9], off
	v_lshl_add_u64 v[0:1], v[0:1], 0, 32
	v_cmp_ge_i64_e32 vcc, v[0:1], v[4:5]
	v_lshl_add_u64 v[8:9], v[8:9], 0, s[4:5]
	s_or_b64 s[0:1], vcc, s[0:1]
	s_waitcnt vmcnt(0)
	v_add_u32_e32 v10, v6, v7
	v_ashrrev_i32_e32 v11, 31, v10
	v_lshl_add_u64 v[10:11], v[10:11], 2, s[2:3]
	global_load_dword v7, v[10:11], off
	s_waitcnt vmcnt(0)
	global_store_dword v[2:3], v7, off
	v_lshl_add_u64 v[2:3], v[2:3], 0, s[4:5]
	s_andn2_b64 exec, exec, s[0:1]
	s_cbranch_execnz .LBB95_8
.LBB95_9:
	s_endpgm
	.section	.rodata,"a",@progbits
	.p2align	6, 0x0
	.amdhsa_kernel _ZN9rocsparseL23sddmm_csx_sample_kernelILi512ELi32EL20rocsparse_direction_1EflifEEvT4_S2_T3_PKT5_S2_PS4_PKS3_PKS2_21rocsparse_index_base_
		.amdhsa_group_segment_fixed_size 0
		.amdhsa_private_segment_fixed_size 0
		.amdhsa_kernarg_size 60
		.amdhsa_user_sgpr_count 2
		.amdhsa_user_sgpr_dispatch_ptr 0
		.amdhsa_user_sgpr_queue_ptr 0
		.amdhsa_user_sgpr_kernarg_segment_ptr 1
		.amdhsa_user_sgpr_dispatch_id 0
		.amdhsa_user_sgpr_kernarg_preload_length 0
		.amdhsa_user_sgpr_kernarg_preload_offset 0
		.amdhsa_user_sgpr_private_segment_size 0
		.amdhsa_uses_dynamic_stack 0
		.amdhsa_enable_private_segment 0
		.amdhsa_system_sgpr_workgroup_id_x 1
		.amdhsa_system_sgpr_workgroup_id_y 0
		.amdhsa_system_sgpr_workgroup_id_z 0
		.amdhsa_system_sgpr_workgroup_info 0
		.amdhsa_system_vgpr_workitem_id 0
		.amdhsa_next_free_vgpr 22
		.amdhsa_next_free_sgpr 12
		.amdhsa_accum_offset 24
		.amdhsa_reserve_vcc 1
		.amdhsa_float_round_mode_32 0
		.amdhsa_float_round_mode_16_64 0
		.amdhsa_float_denorm_mode_32 3
		.amdhsa_float_denorm_mode_16_64 3
		.amdhsa_dx10_clamp 1
		.amdhsa_ieee_mode 1
		.amdhsa_fp16_overflow 0
		.amdhsa_tg_split 0
		.amdhsa_exception_fp_ieee_invalid_op 0
		.amdhsa_exception_fp_denorm_src 0
		.amdhsa_exception_fp_ieee_div_zero 0
		.amdhsa_exception_fp_ieee_overflow 0
		.amdhsa_exception_fp_ieee_underflow 0
		.amdhsa_exception_fp_ieee_inexact 0
		.amdhsa_exception_int_div_zero 0
	.end_amdhsa_kernel
	.section	.text._ZN9rocsparseL23sddmm_csx_sample_kernelILi512ELi32EL20rocsparse_direction_1EflifEEvT4_S2_T3_PKT5_S2_PS4_PKS3_PKS2_21rocsparse_index_base_,"axG",@progbits,_ZN9rocsparseL23sddmm_csx_sample_kernelILi512ELi32EL20rocsparse_direction_1EflifEEvT4_S2_T3_PKT5_S2_PS4_PKS3_PKS2_21rocsparse_index_base_,comdat
.Lfunc_end95:
	.size	_ZN9rocsparseL23sddmm_csx_sample_kernelILi512ELi32EL20rocsparse_direction_1EflifEEvT4_S2_T3_PKT5_S2_PS4_PKS3_PKS2_21rocsparse_index_base_, .Lfunc_end95-_ZN9rocsparseL23sddmm_csx_sample_kernelILi512ELi32EL20rocsparse_direction_1EflifEEvT4_S2_T3_PKT5_S2_PS4_PKS3_PKS2_21rocsparse_index_base_
                                        ; -- End function
	.set _ZN9rocsparseL23sddmm_csx_sample_kernelILi512ELi32EL20rocsparse_direction_1EflifEEvT4_S2_T3_PKT5_S2_PS4_PKS3_PKS2_21rocsparse_index_base_.num_vgpr, 22
	.set _ZN9rocsparseL23sddmm_csx_sample_kernelILi512ELi32EL20rocsparse_direction_1EflifEEvT4_S2_T3_PKT5_S2_PS4_PKS3_PKS2_21rocsparse_index_base_.num_agpr, 0
	.set _ZN9rocsparseL23sddmm_csx_sample_kernelILi512ELi32EL20rocsparse_direction_1EflifEEvT4_S2_T3_PKT5_S2_PS4_PKS3_PKS2_21rocsparse_index_base_.numbered_sgpr, 12
	.set _ZN9rocsparseL23sddmm_csx_sample_kernelILi512ELi32EL20rocsparse_direction_1EflifEEvT4_S2_T3_PKT5_S2_PS4_PKS3_PKS2_21rocsparse_index_base_.num_named_barrier, 0
	.set _ZN9rocsparseL23sddmm_csx_sample_kernelILi512ELi32EL20rocsparse_direction_1EflifEEvT4_S2_T3_PKT5_S2_PS4_PKS3_PKS2_21rocsparse_index_base_.private_seg_size, 0
	.set _ZN9rocsparseL23sddmm_csx_sample_kernelILi512ELi32EL20rocsparse_direction_1EflifEEvT4_S2_T3_PKT5_S2_PS4_PKS3_PKS2_21rocsparse_index_base_.uses_vcc, 1
	.set _ZN9rocsparseL23sddmm_csx_sample_kernelILi512ELi32EL20rocsparse_direction_1EflifEEvT4_S2_T3_PKT5_S2_PS4_PKS3_PKS2_21rocsparse_index_base_.uses_flat_scratch, 0
	.set _ZN9rocsparseL23sddmm_csx_sample_kernelILi512ELi32EL20rocsparse_direction_1EflifEEvT4_S2_T3_PKT5_S2_PS4_PKS3_PKS2_21rocsparse_index_base_.has_dyn_sized_stack, 0
	.set _ZN9rocsparseL23sddmm_csx_sample_kernelILi512ELi32EL20rocsparse_direction_1EflifEEvT4_S2_T3_PKT5_S2_PS4_PKS3_PKS2_21rocsparse_index_base_.has_recursion, 0
	.set _ZN9rocsparseL23sddmm_csx_sample_kernelILi512ELi32EL20rocsparse_direction_1EflifEEvT4_S2_T3_PKT5_S2_PS4_PKS3_PKS2_21rocsparse_index_base_.has_indirect_call, 0
	.section	.AMDGPU.csdata,"",@progbits
; Kernel info:
; codeLenInByte = 652
; TotalNumSgprs: 18
; NumVgprs: 22
; NumAgprs: 0
; TotalNumVgprs: 22
; ScratchSize: 0
; MemoryBound: 0
; FloatMode: 240
; IeeeMode: 1
; LDSByteSize: 0 bytes/workgroup (compile time only)
; SGPRBlocks: 2
; VGPRBlocks: 2
; NumSGPRsForWavesPerEU: 18
; NumVGPRsForWavesPerEU: 22
; AccumOffset: 24
; Occupancy: 8
; WaveLimiterHint : 1
; COMPUTE_PGM_RSRC2:SCRATCH_EN: 0
; COMPUTE_PGM_RSRC2:USER_SGPR: 2
; COMPUTE_PGM_RSRC2:TRAP_HANDLER: 0
; COMPUTE_PGM_RSRC2:TGID_X_EN: 1
; COMPUTE_PGM_RSRC2:TGID_Y_EN: 0
; COMPUTE_PGM_RSRC2:TGID_Z_EN: 0
; COMPUTE_PGM_RSRC2:TIDIG_COMP_CNT: 0
; COMPUTE_PGM_RSRC3_GFX90A:ACCUM_OFFSET: 5
; COMPUTE_PGM_RSRC3_GFX90A:TG_SPLIT: 0
	.section	.text._ZN9rocsparseL23sddmm_csx_sample_kernelILi512ELi16EL20rocsparse_direction_1EflifEEvT4_S2_T3_PKT5_S2_PS4_PKS3_PKS2_21rocsparse_index_base_,"axG",@progbits,_ZN9rocsparseL23sddmm_csx_sample_kernelILi512ELi16EL20rocsparse_direction_1EflifEEvT4_S2_T3_PKT5_S2_PS4_PKS3_PKS2_21rocsparse_index_base_,comdat
	.globl	_ZN9rocsparseL23sddmm_csx_sample_kernelILi512ELi16EL20rocsparse_direction_1EflifEEvT4_S2_T3_PKT5_S2_PS4_PKS3_PKS2_21rocsparse_index_base_ ; -- Begin function _ZN9rocsparseL23sddmm_csx_sample_kernelILi512ELi16EL20rocsparse_direction_1EflifEEvT4_S2_T3_PKT5_S2_PS4_PKS3_PKS2_21rocsparse_index_base_
	.p2align	8
	.type	_ZN9rocsparseL23sddmm_csx_sample_kernelILi512ELi16EL20rocsparse_direction_1EflifEEvT4_S2_T3_PKT5_S2_PS4_PKS3_PKS2_21rocsparse_index_base_,@function
_ZN9rocsparseL23sddmm_csx_sample_kernelILi512ELi16EL20rocsparse_direction_1EflifEEvT4_S2_T3_PKT5_S2_PS4_PKS3_PKS2_21rocsparse_index_base_: ; @_ZN9rocsparseL23sddmm_csx_sample_kernelILi512ELi16EL20rocsparse_direction_1EflifEEvT4_S2_T3_PKT5_S2_PS4_PKS3_PKS2_21rocsparse_index_base_
; %bb.0:
	s_load_dword s3, s[0:1], 0x4
	v_lshrrev_b32_e32 v1, 4, v0
	v_lshl_or_b32 v6, s2, 5, v1
	s_waitcnt lgkmcnt(0)
	v_cmp_gt_u32_e32 vcc, s3, v6
	s_and_saveexec_b64 s[2:3], vcc
	s_cbranch_execz .LBB96_9
; %bb.1:
	s_load_dwordx2 s[2:3], s[0:1], 0x28
	s_load_dword s8, s[0:1], 0x38
	v_mov_b32_e32 v7, 0
	v_and_b32_e32 v8, 15, v0
	s_mov_b32 s9, 0
	s_waitcnt lgkmcnt(0)
	v_lshl_add_u64 v[2:3], v[6:7], 3, s[2:3]
	global_load_dwordx4 v[2:5], v[2:3], off
	v_subrev_co_u32_e32 v0, vcc, s8, v8
	v_mov_b32_e32 v9, v7
	s_nop 0
	v_subb_co_u32_e64 v1, s[2:3], 0, 0, vcc
	s_waitcnt vmcnt(0)
	v_subrev_co_u32_e32 v4, vcc, s8, v4
	v_lshl_add_u64 v[0:1], v[0:1], 0, v[2:3]
	s_nop 0
	v_subbrev_co_u32_e32 v5, vcc, 0, v5, vcc
	v_cmp_lt_i64_e32 vcc, v[0:1], v[4:5]
	s_and_b64 exec, exec, vcc
	s_cbranch_execz .LBB96_9
; %bb.2:
	v_lshl_add_u64 v[10:11], v[2:3], 0, v[8:9]
	v_subrev_co_u32_e32 v10, vcc, s8, v10
	s_load_dwordx2 s[4:5], s[0:1], 0x30
	s_load_dword s10, s[0:1], 0x18
	s_load_dwordx2 s[6:7], s[0:1], 0x20
	s_load_dwordx2 s[2:3], s[0:1], 0x10
	v_subbrev_co_u32_e32 v11, vcc, 0, v11, vcc
	v_lshl_add_u64 v[10:11], v[10:11], 0, 16
	v_cmp_gt_i64_e32 vcc, v[10:11], v[4:5]
	v_not_b32_e32 v3, v3
	v_not_b32_e32 v2, v2
	v_cndmask_b32_e32 v11, v5, v11, vcc
	v_cndmask_b32_e32 v10, v4, v10, vcc
	v_lshl_add_u64 v[10:11], v[10:11], 0, s[8:9]
	v_lshl_add_u64 v[2:3], v[10:11], 0, v[2:3]
	v_sub_co_u32_e32 v2, vcc, v2, v8
	s_waitcnt lgkmcnt(0)
	v_mul_lo_u32 v6, s10, v6
	v_subbrev_co_u32_e32 v3, vcc, 0, v3, vcc
	v_subrev_u32_e32 v6, s8, v6
	v_cmp_lt_u64_e32 vcc, 15, v[2:3]
	s_mov_b64 s[8:9], -1
	s_and_saveexec_b64 s[0:1], vcc
	s_cbranch_execz .LBB96_6
; %bb.3:
	v_lshrrev_b64 v[2:3], 4, v[2:3]
	v_lshl_add_u64 v[2:3], v[2:3], 0, 1
	v_and_b32_e32 v8, -2, v2
	v_mov_b32_e32 v9, v3
	v_lshl_add_u64 v[12:13], v[0:1], 2, 64
	v_mov_b32_e32 v7, v6
	v_lshl_add_u64 v[10:11], s[4:5], 0, v[12:13]
	v_lshl_add_u64 v[12:13], s[6:7], 0, v[12:13]
	s_mov_b64 s[8:9], 0
	s_mov_b64 s[10:11], 0x80
	v_mov_b64_e32 v[14:15], v[8:9]
.LBB96_4:                               ; =>This Inner Loop Header: Depth=1
	global_load_dword v16, v[10:11], off offset:-64
	global_load_dword v17, v[10:11], off
	v_lshl_add_u64 v[14:15], v[14:15], 0, -2
	v_cmp_eq_u64_e32 vcc, 0, v[14:15]
	v_lshl_add_u64 v[10:11], v[10:11], 0, s[10:11]
	s_or_b64 s[8:9], vcc, s[8:9]
	s_waitcnt vmcnt(1)
	v_add_u32_e32 v16, v6, v16
	s_waitcnt vmcnt(0)
	v_add_u32_e32 v18, v7, v17
	v_ashrrev_i32_e32 v17, 31, v16
	v_ashrrev_i32_e32 v19, 31, v18
	v_lshl_add_u64 v[16:17], v[16:17], 2, s[2:3]
	v_lshl_add_u64 v[18:19], v[18:19], 2, s[2:3]
	global_load_dword v20, v[16:17], off
	global_load_dword v21, v[18:19], off
	s_waitcnt vmcnt(1)
	global_store_dword v[12:13], v20, off offset:-64
	s_waitcnt vmcnt(1)
	global_store_dword v[12:13], v21, off
	v_lshl_add_u64 v[12:13], v[12:13], 0, s[10:11]
	s_andn2_b64 exec, exec, s[8:9]
	s_cbranch_execnz .LBB96_4
; %bb.5:
	s_or_b64 exec, exec, s[8:9]
	v_cmp_ne_u64_e32 vcc, v[2:3], v[8:9]
	v_lshl_add_u64 v[0:1], v[8:9], 4, v[0:1]
	s_orn2_b64 s[8:9], vcc, exec
.LBB96_6:
	s_or_b64 exec, exec, s[0:1]
	s_and_b64 exec, exec, s[8:9]
	s_cbranch_execz .LBB96_9
; %bb.7:
	v_lshlrev_b64 v[8:9], 2, v[0:1]
	v_lshl_add_u64 v[2:3], s[6:7], 0, v[8:9]
	v_lshl_add_u64 v[8:9], s[4:5], 0, v[8:9]
	s_mov_b64 s[0:1], 0
.LBB96_8:                               ; =>This Inner Loop Header: Depth=1
	global_load_dword v7, v[8:9], off
	v_lshl_add_u64 v[0:1], v[0:1], 0, 16
	v_cmp_ge_i64_e32 vcc, v[0:1], v[4:5]
	v_lshl_add_u64 v[8:9], v[8:9], 0, 64
	s_or_b64 s[0:1], vcc, s[0:1]
	s_waitcnt vmcnt(0)
	v_add_u32_e32 v10, v6, v7
	v_ashrrev_i32_e32 v11, 31, v10
	v_lshl_add_u64 v[10:11], v[10:11], 2, s[2:3]
	global_load_dword v7, v[10:11], off
	s_waitcnt vmcnt(0)
	global_store_dword v[2:3], v7, off
	v_lshl_add_u64 v[2:3], v[2:3], 0, 64
	s_andn2_b64 exec, exec, s[0:1]
	s_cbranch_execnz .LBB96_8
.LBB96_9:
	s_endpgm
	.section	.rodata,"a",@progbits
	.p2align	6, 0x0
	.amdhsa_kernel _ZN9rocsparseL23sddmm_csx_sample_kernelILi512ELi16EL20rocsparse_direction_1EflifEEvT4_S2_T3_PKT5_S2_PS4_PKS3_PKS2_21rocsparse_index_base_
		.amdhsa_group_segment_fixed_size 0
		.amdhsa_private_segment_fixed_size 0
		.amdhsa_kernarg_size 60
		.amdhsa_user_sgpr_count 2
		.amdhsa_user_sgpr_dispatch_ptr 0
		.amdhsa_user_sgpr_queue_ptr 0
		.amdhsa_user_sgpr_kernarg_segment_ptr 1
		.amdhsa_user_sgpr_dispatch_id 0
		.amdhsa_user_sgpr_kernarg_preload_length 0
		.amdhsa_user_sgpr_kernarg_preload_offset 0
		.amdhsa_user_sgpr_private_segment_size 0
		.amdhsa_uses_dynamic_stack 0
		.amdhsa_enable_private_segment 0
		.amdhsa_system_sgpr_workgroup_id_x 1
		.amdhsa_system_sgpr_workgroup_id_y 0
		.amdhsa_system_sgpr_workgroup_id_z 0
		.amdhsa_system_sgpr_workgroup_info 0
		.amdhsa_system_vgpr_workitem_id 0
		.amdhsa_next_free_vgpr 22
		.amdhsa_next_free_sgpr 12
		.amdhsa_accum_offset 24
		.amdhsa_reserve_vcc 1
		.amdhsa_float_round_mode_32 0
		.amdhsa_float_round_mode_16_64 0
		.amdhsa_float_denorm_mode_32 3
		.amdhsa_float_denorm_mode_16_64 3
		.amdhsa_dx10_clamp 1
		.amdhsa_ieee_mode 1
		.amdhsa_fp16_overflow 0
		.amdhsa_tg_split 0
		.amdhsa_exception_fp_ieee_invalid_op 0
		.amdhsa_exception_fp_denorm_src 0
		.amdhsa_exception_fp_ieee_div_zero 0
		.amdhsa_exception_fp_ieee_overflow 0
		.amdhsa_exception_fp_ieee_underflow 0
		.amdhsa_exception_fp_ieee_inexact 0
		.amdhsa_exception_int_div_zero 0
	.end_amdhsa_kernel
	.section	.text._ZN9rocsparseL23sddmm_csx_sample_kernelILi512ELi16EL20rocsparse_direction_1EflifEEvT4_S2_T3_PKT5_S2_PS4_PKS3_PKS2_21rocsparse_index_base_,"axG",@progbits,_ZN9rocsparseL23sddmm_csx_sample_kernelILi512ELi16EL20rocsparse_direction_1EflifEEvT4_S2_T3_PKT5_S2_PS4_PKS3_PKS2_21rocsparse_index_base_,comdat
.Lfunc_end96:
	.size	_ZN9rocsparseL23sddmm_csx_sample_kernelILi512ELi16EL20rocsparse_direction_1EflifEEvT4_S2_T3_PKT5_S2_PS4_PKS3_PKS2_21rocsparse_index_base_, .Lfunc_end96-_ZN9rocsparseL23sddmm_csx_sample_kernelILi512ELi16EL20rocsparse_direction_1EflifEEvT4_S2_T3_PKT5_S2_PS4_PKS3_PKS2_21rocsparse_index_base_
                                        ; -- End function
	.set _ZN9rocsparseL23sddmm_csx_sample_kernelILi512ELi16EL20rocsparse_direction_1EflifEEvT4_S2_T3_PKT5_S2_PS4_PKS3_PKS2_21rocsparse_index_base_.num_vgpr, 22
	.set _ZN9rocsparseL23sddmm_csx_sample_kernelILi512ELi16EL20rocsparse_direction_1EflifEEvT4_S2_T3_PKT5_S2_PS4_PKS3_PKS2_21rocsparse_index_base_.num_agpr, 0
	.set _ZN9rocsparseL23sddmm_csx_sample_kernelILi512ELi16EL20rocsparse_direction_1EflifEEvT4_S2_T3_PKT5_S2_PS4_PKS3_PKS2_21rocsparse_index_base_.numbered_sgpr, 12
	.set _ZN9rocsparseL23sddmm_csx_sample_kernelILi512ELi16EL20rocsparse_direction_1EflifEEvT4_S2_T3_PKT5_S2_PS4_PKS3_PKS2_21rocsparse_index_base_.num_named_barrier, 0
	.set _ZN9rocsparseL23sddmm_csx_sample_kernelILi512ELi16EL20rocsparse_direction_1EflifEEvT4_S2_T3_PKT5_S2_PS4_PKS3_PKS2_21rocsparse_index_base_.private_seg_size, 0
	.set _ZN9rocsparseL23sddmm_csx_sample_kernelILi512ELi16EL20rocsparse_direction_1EflifEEvT4_S2_T3_PKT5_S2_PS4_PKS3_PKS2_21rocsparse_index_base_.uses_vcc, 1
	.set _ZN9rocsparseL23sddmm_csx_sample_kernelILi512ELi16EL20rocsparse_direction_1EflifEEvT4_S2_T3_PKT5_S2_PS4_PKS3_PKS2_21rocsparse_index_base_.uses_flat_scratch, 0
	.set _ZN9rocsparseL23sddmm_csx_sample_kernelILi512ELi16EL20rocsparse_direction_1EflifEEvT4_S2_T3_PKT5_S2_PS4_PKS3_PKS2_21rocsparse_index_base_.has_dyn_sized_stack, 0
	.set _ZN9rocsparseL23sddmm_csx_sample_kernelILi512ELi16EL20rocsparse_direction_1EflifEEvT4_S2_T3_PKT5_S2_PS4_PKS3_PKS2_21rocsparse_index_base_.has_recursion, 0
	.set _ZN9rocsparseL23sddmm_csx_sample_kernelILi512ELi16EL20rocsparse_direction_1EflifEEvT4_S2_T3_PKT5_S2_PS4_PKS3_PKS2_21rocsparse_index_base_.has_indirect_call, 0
	.section	.AMDGPU.csdata,"",@progbits
; Kernel info:
; codeLenInByte = 628
; TotalNumSgprs: 18
; NumVgprs: 22
; NumAgprs: 0
; TotalNumVgprs: 22
; ScratchSize: 0
; MemoryBound: 0
; FloatMode: 240
; IeeeMode: 1
; LDSByteSize: 0 bytes/workgroup (compile time only)
; SGPRBlocks: 2
; VGPRBlocks: 2
; NumSGPRsForWavesPerEU: 18
; NumVGPRsForWavesPerEU: 22
; AccumOffset: 24
; Occupancy: 8
; WaveLimiterHint : 1
; COMPUTE_PGM_RSRC2:SCRATCH_EN: 0
; COMPUTE_PGM_RSRC2:USER_SGPR: 2
; COMPUTE_PGM_RSRC2:TRAP_HANDLER: 0
; COMPUTE_PGM_RSRC2:TGID_X_EN: 1
; COMPUTE_PGM_RSRC2:TGID_Y_EN: 0
; COMPUTE_PGM_RSRC2:TGID_Z_EN: 0
; COMPUTE_PGM_RSRC2:TIDIG_COMP_CNT: 0
; COMPUTE_PGM_RSRC3_GFX90A:ACCUM_OFFSET: 5
; COMPUTE_PGM_RSRC3_GFX90A:TG_SPLIT: 0
	.section	.text._ZN9rocsparseL23sddmm_csx_sample_kernelILi512ELi8EL20rocsparse_direction_1EflifEEvT4_S2_T3_PKT5_S2_PS4_PKS3_PKS2_21rocsparse_index_base_,"axG",@progbits,_ZN9rocsparseL23sddmm_csx_sample_kernelILi512ELi8EL20rocsparse_direction_1EflifEEvT4_S2_T3_PKT5_S2_PS4_PKS3_PKS2_21rocsparse_index_base_,comdat
	.globl	_ZN9rocsparseL23sddmm_csx_sample_kernelILi512ELi8EL20rocsparse_direction_1EflifEEvT4_S2_T3_PKT5_S2_PS4_PKS3_PKS2_21rocsparse_index_base_ ; -- Begin function _ZN9rocsparseL23sddmm_csx_sample_kernelILi512ELi8EL20rocsparse_direction_1EflifEEvT4_S2_T3_PKT5_S2_PS4_PKS3_PKS2_21rocsparse_index_base_
	.p2align	8
	.type	_ZN9rocsparseL23sddmm_csx_sample_kernelILi512ELi8EL20rocsparse_direction_1EflifEEvT4_S2_T3_PKT5_S2_PS4_PKS3_PKS2_21rocsparse_index_base_,@function
_ZN9rocsparseL23sddmm_csx_sample_kernelILi512ELi8EL20rocsparse_direction_1EflifEEvT4_S2_T3_PKT5_S2_PS4_PKS3_PKS2_21rocsparse_index_base_: ; @_ZN9rocsparseL23sddmm_csx_sample_kernelILi512ELi8EL20rocsparse_direction_1EflifEEvT4_S2_T3_PKT5_S2_PS4_PKS3_PKS2_21rocsparse_index_base_
; %bb.0:
	s_load_dword s3, s[0:1], 0x4
	v_lshrrev_b32_e32 v1, 3, v0
	v_lshl_or_b32 v6, s2, 6, v1
	s_waitcnt lgkmcnt(0)
	v_cmp_gt_u32_e32 vcc, s3, v6
	s_and_saveexec_b64 s[2:3], vcc
	s_cbranch_execz .LBB97_9
; %bb.1:
	s_load_dwordx2 s[2:3], s[0:1], 0x28
	s_load_dword s8, s[0:1], 0x38
	v_mov_b32_e32 v7, 0
	v_and_b32_e32 v8, 7, v0
	s_mov_b32 s9, 0
	s_waitcnt lgkmcnt(0)
	v_lshl_add_u64 v[2:3], v[6:7], 3, s[2:3]
	global_load_dwordx4 v[2:5], v[2:3], off
	v_subrev_co_u32_e32 v0, vcc, s8, v8
	v_mov_b32_e32 v9, v7
	s_nop 0
	v_subb_co_u32_e64 v1, s[2:3], 0, 0, vcc
	s_waitcnt vmcnt(0)
	v_subrev_co_u32_e32 v4, vcc, s8, v4
	v_lshl_add_u64 v[0:1], v[0:1], 0, v[2:3]
	s_nop 0
	v_subbrev_co_u32_e32 v5, vcc, 0, v5, vcc
	v_cmp_lt_i64_e32 vcc, v[0:1], v[4:5]
	s_and_b64 exec, exec, vcc
	s_cbranch_execz .LBB97_9
; %bb.2:
	v_lshl_add_u64 v[10:11], v[2:3], 0, v[8:9]
	v_subrev_co_u32_e32 v10, vcc, s8, v10
	s_load_dwordx2 s[4:5], s[0:1], 0x30
	s_load_dword s10, s[0:1], 0x18
	s_load_dwordx2 s[6:7], s[0:1], 0x20
	s_load_dwordx2 s[2:3], s[0:1], 0x10
	v_subbrev_co_u32_e32 v11, vcc, 0, v11, vcc
	v_lshl_add_u64 v[10:11], v[10:11], 0, 8
	v_cmp_gt_i64_e32 vcc, v[10:11], v[4:5]
	v_not_b32_e32 v3, v3
	v_not_b32_e32 v2, v2
	v_cndmask_b32_e32 v11, v5, v11, vcc
	v_cndmask_b32_e32 v10, v4, v10, vcc
	v_lshl_add_u64 v[10:11], v[10:11], 0, s[8:9]
	v_lshl_add_u64 v[2:3], v[10:11], 0, v[2:3]
	v_sub_co_u32_e32 v2, vcc, v2, v8
	s_waitcnt lgkmcnt(0)
	v_mul_lo_u32 v6, s10, v6
	v_subbrev_co_u32_e32 v3, vcc, 0, v3, vcc
	v_subrev_u32_e32 v6, s8, v6
	v_cmp_lt_u64_e32 vcc, 7, v[2:3]
	s_mov_b64 s[8:9], -1
	s_and_saveexec_b64 s[0:1], vcc
	s_cbranch_execz .LBB97_6
; %bb.3:
	v_lshrrev_b64 v[2:3], 3, v[2:3]
	v_lshl_add_u64 v[2:3], v[2:3], 0, 1
	v_and_b32_e32 v8, -2, v2
	v_mov_b32_e32 v9, v3
	v_lshl_add_u64 v[12:13], v[0:1], 2, 32
	v_mov_b32_e32 v7, v6
	v_lshl_add_u64 v[10:11], s[4:5], 0, v[12:13]
	v_lshl_add_u64 v[12:13], s[6:7], 0, v[12:13]
	s_mov_b64 s[8:9], 0
	v_mov_b64_e32 v[14:15], v[8:9]
.LBB97_4:                               ; =>This Inner Loop Header: Depth=1
	global_load_dword v16, v[10:11], off offset:-32
	global_load_dword v17, v[10:11], off
	v_lshl_add_u64 v[14:15], v[14:15], 0, -2
	v_cmp_eq_u64_e32 vcc, 0, v[14:15]
	v_lshl_add_u64 v[10:11], v[10:11], 0, 64
	s_or_b64 s[8:9], vcc, s[8:9]
	s_waitcnt vmcnt(1)
	v_add_u32_e32 v16, v6, v16
	s_waitcnt vmcnt(0)
	v_add_u32_e32 v18, v7, v17
	v_ashrrev_i32_e32 v17, 31, v16
	v_ashrrev_i32_e32 v19, 31, v18
	v_lshl_add_u64 v[16:17], v[16:17], 2, s[2:3]
	v_lshl_add_u64 v[18:19], v[18:19], 2, s[2:3]
	global_load_dword v20, v[16:17], off
	global_load_dword v21, v[18:19], off
	s_waitcnt vmcnt(1)
	global_store_dword v[12:13], v20, off offset:-32
	s_waitcnt vmcnt(1)
	global_store_dword v[12:13], v21, off
	v_lshl_add_u64 v[12:13], v[12:13], 0, 64
	s_andn2_b64 exec, exec, s[8:9]
	s_cbranch_execnz .LBB97_4
; %bb.5:
	s_or_b64 exec, exec, s[8:9]
	v_cmp_ne_u64_e32 vcc, v[2:3], v[8:9]
	v_lshl_add_u64 v[0:1], v[8:9], 3, v[0:1]
	s_orn2_b64 s[8:9], vcc, exec
.LBB97_6:
	s_or_b64 exec, exec, s[0:1]
	s_and_b64 exec, exec, s[8:9]
	s_cbranch_execz .LBB97_9
; %bb.7:
	v_lshlrev_b64 v[8:9], 2, v[0:1]
	v_lshl_add_u64 v[2:3], s[6:7], 0, v[8:9]
	v_lshl_add_u64 v[8:9], s[4:5], 0, v[8:9]
	s_mov_b64 s[0:1], 0
.LBB97_8:                               ; =>This Inner Loop Header: Depth=1
	global_load_dword v7, v[8:9], off
	v_lshl_add_u64 v[0:1], v[0:1], 0, 8
	v_cmp_ge_i64_e32 vcc, v[0:1], v[4:5]
	v_lshl_add_u64 v[8:9], v[8:9], 0, 32
	s_or_b64 s[0:1], vcc, s[0:1]
	s_waitcnt vmcnt(0)
	v_add_u32_e32 v10, v6, v7
	v_ashrrev_i32_e32 v11, 31, v10
	v_lshl_add_u64 v[10:11], v[10:11], 2, s[2:3]
	global_load_dword v7, v[10:11], off
	s_waitcnt vmcnt(0)
	global_store_dword v[2:3], v7, off
	v_lshl_add_u64 v[2:3], v[2:3], 0, 32
	s_andn2_b64 exec, exec, s[0:1]
	s_cbranch_execnz .LBB97_8
.LBB97_9:
	s_endpgm
	.section	.rodata,"a",@progbits
	.p2align	6, 0x0
	.amdhsa_kernel _ZN9rocsparseL23sddmm_csx_sample_kernelILi512ELi8EL20rocsparse_direction_1EflifEEvT4_S2_T3_PKT5_S2_PS4_PKS3_PKS2_21rocsparse_index_base_
		.amdhsa_group_segment_fixed_size 0
		.amdhsa_private_segment_fixed_size 0
		.amdhsa_kernarg_size 60
		.amdhsa_user_sgpr_count 2
		.amdhsa_user_sgpr_dispatch_ptr 0
		.amdhsa_user_sgpr_queue_ptr 0
		.amdhsa_user_sgpr_kernarg_segment_ptr 1
		.amdhsa_user_sgpr_dispatch_id 0
		.amdhsa_user_sgpr_kernarg_preload_length 0
		.amdhsa_user_sgpr_kernarg_preload_offset 0
		.amdhsa_user_sgpr_private_segment_size 0
		.amdhsa_uses_dynamic_stack 0
		.amdhsa_enable_private_segment 0
		.amdhsa_system_sgpr_workgroup_id_x 1
		.amdhsa_system_sgpr_workgroup_id_y 0
		.amdhsa_system_sgpr_workgroup_id_z 0
		.amdhsa_system_sgpr_workgroup_info 0
		.amdhsa_system_vgpr_workitem_id 0
		.amdhsa_next_free_vgpr 22
		.amdhsa_next_free_sgpr 11
		.amdhsa_accum_offset 24
		.amdhsa_reserve_vcc 1
		.amdhsa_float_round_mode_32 0
		.amdhsa_float_round_mode_16_64 0
		.amdhsa_float_denorm_mode_32 3
		.amdhsa_float_denorm_mode_16_64 3
		.amdhsa_dx10_clamp 1
		.amdhsa_ieee_mode 1
		.amdhsa_fp16_overflow 0
		.amdhsa_tg_split 0
		.amdhsa_exception_fp_ieee_invalid_op 0
		.amdhsa_exception_fp_denorm_src 0
		.amdhsa_exception_fp_ieee_div_zero 0
		.amdhsa_exception_fp_ieee_overflow 0
		.amdhsa_exception_fp_ieee_underflow 0
		.amdhsa_exception_fp_ieee_inexact 0
		.amdhsa_exception_int_div_zero 0
	.end_amdhsa_kernel
	.section	.text._ZN9rocsparseL23sddmm_csx_sample_kernelILi512ELi8EL20rocsparse_direction_1EflifEEvT4_S2_T3_PKT5_S2_PS4_PKS3_PKS2_21rocsparse_index_base_,"axG",@progbits,_ZN9rocsparseL23sddmm_csx_sample_kernelILi512ELi8EL20rocsparse_direction_1EflifEEvT4_S2_T3_PKT5_S2_PS4_PKS3_PKS2_21rocsparse_index_base_,comdat
.Lfunc_end97:
	.size	_ZN9rocsparseL23sddmm_csx_sample_kernelILi512ELi8EL20rocsparse_direction_1EflifEEvT4_S2_T3_PKT5_S2_PS4_PKS3_PKS2_21rocsparse_index_base_, .Lfunc_end97-_ZN9rocsparseL23sddmm_csx_sample_kernelILi512ELi8EL20rocsparse_direction_1EflifEEvT4_S2_T3_PKT5_S2_PS4_PKS3_PKS2_21rocsparse_index_base_
                                        ; -- End function
	.set _ZN9rocsparseL23sddmm_csx_sample_kernelILi512ELi8EL20rocsparse_direction_1EflifEEvT4_S2_T3_PKT5_S2_PS4_PKS3_PKS2_21rocsparse_index_base_.num_vgpr, 22
	.set _ZN9rocsparseL23sddmm_csx_sample_kernelILi512ELi8EL20rocsparse_direction_1EflifEEvT4_S2_T3_PKT5_S2_PS4_PKS3_PKS2_21rocsparse_index_base_.num_agpr, 0
	.set _ZN9rocsparseL23sddmm_csx_sample_kernelILi512ELi8EL20rocsparse_direction_1EflifEEvT4_S2_T3_PKT5_S2_PS4_PKS3_PKS2_21rocsparse_index_base_.numbered_sgpr, 11
	.set _ZN9rocsparseL23sddmm_csx_sample_kernelILi512ELi8EL20rocsparse_direction_1EflifEEvT4_S2_T3_PKT5_S2_PS4_PKS3_PKS2_21rocsparse_index_base_.num_named_barrier, 0
	.set _ZN9rocsparseL23sddmm_csx_sample_kernelILi512ELi8EL20rocsparse_direction_1EflifEEvT4_S2_T3_PKT5_S2_PS4_PKS3_PKS2_21rocsparse_index_base_.private_seg_size, 0
	.set _ZN9rocsparseL23sddmm_csx_sample_kernelILi512ELi8EL20rocsparse_direction_1EflifEEvT4_S2_T3_PKT5_S2_PS4_PKS3_PKS2_21rocsparse_index_base_.uses_vcc, 1
	.set _ZN9rocsparseL23sddmm_csx_sample_kernelILi512ELi8EL20rocsparse_direction_1EflifEEvT4_S2_T3_PKT5_S2_PS4_PKS3_PKS2_21rocsparse_index_base_.uses_flat_scratch, 0
	.set _ZN9rocsparseL23sddmm_csx_sample_kernelILi512ELi8EL20rocsparse_direction_1EflifEEvT4_S2_T3_PKT5_S2_PS4_PKS3_PKS2_21rocsparse_index_base_.has_dyn_sized_stack, 0
	.set _ZN9rocsparseL23sddmm_csx_sample_kernelILi512ELi8EL20rocsparse_direction_1EflifEEvT4_S2_T3_PKT5_S2_PS4_PKS3_PKS2_21rocsparse_index_base_.has_recursion, 0
	.set _ZN9rocsparseL23sddmm_csx_sample_kernelILi512ELi8EL20rocsparse_direction_1EflifEEvT4_S2_T3_PKT5_S2_PS4_PKS3_PKS2_21rocsparse_index_base_.has_indirect_call, 0
	.section	.AMDGPU.csdata,"",@progbits
; Kernel info:
; codeLenInByte = 620
; TotalNumSgprs: 17
; NumVgprs: 22
; NumAgprs: 0
; TotalNumVgprs: 22
; ScratchSize: 0
; MemoryBound: 0
; FloatMode: 240
; IeeeMode: 1
; LDSByteSize: 0 bytes/workgroup (compile time only)
; SGPRBlocks: 2
; VGPRBlocks: 2
; NumSGPRsForWavesPerEU: 17
; NumVGPRsForWavesPerEU: 22
; AccumOffset: 24
; Occupancy: 8
; WaveLimiterHint : 1
; COMPUTE_PGM_RSRC2:SCRATCH_EN: 0
; COMPUTE_PGM_RSRC2:USER_SGPR: 2
; COMPUTE_PGM_RSRC2:TRAP_HANDLER: 0
; COMPUTE_PGM_RSRC2:TGID_X_EN: 1
; COMPUTE_PGM_RSRC2:TGID_Y_EN: 0
; COMPUTE_PGM_RSRC2:TGID_Z_EN: 0
; COMPUTE_PGM_RSRC2:TIDIG_COMP_CNT: 0
; COMPUTE_PGM_RSRC3_GFX90A:ACCUM_OFFSET: 5
; COMPUTE_PGM_RSRC3_GFX90A:TG_SPLIT: 0
	.section	.text._ZN9rocsparseL23sddmm_csx_sample_kernelILi512ELi4EL20rocsparse_direction_1EflifEEvT4_S2_T3_PKT5_S2_PS4_PKS3_PKS2_21rocsparse_index_base_,"axG",@progbits,_ZN9rocsparseL23sddmm_csx_sample_kernelILi512ELi4EL20rocsparse_direction_1EflifEEvT4_S2_T3_PKT5_S2_PS4_PKS3_PKS2_21rocsparse_index_base_,comdat
	.globl	_ZN9rocsparseL23sddmm_csx_sample_kernelILi512ELi4EL20rocsparse_direction_1EflifEEvT4_S2_T3_PKT5_S2_PS4_PKS3_PKS2_21rocsparse_index_base_ ; -- Begin function _ZN9rocsparseL23sddmm_csx_sample_kernelILi512ELi4EL20rocsparse_direction_1EflifEEvT4_S2_T3_PKT5_S2_PS4_PKS3_PKS2_21rocsparse_index_base_
	.p2align	8
	.type	_ZN9rocsparseL23sddmm_csx_sample_kernelILi512ELi4EL20rocsparse_direction_1EflifEEvT4_S2_T3_PKT5_S2_PS4_PKS3_PKS2_21rocsparse_index_base_,@function
_ZN9rocsparseL23sddmm_csx_sample_kernelILi512ELi4EL20rocsparse_direction_1EflifEEvT4_S2_T3_PKT5_S2_PS4_PKS3_PKS2_21rocsparse_index_base_: ; @_ZN9rocsparseL23sddmm_csx_sample_kernelILi512ELi4EL20rocsparse_direction_1EflifEEvT4_S2_T3_PKT5_S2_PS4_PKS3_PKS2_21rocsparse_index_base_
; %bb.0:
	s_load_dword s3, s[0:1], 0x4
	v_lshrrev_b32_e32 v1, 2, v0
	v_lshl_or_b32 v6, s2, 7, v1
	s_waitcnt lgkmcnt(0)
	v_cmp_gt_u32_e32 vcc, s3, v6
	s_and_saveexec_b64 s[2:3], vcc
	s_cbranch_execz .LBB98_9
; %bb.1:
	s_load_dwordx2 s[2:3], s[0:1], 0x28
	s_load_dword s8, s[0:1], 0x38
	v_mov_b32_e32 v7, 0
	v_and_b32_e32 v8, 3, v0
	s_mov_b32 s9, 0
	s_waitcnt lgkmcnt(0)
	v_lshl_add_u64 v[2:3], v[6:7], 3, s[2:3]
	global_load_dwordx4 v[2:5], v[2:3], off
	v_subrev_co_u32_e32 v0, vcc, s8, v8
	v_mov_b32_e32 v9, v7
	s_nop 0
	v_subb_co_u32_e64 v1, s[2:3], 0, 0, vcc
	s_waitcnt vmcnt(0)
	v_subrev_co_u32_e32 v4, vcc, s8, v4
	v_lshl_add_u64 v[0:1], v[0:1], 0, v[2:3]
	s_nop 0
	v_subbrev_co_u32_e32 v5, vcc, 0, v5, vcc
	v_cmp_lt_i64_e32 vcc, v[0:1], v[4:5]
	s_and_b64 exec, exec, vcc
	s_cbranch_execz .LBB98_9
; %bb.2:
	v_lshl_add_u64 v[10:11], v[2:3], 0, v[8:9]
	v_subrev_co_u32_e32 v10, vcc, s8, v10
	s_load_dwordx2 s[4:5], s[0:1], 0x30
	s_load_dword s10, s[0:1], 0x18
	s_load_dwordx2 s[6:7], s[0:1], 0x20
	s_load_dwordx2 s[2:3], s[0:1], 0x10
	v_subbrev_co_u32_e32 v11, vcc, 0, v11, vcc
	v_lshl_add_u64 v[10:11], v[10:11], 0, 4
	v_cmp_gt_i64_e32 vcc, v[10:11], v[4:5]
	v_not_b32_e32 v3, v3
	v_not_b32_e32 v2, v2
	v_cndmask_b32_e32 v11, v5, v11, vcc
	v_cndmask_b32_e32 v10, v4, v10, vcc
	v_lshl_add_u64 v[10:11], v[10:11], 0, s[8:9]
	v_lshl_add_u64 v[2:3], v[10:11], 0, v[2:3]
	v_sub_co_u32_e32 v2, vcc, v2, v8
	s_waitcnt lgkmcnt(0)
	v_mul_lo_u32 v6, s10, v6
	v_subbrev_co_u32_e32 v3, vcc, 0, v3, vcc
	v_subrev_u32_e32 v6, s8, v6
	v_cmp_lt_u64_e32 vcc, 3, v[2:3]
	s_mov_b64 s[8:9], -1
	s_and_saveexec_b64 s[0:1], vcc
	s_cbranch_execz .LBB98_6
; %bb.3:
	v_lshrrev_b64 v[2:3], 2, v[2:3]
	v_lshl_add_u64 v[2:3], v[2:3], 0, 1
	v_and_b32_e32 v8, -2, v2
	v_mov_b32_e32 v9, v3
	v_lshl_add_u64 v[12:13], v[0:1], 2, 16
	v_mov_b32_e32 v7, v6
	v_lshl_add_u64 v[10:11], s[4:5], 0, v[12:13]
	v_lshl_add_u64 v[12:13], s[6:7], 0, v[12:13]
	s_mov_b64 s[8:9], 0
	v_mov_b64_e32 v[14:15], v[8:9]
.LBB98_4:                               ; =>This Inner Loop Header: Depth=1
	global_load_dword v16, v[10:11], off offset:-16
	global_load_dword v17, v[10:11], off
	v_lshl_add_u64 v[14:15], v[14:15], 0, -2
	v_cmp_eq_u64_e32 vcc, 0, v[14:15]
	v_lshl_add_u64 v[10:11], v[10:11], 0, 32
	s_or_b64 s[8:9], vcc, s[8:9]
	s_waitcnt vmcnt(1)
	v_add_u32_e32 v16, v6, v16
	s_waitcnt vmcnt(0)
	v_add_u32_e32 v18, v7, v17
	v_ashrrev_i32_e32 v17, 31, v16
	v_ashrrev_i32_e32 v19, 31, v18
	v_lshl_add_u64 v[16:17], v[16:17], 2, s[2:3]
	v_lshl_add_u64 v[18:19], v[18:19], 2, s[2:3]
	global_load_dword v20, v[16:17], off
	global_load_dword v21, v[18:19], off
	s_waitcnt vmcnt(1)
	global_store_dword v[12:13], v20, off offset:-16
	s_waitcnt vmcnt(1)
	global_store_dword v[12:13], v21, off
	v_lshl_add_u64 v[12:13], v[12:13], 0, 32
	s_andn2_b64 exec, exec, s[8:9]
	s_cbranch_execnz .LBB98_4
; %bb.5:
	s_or_b64 exec, exec, s[8:9]
	v_cmp_ne_u64_e32 vcc, v[2:3], v[8:9]
	v_lshl_add_u64 v[0:1], v[8:9], 2, v[0:1]
	s_orn2_b64 s[8:9], vcc, exec
.LBB98_6:
	s_or_b64 exec, exec, s[0:1]
	s_and_b64 exec, exec, s[8:9]
	s_cbranch_execz .LBB98_9
; %bb.7:
	v_lshlrev_b64 v[8:9], 2, v[0:1]
	v_lshl_add_u64 v[2:3], s[6:7], 0, v[8:9]
	v_lshl_add_u64 v[8:9], s[4:5], 0, v[8:9]
	s_mov_b64 s[0:1], 0
.LBB98_8:                               ; =>This Inner Loop Header: Depth=1
	global_load_dword v7, v[8:9], off
	v_lshl_add_u64 v[0:1], v[0:1], 0, 4
	v_cmp_ge_i64_e32 vcc, v[0:1], v[4:5]
	v_lshl_add_u64 v[8:9], v[8:9], 0, 16
	s_or_b64 s[0:1], vcc, s[0:1]
	s_waitcnt vmcnt(0)
	v_add_u32_e32 v10, v6, v7
	v_ashrrev_i32_e32 v11, 31, v10
	v_lshl_add_u64 v[10:11], v[10:11], 2, s[2:3]
	global_load_dword v7, v[10:11], off
	s_waitcnt vmcnt(0)
	global_store_dword v[2:3], v7, off
	v_lshl_add_u64 v[2:3], v[2:3], 0, 16
	s_andn2_b64 exec, exec, s[0:1]
	s_cbranch_execnz .LBB98_8
.LBB98_9:
	s_endpgm
	.section	.rodata,"a",@progbits
	.p2align	6, 0x0
	.amdhsa_kernel _ZN9rocsparseL23sddmm_csx_sample_kernelILi512ELi4EL20rocsparse_direction_1EflifEEvT4_S2_T3_PKT5_S2_PS4_PKS3_PKS2_21rocsparse_index_base_
		.amdhsa_group_segment_fixed_size 0
		.amdhsa_private_segment_fixed_size 0
		.amdhsa_kernarg_size 60
		.amdhsa_user_sgpr_count 2
		.amdhsa_user_sgpr_dispatch_ptr 0
		.amdhsa_user_sgpr_queue_ptr 0
		.amdhsa_user_sgpr_kernarg_segment_ptr 1
		.amdhsa_user_sgpr_dispatch_id 0
		.amdhsa_user_sgpr_kernarg_preload_length 0
		.amdhsa_user_sgpr_kernarg_preload_offset 0
		.amdhsa_user_sgpr_private_segment_size 0
		.amdhsa_uses_dynamic_stack 0
		.amdhsa_enable_private_segment 0
		.amdhsa_system_sgpr_workgroup_id_x 1
		.amdhsa_system_sgpr_workgroup_id_y 0
		.amdhsa_system_sgpr_workgroup_id_z 0
		.amdhsa_system_sgpr_workgroup_info 0
		.amdhsa_system_vgpr_workitem_id 0
		.amdhsa_next_free_vgpr 22
		.amdhsa_next_free_sgpr 11
		.amdhsa_accum_offset 24
		.amdhsa_reserve_vcc 1
		.amdhsa_float_round_mode_32 0
		.amdhsa_float_round_mode_16_64 0
		.amdhsa_float_denorm_mode_32 3
		.amdhsa_float_denorm_mode_16_64 3
		.amdhsa_dx10_clamp 1
		.amdhsa_ieee_mode 1
		.amdhsa_fp16_overflow 0
		.amdhsa_tg_split 0
		.amdhsa_exception_fp_ieee_invalid_op 0
		.amdhsa_exception_fp_denorm_src 0
		.amdhsa_exception_fp_ieee_div_zero 0
		.amdhsa_exception_fp_ieee_overflow 0
		.amdhsa_exception_fp_ieee_underflow 0
		.amdhsa_exception_fp_ieee_inexact 0
		.amdhsa_exception_int_div_zero 0
	.end_amdhsa_kernel
	.section	.text._ZN9rocsparseL23sddmm_csx_sample_kernelILi512ELi4EL20rocsparse_direction_1EflifEEvT4_S2_T3_PKT5_S2_PS4_PKS3_PKS2_21rocsparse_index_base_,"axG",@progbits,_ZN9rocsparseL23sddmm_csx_sample_kernelILi512ELi4EL20rocsparse_direction_1EflifEEvT4_S2_T3_PKT5_S2_PS4_PKS3_PKS2_21rocsparse_index_base_,comdat
.Lfunc_end98:
	.size	_ZN9rocsparseL23sddmm_csx_sample_kernelILi512ELi4EL20rocsparse_direction_1EflifEEvT4_S2_T3_PKT5_S2_PS4_PKS3_PKS2_21rocsparse_index_base_, .Lfunc_end98-_ZN9rocsparseL23sddmm_csx_sample_kernelILi512ELi4EL20rocsparse_direction_1EflifEEvT4_S2_T3_PKT5_S2_PS4_PKS3_PKS2_21rocsparse_index_base_
                                        ; -- End function
	.set _ZN9rocsparseL23sddmm_csx_sample_kernelILi512ELi4EL20rocsparse_direction_1EflifEEvT4_S2_T3_PKT5_S2_PS4_PKS3_PKS2_21rocsparse_index_base_.num_vgpr, 22
	.set _ZN9rocsparseL23sddmm_csx_sample_kernelILi512ELi4EL20rocsparse_direction_1EflifEEvT4_S2_T3_PKT5_S2_PS4_PKS3_PKS2_21rocsparse_index_base_.num_agpr, 0
	.set _ZN9rocsparseL23sddmm_csx_sample_kernelILi512ELi4EL20rocsparse_direction_1EflifEEvT4_S2_T3_PKT5_S2_PS4_PKS3_PKS2_21rocsparse_index_base_.numbered_sgpr, 11
	.set _ZN9rocsparseL23sddmm_csx_sample_kernelILi512ELi4EL20rocsparse_direction_1EflifEEvT4_S2_T3_PKT5_S2_PS4_PKS3_PKS2_21rocsparse_index_base_.num_named_barrier, 0
	.set _ZN9rocsparseL23sddmm_csx_sample_kernelILi512ELi4EL20rocsparse_direction_1EflifEEvT4_S2_T3_PKT5_S2_PS4_PKS3_PKS2_21rocsparse_index_base_.private_seg_size, 0
	.set _ZN9rocsparseL23sddmm_csx_sample_kernelILi512ELi4EL20rocsparse_direction_1EflifEEvT4_S2_T3_PKT5_S2_PS4_PKS3_PKS2_21rocsparse_index_base_.uses_vcc, 1
	.set _ZN9rocsparseL23sddmm_csx_sample_kernelILi512ELi4EL20rocsparse_direction_1EflifEEvT4_S2_T3_PKT5_S2_PS4_PKS3_PKS2_21rocsparse_index_base_.uses_flat_scratch, 0
	.set _ZN9rocsparseL23sddmm_csx_sample_kernelILi512ELi4EL20rocsparse_direction_1EflifEEvT4_S2_T3_PKT5_S2_PS4_PKS3_PKS2_21rocsparse_index_base_.has_dyn_sized_stack, 0
	.set _ZN9rocsparseL23sddmm_csx_sample_kernelILi512ELi4EL20rocsparse_direction_1EflifEEvT4_S2_T3_PKT5_S2_PS4_PKS3_PKS2_21rocsparse_index_base_.has_recursion, 0
	.set _ZN9rocsparseL23sddmm_csx_sample_kernelILi512ELi4EL20rocsparse_direction_1EflifEEvT4_S2_T3_PKT5_S2_PS4_PKS3_PKS2_21rocsparse_index_base_.has_indirect_call, 0
	.section	.AMDGPU.csdata,"",@progbits
; Kernel info:
; codeLenInByte = 620
; TotalNumSgprs: 17
; NumVgprs: 22
; NumAgprs: 0
; TotalNumVgprs: 22
; ScratchSize: 0
; MemoryBound: 0
; FloatMode: 240
; IeeeMode: 1
; LDSByteSize: 0 bytes/workgroup (compile time only)
; SGPRBlocks: 2
; VGPRBlocks: 2
; NumSGPRsForWavesPerEU: 17
; NumVGPRsForWavesPerEU: 22
; AccumOffset: 24
; Occupancy: 8
; WaveLimiterHint : 1
; COMPUTE_PGM_RSRC2:SCRATCH_EN: 0
; COMPUTE_PGM_RSRC2:USER_SGPR: 2
; COMPUTE_PGM_RSRC2:TRAP_HANDLER: 0
; COMPUTE_PGM_RSRC2:TGID_X_EN: 1
; COMPUTE_PGM_RSRC2:TGID_Y_EN: 0
; COMPUTE_PGM_RSRC2:TGID_Z_EN: 0
; COMPUTE_PGM_RSRC2:TIDIG_COMP_CNT: 0
; COMPUTE_PGM_RSRC3_GFX90A:ACCUM_OFFSET: 5
; COMPUTE_PGM_RSRC3_GFX90A:TG_SPLIT: 0
	.section	.text._ZN9rocsparseL23sddmm_csx_sample_kernelILi512ELi2EL20rocsparse_direction_1EflifEEvT4_S2_T3_PKT5_S2_PS4_PKS3_PKS2_21rocsparse_index_base_,"axG",@progbits,_ZN9rocsparseL23sddmm_csx_sample_kernelILi512ELi2EL20rocsparse_direction_1EflifEEvT4_S2_T3_PKT5_S2_PS4_PKS3_PKS2_21rocsparse_index_base_,comdat
	.globl	_ZN9rocsparseL23sddmm_csx_sample_kernelILi512ELi2EL20rocsparse_direction_1EflifEEvT4_S2_T3_PKT5_S2_PS4_PKS3_PKS2_21rocsparse_index_base_ ; -- Begin function _ZN9rocsparseL23sddmm_csx_sample_kernelILi512ELi2EL20rocsparse_direction_1EflifEEvT4_S2_T3_PKT5_S2_PS4_PKS3_PKS2_21rocsparse_index_base_
	.p2align	8
	.type	_ZN9rocsparseL23sddmm_csx_sample_kernelILi512ELi2EL20rocsparse_direction_1EflifEEvT4_S2_T3_PKT5_S2_PS4_PKS3_PKS2_21rocsparse_index_base_,@function
_ZN9rocsparseL23sddmm_csx_sample_kernelILi512ELi2EL20rocsparse_direction_1EflifEEvT4_S2_T3_PKT5_S2_PS4_PKS3_PKS2_21rocsparse_index_base_: ; @_ZN9rocsparseL23sddmm_csx_sample_kernelILi512ELi2EL20rocsparse_direction_1EflifEEvT4_S2_T3_PKT5_S2_PS4_PKS3_PKS2_21rocsparse_index_base_
; %bb.0:
	s_load_dword s3, s[0:1], 0x4
	v_lshrrev_b32_e32 v1, 1, v0
	v_lshl_or_b32 v6, s2, 8, v1
	s_waitcnt lgkmcnt(0)
	v_cmp_gt_u32_e32 vcc, s3, v6
	s_and_saveexec_b64 s[2:3], vcc
	s_cbranch_execz .LBB99_9
; %bb.1:
	s_load_dwordx2 s[2:3], s[0:1], 0x28
	s_load_dword s8, s[0:1], 0x38
	v_mov_b32_e32 v7, 0
	v_and_b32_e32 v8, 1, v0
	s_mov_b32 s9, 0
	s_waitcnt lgkmcnt(0)
	v_lshl_add_u64 v[2:3], v[6:7], 3, s[2:3]
	global_load_dwordx4 v[2:5], v[2:3], off
	v_subrev_co_u32_e32 v0, vcc, s8, v8
	v_mov_b32_e32 v9, v7
	s_nop 0
	v_subb_co_u32_e64 v1, s[2:3], 0, 0, vcc
	s_waitcnt vmcnt(0)
	v_subrev_co_u32_e32 v4, vcc, s8, v4
	v_lshl_add_u64 v[0:1], v[0:1], 0, v[2:3]
	s_nop 0
	v_subbrev_co_u32_e32 v5, vcc, 0, v5, vcc
	v_cmp_lt_i64_e32 vcc, v[0:1], v[4:5]
	s_and_b64 exec, exec, vcc
	s_cbranch_execz .LBB99_9
; %bb.2:
	v_lshl_add_u64 v[10:11], v[2:3], 0, v[8:9]
	v_subrev_co_u32_e32 v10, vcc, s8, v10
	s_load_dwordx2 s[4:5], s[0:1], 0x30
	s_load_dword s10, s[0:1], 0x18
	s_load_dwordx2 s[6:7], s[0:1], 0x20
	s_load_dwordx2 s[2:3], s[0:1], 0x10
	v_subbrev_co_u32_e32 v11, vcc, 0, v11, vcc
	v_lshl_add_u64 v[10:11], v[10:11], 0, 2
	v_cmp_gt_i64_e32 vcc, v[10:11], v[4:5]
	v_not_b32_e32 v3, v3
	v_not_b32_e32 v2, v2
	v_cndmask_b32_e32 v11, v5, v11, vcc
	v_cndmask_b32_e32 v10, v4, v10, vcc
	v_lshl_add_u64 v[10:11], v[10:11], 0, s[8:9]
	v_lshl_add_u64 v[2:3], v[10:11], 0, v[2:3]
	v_sub_co_u32_e32 v2, vcc, v2, v8
	s_waitcnt lgkmcnt(0)
	v_mul_lo_u32 v6, s10, v6
	v_subbrev_co_u32_e32 v3, vcc, 0, v3, vcc
	v_subrev_u32_e32 v6, s8, v6
	v_cmp_lt_u64_e32 vcc, 1, v[2:3]
	s_mov_b64 s[8:9], -1
	s_and_saveexec_b64 s[0:1], vcc
	s_cbranch_execz .LBB99_6
; %bb.3:
	v_lshrrev_b64 v[2:3], 1, v[2:3]
	v_lshl_add_u64 v[2:3], v[2:3], 0, 1
	v_and_b32_e32 v8, -2, v2
	v_mov_b32_e32 v9, v3
	v_lshl_add_u64 v[12:13], v[0:1], 2, 8
	v_mov_b32_e32 v7, v6
	v_lshl_add_u64 v[10:11], s[4:5], 0, v[12:13]
	v_lshl_add_u64 v[12:13], s[6:7], 0, v[12:13]
	s_mov_b64 s[8:9], 0
	v_mov_b64_e32 v[14:15], v[8:9]
.LBB99_4:                               ; =>This Inner Loop Header: Depth=1
	global_load_dword v16, v[10:11], off offset:-8
	global_load_dword v17, v[10:11], off
	v_lshl_add_u64 v[14:15], v[14:15], 0, -2
	v_cmp_eq_u64_e32 vcc, 0, v[14:15]
	v_lshl_add_u64 v[10:11], v[10:11], 0, 16
	s_or_b64 s[8:9], vcc, s[8:9]
	s_waitcnt vmcnt(1)
	v_add_u32_e32 v16, v6, v16
	s_waitcnt vmcnt(0)
	v_add_u32_e32 v18, v7, v17
	v_ashrrev_i32_e32 v17, 31, v16
	v_ashrrev_i32_e32 v19, 31, v18
	v_lshl_add_u64 v[16:17], v[16:17], 2, s[2:3]
	v_lshl_add_u64 v[18:19], v[18:19], 2, s[2:3]
	global_load_dword v20, v[16:17], off
	global_load_dword v21, v[18:19], off
	s_waitcnt vmcnt(1)
	global_store_dword v[12:13], v20, off offset:-8
	s_waitcnt vmcnt(1)
	global_store_dword v[12:13], v21, off
	v_lshl_add_u64 v[12:13], v[12:13], 0, 16
	s_andn2_b64 exec, exec, s[8:9]
	s_cbranch_execnz .LBB99_4
; %bb.5:
	s_or_b64 exec, exec, s[8:9]
	v_cmp_ne_u64_e32 vcc, v[2:3], v[8:9]
	v_lshl_add_u64 v[0:1], v[8:9], 1, v[0:1]
	s_orn2_b64 s[8:9], vcc, exec
.LBB99_6:
	s_or_b64 exec, exec, s[0:1]
	s_and_b64 exec, exec, s[8:9]
	s_cbranch_execz .LBB99_9
; %bb.7:
	v_lshlrev_b64 v[8:9], 2, v[0:1]
	v_lshl_add_u64 v[2:3], s[6:7], 0, v[8:9]
	v_lshl_add_u64 v[8:9], s[4:5], 0, v[8:9]
	s_mov_b64 s[0:1], 0
.LBB99_8:                               ; =>This Inner Loop Header: Depth=1
	global_load_dword v7, v[8:9], off
	v_lshl_add_u64 v[0:1], v[0:1], 0, 2
	v_cmp_ge_i64_e32 vcc, v[0:1], v[4:5]
	v_lshl_add_u64 v[8:9], v[8:9], 0, 8
	s_or_b64 s[0:1], vcc, s[0:1]
	s_waitcnt vmcnt(0)
	v_add_u32_e32 v10, v6, v7
	v_ashrrev_i32_e32 v11, 31, v10
	v_lshl_add_u64 v[10:11], v[10:11], 2, s[2:3]
	global_load_dword v7, v[10:11], off
	s_waitcnt vmcnt(0)
	global_store_dword v[2:3], v7, off
	v_lshl_add_u64 v[2:3], v[2:3], 0, 8
	s_andn2_b64 exec, exec, s[0:1]
	s_cbranch_execnz .LBB99_8
.LBB99_9:
	s_endpgm
	.section	.rodata,"a",@progbits
	.p2align	6, 0x0
	.amdhsa_kernel _ZN9rocsparseL23sddmm_csx_sample_kernelILi512ELi2EL20rocsparse_direction_1EflifEEvT4_S2_T3_PKT5_S2_PS4_PKS3_PKS2_21rocsparse_index_base_
		.amdhsa_group_segment_fixed_size 0
		.amdhsa_private_segment_fixed_size 0
		.amdhsa_kernarg_size 60
		.amdhsa_user_sgpr_count 2
		.amdhsa_user_sgpr_dispatch_ptr 0
		.amdhsa_user_sgpr_queue_ptr 0
		.amdhsa_user_sgpr_kernarg_segment_ptr 1
		.amdhsa_user_sgpr_dispatch_id 0
		.amdhsa_user_sgpr_kernarg_preload_length 0
		.amdhsa_user_sgpr_kernarg_preload_offset 0
		.amdhsa_user_sgpr_private_segment_size 0
		.amdhsa_uses_dynamic_stack 0
		.amdhsa_enable_private_segment 0
		.amdhsa_system_sgpr_workgroup_id_x 1
		.amdhsa_system_sgpr_workgroup_id_y 0
		.amdhsa_system_sgpr_workgroup_id_z 0
		.amdhsa_system_sgpr_workgroup_info 0
		.amdhsa_system_vgpr_workitem_id 0
		.amdhsa_next_free_vgpr 22
		.amdhsa_next_free_sgpr 11
		.amdhsa_accum_offset 24
		.amdhsa_reserve_vcc 1
		.amdhsa_float_round_mode_32 0
		.amdhsa_float_round_mode_16_64 0
		.amdhsa_float_denorm_mode_32 3
		.amdhsa_float_denorm_mode_16_64 3
		.amdhsa_dx10_clamp 1
		.amdhsa_ieee_mode 1
		.amdhsa_fp16_overflow 0
		.amdhsa_tg_split 0
		.amdhsa_exception_fp_ieee_invalid_op 0
		.amdhsa_exception_fp_denorm_src 0
		.amdhsa_exception_fp_ieee_div_zero 0
		.amdhsa_exception_fp_ieee_overflow 0
		.amdhsa_exception_fp_ieee_underflow 0
		.amdhsa_exception_fp_ieee_inexact 0
		.amdhsa_exception_int_div_zero 0
	.end_amdhsa_kernel
	.section	.text._ZN9rocsparseL23sddmm_csx_sample_kernelILi512ELi2EL20rocsparse_direction_1EflifEEvT4_S2_T3_PKT5_S2_PS4_PKS3_PKS2_21rocsparse_index_base_,"axG",@progbits,_ZN9rocsparseL23sddmm_csx_sample_kernelILi512ELi2EL20rocsparse_direction_1EflifEEvT4_S2_T3_PKT5_S2_PS4_PKS3_PKS2_21rocsparse_index_base_,comdat
.Lfunc_end99:
	.size	_ZN9rocsparseL23sddmm_csx_sample_kernelILi512ELi2EL20rocsparse_direction_1EflifEEvT4_S2_T3_PKT5_S2_PS4_PKS3_PKS2_21rocsparse_index_base_, .Lfunc_end99-_ZN9rocsparseL23sddmm_csx_sample_kernelILi512ELi2EL20rocsparse_direction_1EflifEEvT4_S2_T3_PKT5_S2_PS4_PKS3_PKS2_21rocsparse_index_base_
                                        ; -- End function
	.set _ZN9rocsparseL23sddmm_csx_sample_kernelILi512ELi2EL20rocsparse_direction_1EflifEEvT4_S2_T3_PKT5_S2_PS4_PKS3_PKS2_21rocsparse_index_base_.num_vgpr, 22
	.set _ZN9rocsparseL23sddmm_csx_sample_kernelILi512ELi2EL20rocsparse_direction_1EflifEEvT4_S2_T3_PKT5_S2_PS4_PKS3_PKS2_21rocsparse_index_base_.num_agpr, 0
	.set _ZN9rocsparseL23sddmm_csx_sample_kernelILi512ELi2EL20rocsparse_direction_1EflifEEvT4_S2_T3_PKT5_S2_PS4_PKS3_PKS2_21rocsparse_index_base_.numbered_sgpr, 11
	.set _ZN9rocsparseL23sddmm_csx_sample_kernelILi512ELi2EL20rocsparse_direction_1EflifEEvT4_S2_T3_PKT5_S2_PS4_PKS3_PKS2_21rocsparse_index_base_.num_named_barrier, 0
	.set _ZN9rocsparseL23sddmm_csx_sample_kernelILi512ELi2EL20rocsparse_direction_1EflifEEvT4_S2_T3_PKT5_S2_PS4_PKS3_PKS2_21rocsparse_index_base_.private_seg_size, 0
	.set _ZN9rocsparseL23sddmm_csx_sample_kernelILi512ELi2EL20rocsparse_direction_1EflifEEvT4_S2_T3_PKT5_S2_PS4_PKS3_PKS2_21rocsparse_index_base_.uses_vcc, 1
	.set _ZN9rocsparseL23sddmm_csx_sample_kernelILi512ELi2EL20rocsparse_direction_1EflifEEvT4_S2_T3_PKT5_S2_PS4_PKS3_PKS2_21rocsparse_index_base_.uses_flat_scratch, 0
	.set _ZN9rocsparseL23sddmm_csx_sample_kernelILi512ELi2EL20rocsparse_direction_1EflifEEvT4_S2_T3_PKT5_S2_PS4_PKS3_PKS2_21rocsparse_index_base_.has_dyn_sized_stack, 0
	.set _ZN9rocsparseL23sddmm_csx_sample_kernelILi512ELi2EL20rocsparse_direction_1EflifEEvT4_S2_T3_PKT5_S2_PS4_PKS3_PKS2_21rocsparse_index_base_.has_recursion, 0
	.set _ZN9rocsparseL23sddmm_csx_sample_kernelILi512ELi2EL20rocsparse_direction_1EflifEEvT4_S2_T3_PKT5_S2_PS4_PKS3_PKS2_21rocsparse_index_base_.has_indirect_call, 0
	.section	.AMDGPU.csdata,"",@progbits
; Kernel info:
; codeLenInByte = 620
; TotalNumSgprs: 17
; NumVgprs: 22
; NumAgprs: 0
; TotalNumVgprs: 22
; ScratchSize: 0
; MemoryBound: 0
; FloatMode: 240
; IeeeMode: 1
; LDSByteSize: 0 bytes/workgroup (compile time only)
; SGPRBlocks: 2
; VGPRBlocks: 2
; NumSGPRsForWavesPerEU: 17
; NumVGPRsForWavesPerEU: 22
; AccumOffset: 24
; Occupancy: 8
; WaveLimiterHint : 1
; COMPUTE_PGM_RSRC2:SCRATCH_EN: 0
; COMPUTE_PGM_RSRC2:USER_SGPR: 2
; COMPUTE_PGM_RSRC2:TRAP_HANDLER: 0
; COMPUTE_PGM_RSRC2:TGID_X_EN: 1
; COMPUTE_PGM_RSRC2:TGID_Y_EN: 0
; COMPUTE_PGM_RSRC2:TGID_Z_EN: 0
; COMPUTE_PGM_RSRC2:TIDIG_COMP_CNT: 0
; COMPUTE_PGM_RSRC3_GFX90A:ACCUM_OFFSET: 5
; COMPUTE_PGM_RSRC3_GFX90A:TG_SPLIT: 0
	.section	.text._ZN9rocsparseL23sddmm_csx_sample_kernelILi512ELi1EL20rocsparse_direction_1EflifEEvT4_S2_T3_PKT5_S2_PS4_PKS3_PKS2_21rocsparse_index_base_,"axG",@progbits,_ZN9rocsparseL23sddmm_csx_sample_kernelILi512ELi1EL20rocsparse_direction_1EflifEEvT4_S2_T3_PKT5_S2_PS4_PKS3_PKS2_21rocsparse_index_base_,comdat
	.globl	_ZN9rocsparseL23sddmm_csx_sample_kernelILi512ELi1EL20rocsparse_direction_1EflifEEvT4_S2_T3_PKT5_S2_PS4_PKS3_PKS2_21rocsparse_index_base_ ; -- Begin function _ZN9rocsparseL23sddmm_csx_sample_kernelILi512ELi1EL20rocsparse_direction_1EflifEEvT4_S2_T3_PKT5_S2_PS4_PKS3_PKS2_21rocsparse_index_base_
	.p2align	8
	.type	_ZN9rocsparseL23sddmm_csx_sample_kernelILi512ELi1EL20rocsparse_direction_1EflifEEvT4_S2_T3_PKT5_S2_PS4_PKS3_PKS2_21rocsparse_index_base_,@function
_ZN9rocsparseL23sddmm_csx_sample_kernelILi512ELi1EL20rocsparse_direction_1EflifEEvT4_S2_T3_PKT5_S2_PS4_PKS3_PKS2_21rocsparse_index_base_: ; @_ZN9rocsparseL23sddmm_csx_sample_kernelILi512ELi1EL20rocsparse_direction_1EflifEEvT4_S2_T3_PKT5_S2_PS4_PKS3_PKS2_21rocsparse_index_base_
; %bb.0:
	s_load_dword s3, s[0:1], 0x4
	v_lshl_or_b32 v6, s2, 9, v0
	s_waitcnt lgkmcnt(0)
	v_cmp_gt_u32_e32 vcc, s3, v6
	s_and_saveexec_b64 s[2:3], vcc
	s_cbranch_execz .LBB100_9
; %bb.1:
	s_load_dwordx2 s[2:3], s[0:1], 0x28
	v_mov_b32_e32 v7, 0
	s_waitcnt lgkmcnt(0)
	v_lshl_add_u64 v[0:1], v[6:7], 3, s[2:3]
	global_load_dwordx4 v[0:3], v[0:1], off
	s_waitcnt vmcnt(0)
	v_cmp_lt_i64_e32 vcc, v[0:1], v[2:3]
	s_and_b64 exec, exec, vcc
	s_cbranch_execz .LBB100_9
; %bb.2:
	s_load_dword s8, s[0:1], 0x38
	s_load_dwordx2 s[2:3], s[0:1], 0x10
	s_load_dwordx2 s[4:5], s[0:1], 0x20
	;; [unrolled: 1-line block ×3, first 2 shown]
	s_load_dword s10, s[0:1], 0x18
	s_waitcnt lgkmcnt(0)
	v_subrev_co_u32_e32 v2, vcc, s8, v2
	s_mov_b32 s9, 0
	s_nop 0
	v_subbrev_co_u32_e32 v3, vcc, 0, v3, vcc
	v_subrev_co_u32_e32 v4, vcc, s8, v0
	v_mul_lo_u32 v6, s10, v6
	s_nop 0
	v_subbrev_co_u32_e32 v5, vcc, 0, v1, vcc
	v_lshl_add_u64 v[8:9], v[4:5], 0, 1
	v_cmp_gt_i64_e32 vcc, v[8:9], v[2:3]
	v_subrev_u32_e32 v6, s8, v6
	s_mov_b64 s[10:11], -1
	v_cndmask_b32_e32 v9, v3, v9, vcc
	v_cndmask_b32_e32 v8, v2, v8, vcc
	v_lshl_add_u64 v[8:9], v[8:9], 0, s[8:9]
	v_sub_co_u32_e32 v8, vcc, v8, v0
	s_nop 1
	v_subb_co_u32_e32 v9, vcc, v9, v1, vcc
	v_cmp_lt_u64_e32 vcc, 1, v[8:9]
	s_and_saveexec_b64 s[0:1], vcc
	s_cbranch_execz .LBB100_6
; %bb.3:
	v_lshlrev_b64 v[0:1], 2, v[0:1]
	s_lshl_b64 s[8:9], s[8:9], 2
	v_mov_b32_e32 v13, s9
	v_subrev_co_u32_e32 v12, vcc, s8, v0
	v_and_b32_e32 v10, -2, v8
	v_mov_b32_e32 v11, v9
	v_subb_co_u32_e32 v13, vcc, v1, v13, vcc
	v_mov_b32_e32 v7, v6
	v_lshl_add_u64 v[0:1], s[4:5], 0, v[12:13]
	v_lshl_add_u64 v[12:13], s[6:7], 0, v[12:13]
	s_mov_b64 s[8:9], 0
	v_mov_b64_e32 v[14:15], v[10:11]
.LBB100_4:                              ; =>This Inner Loop Header: Depth=1
	global_load_dwordx2 v[16:17], v[12:13], off
	v_lshl_add_u64 v[14:15], v[14:15], 0, -2
	v_cmp_eq_u64_e32 vcc, 0, v[14:15]
	v_lshl_add_u64 v[12:13], v[12:13], 0, 8
	s_or_b64 s[8:9], vcc, s[8:9]
	s_waitcnt vmcnt(0)
	v_add_u32_e32 v16, v6, v16
	v_add_u32_e32 v18, v7, v17
	v_ashrrev_i32_e32 v17, 31, v16
	v_ashrrev_i32_e32 v19, 31, v18
	v_lshl_add_u64 v[16:17], v[16:17], 2, s[2:3]
	v_lshl_add_u64 v[18:19], v[18:19], 2, s[2:3]
	global_load_dword v20, v[16:17], off
	global_load_dword v21, v[18:19], off
	s_waitcnt vmcnt(0)
	global_store_dwordx2 v[0:1], v[20:21], off
	v_lshl_add_u64 v[0:1], v[0:1], 0, 8
	s_andn2_b64 exec, exec, s[8:9]
	s_cbranch_execnz .LBB100_4
; %bb.5:
	s_or_b64 exec, exec, s[8:9]
	v_cmp_ne_u64_e32 vcc, v[8:9], v[10:11]
	v_lshl_add_u64 v[4:5], v[4:5], 0, v[10:11]
	s_orn2_b64 s[10:11], vcc, exec
.LBB100_6:
	s_or_b64 exec, exec, s[0:1]
	s_and_b64 exec, exec, s[10:11]
	s_cbranch_execz .LBB100_9
; %bb.7:
	v_lshlrev_b64 v[8:9], 2, v[4:5]
	v_lshl_add_u64 v[0:1], s[4:5], 0, v[8:9]
	v_lshl_add_u64 v[8:9], s[6:7], 0, v[8:9]
	s_mov_b64 s[0:1], 0
.LBB100_8:                              ; =>This Inner Loop Header: Depth=1
	global_load_dword v7, v[8:9], off
	v_lshl_add_u64 v[4:5], v[4:5], 0, 1
	v_cmp_ge_i64_e32 vcc, v[4:5], v[2:3]
	v_lshl_add_u64 v[8:9], v[8:9], 0, 4
	s_or_b64 s[0:1], vcc, s[0:1]
	s_waitcnt vmcnt(0)
	v_add_u32_e32 v10, v6, v7
	v_ashrrev_i32_e32 v11, 31, v10
	v_lshl_add_u64 v[10:11], v[10:11], 2, s[2:3]
	global_load_dword v7, v[10:11], off
	s_waitcnt vmcnt(0)
	global_store_dword v[0:1], v7, off
	v_lshl_add_u64 v[0:1], v[0:1], 0, 4
	s_andn2_b64 exec, exec, s[0:1]
	s_cbranch_execnz .LBB100_8
.LBB100_9:
	s_endpgm
	.section	.rodata,"a",@progbits
	.p2align	6, 0x0
	.amdhsa_kernel _ZN9rocsparseL23sddmm_csx_sample_kernelILi512ELi1EL20rocsparse_direction_1EflifEEvT4_S2_T3_PKT5_S2_PS4_PKS3_PKS2_21rocsparse_index_base_
		.amdhsa_group_segment_fixed_size 0
		.amdhsa_private_segment_fixed_size 0
		.amdhsa_kernarg_size 60
		.amdhsa_user_sgpr_count 2
		.amdhsa_user_sgpr_dispatch_ptr 0
		.amdhsa_user_sgpr_queue_ptr 0
		.amdhsa_user_sgpr_kernarg_segment_ptr 1
		.amdhsa_user_sgpr_dispatch_id 0
		.amdhsa_user_sgpr_kernarg_preload_length 0
		.amdhsa_user_sgpr_kernarg_preload_offset 0
		.amdhsa_user_sgpr_private_segment_size 0
		.amdhsa_uses_dynamic_stack 0
		.amdhsa_enable_private_segment 0
		.amdhsa_system_sgpr_workgroup_id_x 1
		.amdhsa_system_sgpr_workgroup_id_y 0
		.amdhsa_system_sgpr_workgroup_id_z 0
		.amdhsa_system_sgpr_workgroup_info 0
		.amdhsa_system_vgpr_workitem_id 0
		.amdhsa_next_free_vgpr 22
		.amdhsa_next_free_sgpr 12
		.amdhsa_accum_offset 24
		.amdhsa_reserve_vcc 1
		.amdhsa_float_round_mode_32 0
		.amdhsa_float_round_mode_16_64 0
		.amdhsa_float_denorm_mode_32 3
		.amdhsa_float_denorm_mode_16_64 3
		.amdhsa_dx10_clamp 1
		.amdhsa_ieee_mode 1
		.amdhsa_fp16_overflow 0
		.amdhsa_tg_split 0
		.amdhsa_exception_fp_ieee_invalid_op 0
		.amdhsa_exception_fp_denorm_src 0
		.amdhsa_exception_fp_ieee_div_zero 0
		.amdhsa_exception_fp_ieee_overflow 0
		.amdhsa_exception_fp_ieee_underflow 0
		.amdhsa_exception_fp_ieee_inexact 0
		.amdhsa_exception_int_div_zero 0
	.end_amdhsa_kernel
	.section	.text._ZN9rocsparseL23sddmm_csx_sample_kernelILi512ELi1EL20rocsparse_direction_1EflifEEvT4_S2_T3_PKT5_S2_PS4_PKS3_PKS2_21rocsparse_index_base_,"axG",@progbits,_ZN9rocsparseL23sddmm_csx_sample_kernelILi512ELi1EL20rocsparse_direction_1EflifEEvT4_S2_T3_PKT5_S2_PS4_PKS3_PKS2_21rocsparse_index_base_,comdat
.Lfunc_end100:
	.size	_ZN9rocsparseL23sddmm_csx_sample_kernelILi512ELi1EL20rocsparse_direction_1EflifEEvT4_S2_T3_PKT5_S2_PS4_PKS3_PKS2_21rocsparse_index_base_, .Lfunc_end100-_ZN9rocsparseL23sddmm_csx_sample_kernelILi512ELi1EL20rocsparse_direction_1EflifEEvT4_S2_T3_PKT5_S2_PS4_PKS3_PKS2_21rocsparse_index_base_
                                        ; -- End function
	.set _ZN9rocsparseL23sddmm_csx_sample_kernelILi512ELi1EL20rocsparse_direction_1EflifEEvT4_S2_T3_PKT5_S2_PS4_PKS3_PKS2_21rocsparse_index_base_.num_vgpr, 22
	.set _ZN9rocsparseL23sddmm_csx_sample_kernelILi512ELi1EL20rocsparse_direction_1EflifEEvT4_S2_T3_PKT5_S2_PS4_PKS3_PKS2_21rocsparse_index_base_.num_agpr, 0
	.set _ZN9rocsparseL23sddmm_csx_sample_kernelILi512ELi1EL20rocsparse_direction_1EflifEEvT4_S2_T3_PKT5_S2_PS4_PKS3_PKS2_21rocsparse_index_base_.numbered_sgpr, 12
	.set _ZN9rocsparseL23sddmm_csx_sample_kernelILi512ELi1EL20rocsparse_direction_1EflifEEvT4_S2_T3_PKT5_S2_PS4_PKS3_PKS2_21rocsparse_index_base_.num_named_barrier, 0
	.set _ZN9rocsparseL23sddmm_csx_sample_kernelILi512ELi1EL20rocsparse_direction_1EflifEEvT4_S2_T3_PKT5_S2_PS4_PKS3_PKS2_21rocsparse_index_base_.private_seg_size, 0
	.set _ZN9rocsparseL23sddmm_csx_sample_kernelILi512ELi1EL20rocsparse_direction_1EflifEEvT4_S2_T3_PKT5_S2_PS4_PKS3_PKS2_21rocsparse_index_base_.uses_vcc, 1
	.set _ZN9rocsparseL23sddmm_csx_sample_kernelILi512ELi1EL20rocsparse_direction_1EflifEEvT4_S2_T3_PKT5_S2_PS4_PKS3_PKS2_21rocsparse_index_base_.uses_flat_scratch, 0
	.set _ZN9rocsparseL23sddmm_csx_sample_kernelILi512ELi1EL20rocsparse_direction_1EflifEEvT4_S2_T3_PKT5_S2_PS4_PKS3_PKS2_21rocsparse_index_base_.has_dyn_sized_stack, 0
	.set _ZN9rocsparseL23sddmm_csx_sample_kernelILi512ELi1EL20rocsparse_direction_1EflifEEvT4_S2_T3_PKT5_S2_PS4_PKS3_PKS2_21rocsparse_index_base_.has_recursion, 0
	.set _ZN9rocsparseL23sddmm_csx_sample_kernelILi512ELi1EL20rocsparse_direction_1EflifEEvT4_S2_T3_PKT5_S2_PS4_PKS3_PKS2_21rocsparse_index_base_.has_indirect_call, 0
	.section	.AMDGPU.csdata,"",@progbits
; Kernel info:
; codeLenInByte = 544
; TotalNumSgprs: 18
; NumVgprs: 22
; NumAgprs: 0
; TotalNumVgprs: 22
; ScratchSize: 0
; MemoryBound: 0
; FloatMode: 240
; IeeeMode: 1
; LDSByteSize: 0 bytes/workgroup (compile time only)
; SGPRBlocks: 2
; VGPRBlocks: 2
; NumSGPRsForWavesPerEU: 18
; NumVGPRsForWavesPerEU: 22
; AccumOffset: 24
; Occupancy: 8
; WaveLimiterHint : 1
; COMPUTE_PGM_RSRC2:SCRATCH_EN: 0
; COMPUTE_PGM_RSRC2:USER_SGPR: 2
; COMPUTE_PGM_RSRC2:TRAP_HANDLER: 0
; COMPUTE_PGM_RSRC2:TGID_X_EN: 1
; COMPUTE_PGM_RSRC2:TGID_Y_EN: 0
; COMPUTE_PGM_RSRC2:TGID_Z_EN: 0
; COMPUTE_PGM_RSRC2:TIDIG_COMP_CNT: 0
; COMPUTE_PGM_RSRC3_GFX90A:ACCUM_OFFSET: 5
; COMPUTE_PGM_RSRC3_GFX90A:TG_SPLIT: 0
	.section	.text._ZN9rocsparseL16sddmm_csx_kernelILi512ELi8EL20rocsparse_direction_0EflifffEEv20rocsparse_operation_S2_16rocsparse_order_S3_T4_S4_S4_T3_NS_24const_host_device_scalarIT2_EEPKT5_lPKT6_lS8_PT7_PKS5_PKS4_21rocsparse_index_base_b,"axG",@progbits,_ZN9rocsparseL16sddmm_csx_kernelILi512ELi8EL20rocsparse_direction_0EflifffEEv20rocsparse_operation_S2_16rocsparse_order_S3_T4_S4_S4_T3_NS_24const_host_device_scalarIT2_EEPKT5_lPKT6_lS8_PT7_PKS5_PKS4_21rocsparse_index_base_b,comdat
	.globl	_ZN9rocsparseL16sddmm_csx_kernelILi512ELi8EL20rocsparse_direction_0EflifffEEv20rocsparse_operation_S2_16rocsparse_order_S3_T4_S4_S4_T3_NS_24const_host_device_scalarIT2_EEPKT5_lPKT6_lS8_PT7_PKS5_PKS4_21rocsparse_index_base_b ; -- Begin function _ZN9rocsparseL16sddmm_csx_kernelILi512ELi8EL20rocsparse_direction_0EflifffEEv20rocsparse_operation_S2_16rocsparse_order_S3_T4_S4_S4_T3_NS_24const_host_device_scalarIT2_EEPKT5_lPKT6_lS8_PT7_PKS5_PKS4_21rocsparse_index_base_b
	.p2align	8
	.type	_ZN9rocsparseL16sddmm_csx_kernelILi512ELi8EL20rocsparse_direction_0EflifffEEv20rocsparse_operation_S2_16rocsparse_order_S3_T4_S4_S4_T3_NS_24const_host_device_scalarIT2_EEPKT5_lPKT6_lS8_PT7_PKS5_PKS4_21rocsparse_index_base_b,@function
_ZN9rocsparseL16sddmm_csx_kernelILi512ELi8EL20rocsparse_direction_0EflifffEEv20rocsparse_operation_S2_16rocsparse_order_S3_T4_S4_S4_T3_NS_24const_host_device_scalarIT2_EEPKT5_lPKT6_lS8_PT7_PKS5_PKS4_21rocsparse_index_base_b: ; @_ZN9rocsparseL16sddmm_csx_kernelILi512ELi8EL20rocsparse_direction_0EflifffEEv20rocsparse_operation_S2_16rocsparse_order_S3_T4_S4_S4_T3_NS_24const_host_device_scalarIT2_EEPKT5_lPKT6_lS8_PT7_PKS5_PKS4_21rocsparse_index_base_b
; %bb.0:
	s_load_dwordx2 s[16:17], s[0:1], 0x70
	s_load_dwordx2 s[6:7], s[0:1], 0x28
	s_load_dwordx4 s[12:15], s[0:1], 0x48
	s_waitcnt lgkmcnt(0)
	s_bitcmp1_b32 s17, 0
	s_cselect_b64 s[8:9], -1, 0
	s_xor_b64 s[4:5], s[8:9], -1
	s_and_b64 vcc, exec, s[8:9]
	s_mov_b32 s19, s6
	s_cbranch_vccnz .LBB101_2
; %bb.1:
	s_load_dword s19, s[6:7], 0x0
.LBB101_2:
	s_andn2_b64 vcc, exec, s[4:5]
	s_mov_b32 s18, s14
	s_cbranch_vccnz .LBB101_4
; %bb.3:
	s_load_dword s18, s[14:15], 0x0
.LBB101_4:
	s_waitcnt lgkmcnt(0)
	v_cmp_eq_f32_e64 s[4:5], s19, 0
	v_cmp_eq_f32_e64 s[6:7], s18, 1.0
	s_and_b64 s[4:5], s[4:5], s[6:7]
	s_and_b64 vcc, exec, s[4:5]
	s_cbranch_vccnz .LBB101_36
; %bb.5:
	s_load_dword s4, s[0:1], 0x10
	v_lshrrev_b32_e32 v8, 3, v0
	v_lshl_or_b32 v2, s2, 6, v8
	v_mov_b32_e32 v3, 0
	s_waitcnt lgkmcnt(0)
	s_ashr_i32 s5, s4, 31
	v_cmp_gt_i64_e32 vcc, s[4:5], v[2:3]
	s_and_saveexec_b64 s[2:3], vcc
	s_cbranch_execz .LBB101_36
; %bb.6:
	s_load_dwordx4 s[4:7], s[0:1], 0x0
	s_load_dwordx2 s[14:15], s[0:1], 0x60
	s_load_dwordx2 s[2:3], s[0:1], 0x38
	s_waitcnt lgkmcnt(0)
	s_cmp_eq_u32 s6, 1
	s_cselect_b64 s[8:9], -1, 0
	s_cmpk_eq_i32 s4, 0x6f
	s_cselect_b64 s[10:11], -1, 0
	s_cmpk_lg_i32 s4, 0x6f
	s_cselect_b64 s[20:21], -1, 0
	s_cmp_lg_u32 s6, 1
	s_cbranch_scc0 .LBB101_10
; %bb.7:
	s_andn2_b64 vcc, exec, s[10:11]
	v_mov_b64_e32 v[6:7], v[2:3]
	s_cbranch_vccnz .LBB101_9
; %bb.8:
	v_mad_u64_u32 v[6:7], s[22:23], s2, v2, 0
	v_mov_b32_e32 v4, v7
	v_mad_u64_u32 v[4:5], s[22:23], s3, v2, v[4:5]
	v_mov_b32_e32 v7, v4
.LBB101_9:
	s_cbranch_execz .LBB101_11
	s_branch .LBB101_13
.LBB101_10:
                                        ; implicit-def: $vgpr6_vgpr7
.LBB101_11:
	s_andn2_b64 vcc, exec, s[20:21]
	v_mov_b64_e32 v[6:7], v[2:3]
	s_cbranch_vccnz .LBB101_13
; %bb.12:
	v_mad_u64_u32 v[6:7], s[20:21], s2, v2, 0
	v_mov_b32_e32 v4, v7
	v_mad_u64_u32 v[4:5], s[20:21], s3, v2, v[4:5]
	v_mov_b32_e32 v7, v4
.LBB101_13:
	v_lshl_add_u64 v[2:3], v[2:3], 3, s[14:15]
	global_load_dwordx4 v[2:5], v[2:3], off
	s_waitcnt vmcnt(0)
	v_cmp_lt_i64_e32 vcc, v[2:3], v[4:5]
	s_and_b64 exec, exec, vcc
	s_cbranch_execz .LBB101_36
; %bb.14:
	s_xor_b64 s[8:9], s[10:11], s[8:9]
	s_and_b64 s[8:9], s[8:9], exec
	v_and_b32_e32 v12, 7, v0
	v_subrev_co_u32_e32 v0, vcc, s16, v2
	s_cselect_b32 s9, 0, s3
	s_cselect_b32 s8, 1, s2
	s_cmp_lg_u32 s7, 1
	v_subbrev_co_u32_e32 v1, vcc, 0, v3, vcc
	s_cselect_b64 s[20:21], -1, 0
	s_cmp_eq_u32 s7, 1
	v_subrev_co_u32_e32 v2, vcc, s16, v4
	s_cselect_b64 s[2:3], -1, 0
	s_cmpk_eq_i32 s5, 0x6f
	v_subbrev_co_u32_e32 v3, vcc, 0, v5, vcc
	v_mad_u64_u32 v[4:5], s[30:31], s8, v12, 0
	s_cselect_b64 s[6:7], -1, 0
	s_cmpk_lg_i32 s5, 0x6f
	s_load_dwordx2 s[28:29], s[0:1], 0x40
	s_load_dwordx2 s[22:23], s[0:1], 0x58
	;; [unrolled: 1-line block ×3, first 2 shown]
	s_load_dword s17, s[0:1], 0x18
	v_lshlrev_b32_e32 v13, 5, v8
	v_mov_b32_e32 v8, v5
	s_cselect_b64 s[10:11], -1, 0
	s_xor_b64 s[2:3], s[6:7], s[2:3]
	v_mad_u64_u32 v[8:9], s[30:31], s9, v12, v[8:9]
	s_and_b64 s[2:3], s[2:3], exec
	v_mov_b32_e32 v5, v8
	v_lshlrev_b64 v[6:7], 2, v[6:7]
	s_cselect_b32 s26, s12, 1
	v_lshl_add_u64 v[4:5], v[4:5], 2, v[6:7]
	s_load_dwordx2 s[14:15], s[0:1], 0x68
	s_cselect_b32 s27, s13, 0
	s_waitcnt lgkmcnt(0)
	v_lshl_add_u64 v[4:5], s[24:25], 0, v[4:5]
	s_lshl_b64 s[24:25], s[8:9], 5
	v_mad_u64_u32 v[6:7], s[8:9], s26, v12, 0
	v_mov_b32_e32 v8, v7
	v_mad_u64_u32 v[8:9], s[8:9], s27, v12, v[8:9]
	v_cndmask_b32_e64 v10, 0, 1, s[6:7]
	v_mov_b32_e32 v7, v8
	v_cndmask_b32_e64 v8, 0, 1, s[10:11]
	v_cmp_gt_i32_e64 s[0:1], s17, v12
	v_lshl_or_b32 v14, v12, 2, v13
	v_cmp_eq_u32_e64 s[2:3], 0, v12
	v_cmp_gt_u32_e64 s[4:5], 4, v12
	v_cmp_gt_u32_e64 s[6:7], 2, v12
	v_lshl_add_u64 v[6:7], v[6:7], 2, s[28:29]
	s_lshl_b64 s[26:27], s[26:27], 5
	s_mov_b64 s[28:29], 0
	v_cmp_ne_u32_e64 s[8:9], 1, v8
	v_cmp_ne_u32_e64 s[10:11], 1, v10
	s_branch .LBB101_16
.LBB101_15:                             ;   in Loop: Header=BB101_16 Depth=1
	s_or_b64 exec, exec, s[30:31]
	v_lshl_add_u64 v[0:1], v[0:1], 0, 1
	v_cmp_ge_i64_e32 vcc, v[0:1], v[2:3]
	s_or_b64 s[28:29], vcc, s[28:29]
	s_andn2_b64 exec, exec, s[28:29]
	s_cbranch_execz .LBB101_36
.LBB101_16:                             ; =>This Loop Header: Depth=1
                                        ;     Child Loop BB101_26 Depth 2
	v_lshl_add_u64 v[8:9], v[0:1], 2, s[14:15]
	global_load_dword v8, v[8:9], off
	s_mov_b64 s[30:31], -1
	s_and_b64 vcc, exec, s[20:21]
                                        ; implicit-def: $vgpr10_vgpr11
	s_waitcnt vmcnt(0)
	v_subrev_u32_e32 v8, s16, v8
	v_ashrrev_i32_e32 v9, 31, v8
	s_cbranch_vccnz .LBB101_19
; %bb.17:                               ;   in Loop: Header=BB101_16 Depth=1
	s_andn2_b64 vcc, exec, s[30:31]
	s_cbranch_vccz .LBB101_22
.LBB101_18:                             ;   in Loop: Header=BB101_16 Depth=1
	v_mov_b32_e32 v15, 0
	s_and_saveexec_b64 s[30:31], s[0:1]
	s_cbranch_execnz .LBB101_25
	s_branch .LBB101_28
.LBB101_19:                             ;   in Loop: Header=BB101_16 Depth=1
	s_and_b64 vcc, exec, s[8:9]
	v_mov_b64_e32 v[10:11], v[8:9]
	s_cbranch_vccnz .LBB101_21
; %bb.20:                               ;   in Loop: Header=BB101_16 Depth=1
	v_mul_lo_u32 v15, s13, v8
	v_mul_lo_u32 v16, s12, v9
	v_mad_u64_u32 v[10:11], s[30:31], s12, v8, 0
	v_add3_u32 v11, v11, v16, v15
.LBB101_21:                             ;   in Loop: Header=BB101_16 Depth=1
	s_cbranch_execnz .LBB101_18
.LBB101_22:                             ;   in Loop: Header=BB101_16 Depth=1
	s_and_b64 vcc, exec, s[10:11]
	s_cbranch_vccnz .LBB101_24
; %bb.23:                               ;   in Loop: Header=BB101_16 Depth=1
	v_mul_lo_u32 v10, s13, v8
	v_mul_lo_u32 v11, s12, v9
	v_mad_u64_u32 v[8:9], s[30:31], s12, v8, 0
	v_add3_u32 v9, v9, v11, v10
.LBB101_24:                             ;   in Loop: Header=BB101_16 Depth=1
	v_mov_b64_e32 v[10:11], v[8:9]
	v_mov_b32_e32 v15, 0
	s_and_saveexec_b64 s[30:31], s[0:1]
	s_cbranch_execz .LBB101_28
.LBB101_25:                             ;   in Loop: Header=BB101_16 Depth=1
	v_lshl_add_u64 v[8:9], v[10:11], 2, v[6:7]
	v_mov_b32_e32 v15, 0
	s_mov_b64 s[34:35], 0
	v_mov_b64_e32 v[10:11], v[4:5]
	v_mov_b32_e32 v16, v12
.LBB101_26:                             ;   Parent Loop BB101_16 Depth=1
                                        ; =>  This Inner Loop Header: Depth=2
	global_load_dword v17, v[10:11], off
	global_load_dword v18, v[8:9], off
	v_add_u32_e32 v16, 8, v16
	v_cmp_le_i32_e32 vcc, s17, v16
	v_lshl_add_u64 v[10:11], v[10:11], 0, s[24:25]
	v_lshl_add_u64 v[8:9], v[8:9], 0, s[26:27]
	s_or_b64 s[34:35], vcc, s[34:35]
	s_waitcnt vmcnt(0)
	v_fmac_f32_e32 v15, v17, v18
	s_andn2_b64 exec, exec, s[34:35]
	s_cbranch_execnz .LBB101_26
; %bb.27:                               ;   in Loop: Header=BB101_16 Depth=1
	s_or_b64 exec, exec, s[34:35]
.LBB101_28:                             ;   in Loop: Header=BB101_16 Depth=1
	s_or_b64 exec, exec, s[30:31]
	ds_write_b32 v14, v15
	s_waitcnt lgkmcnt(0)
	s_barrier
	s_and_saveexec_b64 s[30:31], s[4:5]
	s_cbranch_execz .LBB101_30
; %bb.29:                               ;   in Loop: Header=BB101_16 Depth=1
	ds_read2_b32 v[8:9], v14 offset1:4
	s_waitcnt lgkmcnt(0)
	v_add_f32_e32 v8, v9, v8
	ds_write_b32 v14, v8
.LBB101_30:                             ;   in Loop: Header=BB101_16 Depth=1
	s_or_b64 exec, exec, s[30:31]
	s_waitcnt lgkmcnt(0)
	s_barrier
	s_and_saveexec_b64 s[30:31], s[6:7]
	s_cbranch_execz .LBB101_32
; %bb.31:                               ;   in Loop: Header=BB101_16 Depth=1
	ds_read2_b32 v[8:9], v14 offset1:2
	s_waitcnt lgkmcnt(0)
	v_add_f32_e32 v8, v9, v8
	ds_write_b32 v14, v8
.LBB101_32:                             ;   in Loop: Header=BB101_16 Depth=1
	s_or_b64 exec, exec, s[30:31]
	;; [unrolled: 11-line block ×3, first 2 shown]
	s_waitcnt lgkmcnt(0)
	s_barrier
	s_and_saveexec_b64 s[30:31], s[2:3]
	s_cbranch_execz .LBB101_15
; %bb.35:                               ;   in Loop: Header=BB101_16 Depth=1
	v_lshl_add_u64 v[8:9], v[0:1], 2, s[22:23]
	global_load_dword v10, v[8:9], off
	ds_read_b32 v11, v13
	s_waitcnt vmcnt(0) lgkmcnt(0)
	v_pk_mul_f32 v[10:11], s[18:19], v[10:11]
	s_nop 0
	v_add_f32_e32 v10, v10, v11
	global_store_dword v[8:9], v10, off
	s_branch .LBB101_15
.LBB101_36:
	s_endpgm
	.section	.rodata,"a",@progbits
	.p2align	6, 0x0
	.amdhsa_kernel _ZN9rocsparseL16sddmm_csx_kernelILi512ELi8EL20rocsparse_direction_0EflifffEEv20rocsparse_operation_S2_16rocsparse_order_S3_T4_S4_S4_T3_NS_24const_host_device_scalarIT2_EEPKT5_lPKT6_lS8_PT7_PKS5_PKS4_21rocsparse_index_base_b
		.amdhsa_group_segment_fixed_size 2048
		.amdhsa_private_segment_fixed_size 0
		.amdhsa_kernarg_size 120
		.amdhsa_user_sgpr_count 2
		.amdhsa_user_sgpr_dispatch_ptr 0
		.amdhsa_user_sgpr_queue_ptr 0
		.amdhsa_user_sgpr_kernarg_segment_ptr 1
		.amdhsa_user_sgpr_dispatch_id 0
		.amdhsa_user_sgpr_kernarg_preload_length 0
		.amdhsa_user_sgpr_kernarg_preload_offset 0
		.amdhsa_user_sgpr_private_segment_size 0
		.amdhsa_uses_dynamic_stack 0
		.amdhsa_enable_private_segment 0
		.amdhsa_system_sgpr_workgroup_id_x 1
		.amdhsa_system_sgpr_workgroup_id_y 0
		.amdhsa_system_sgpr_workgroup_id_z 0
		.amdhsa_system_sgpr_workgroup_info 0
		.amdhsa_system_vgpr_workitem_id 0
		.amdhsa_next_free_vgpr 19
		.amdhsa_next_free_sgpr 36
		.amdhsa_accum_offset 20
		.amdhsa_reserve_vcc 1
		.amdhsa_float_round_mode_32 0
		.amdhsa_float_round_mode_16_64 0
		.amdhsa_float_denorm_mode_32 3
		.amdhsa_float_denorm_mode_16_64 3
		.amdhsa_dx10_clamp 1
		.amdhsa_ieee_mode 1
		.amdhsa_fp16_overflow 0
		.amdhsa_tg_split 0
		.amdhsa_exception_fp_ieee_invalid_op 0
		.amdhsa_exception_fp_denorm_src 0
		.amdhsa_exception_fp_ieee_div_zero 0
		.amdhsa_exception_fp_ieee_overflow 0
		.amdhsa_exception_fp_ieee_underflow 0
		.amdhsa_exception_fp_ieee_inexact 0
		.amdhsa_exception_int_div_zero 0
	.end_amdhsa_kernel
	.section	.text._ZN9rocsparseL16sddmm_csx_kernelILi512ELi8EL20rocsparse_direction_0EflifffEEv20rocsparse_operation_S2_16rocsparse_order_S3_T4_S4_S4_T3_NS_24const_host_device_scalarIT2_EEPKT5_lPKT6_lS8_PT7_PKS5_PKS4_21rocsparse_index_base_b,"axG",@progbits,_ZN9rocsparseL16sddmm_csx_kernelILi512ELi8EL20rocsparse_direction_0EflifffEEv20rocsparse_operation_S2_16rocsparse_order_S3_T4_S4_S4_T3_NS_24const_host_device_scalarIT2_EEPKT5_lPKT6_lS8_PT7_PKS5_PKS4_21rocsparse_index_base_b,comdat
.Lfunc_end101:
	.size	_ZN9rocsparseL16sddmm_csx_kernelILi512ELi8EL20rocsparse_direction_0EflifffEEv20rocsparse_operation_S2_16rocsparse_order_S3_T4_S4_S4_T3_NS_24const_host_device_scalarIT2_EEPKT5_lPKT6_lS8_PT7_PKS5_PKS4_21rocsparse_index_base_b, .Lfunc_end101-_ZN9rocsparseL16sddmm_csx_kernelILi512ELi8EL20rocsparse_direction_0EflifffEEv20rocsparse_operation_S2_16rocsparse_order_S3_T4_S4_S4_T3_NS_24const_host_device_scalarIT2_EEPKT5_lPKT6_lS8_PT7_PKS5_PKS4_21rocsparse_index_base_b
                                        ; -- End function
	.set _ZN9rocsparseL16sddmm_csx_kernelILi512ELi8EL20rocsparse_direction_0EflifffEEv20rocsparse_operation_S2_16rocsparse_order_S3_T4_S4_S4_T3_NS_24const_host_device_scalarIT2_EEPKT5_lPKT6_lS8_PT7_PKS5_PKS4_21rocsparse_index_base_b.num_vgpr, 19
	.set _ZN9rocsparseL16sddmm_csx_kernelILi512ELi8EL20rocsparse_direction_0EflifffEEv20rocsparse_operation_S2_16rocsparse_order_S3_T4_S4_S4_T3_NS_24const_host_device_scalarIT2_EEPKT5_lPKT6_lS8_PT7_PKS5_PKS4_21rocsparse_index_base_b.num_agpr, 0
	.set _ZN9rocsparseL16sddmm_csx_kernelILi512ELi8EL20rocsparse_direction_0EflifffEEv20rocsparse_operation_S2_16rocsparse_order_S3_T4_S4_S4_T3_NS_24const_host_device_scalarIT2_EEPKT5_lPKT6_lS8_PT7_PKS5_PKS4_21rocsparse_index_base_b.numbered_sgpr, 36
	.set _ZN9rocsparseL16sddmm_csx_kernelILi512ELi8EL20rocsparse_direction_0EflifffEEv20rocsparse_operation_S2_16rocsparse_order_S3_T4_S4_S4_T3_NS_24const_host_device_scalarIT2_EEPKT5_lPKT6_lS8_PT7_PKS5_PKS4_21rocsparse_index_base_b.num_named_barrier, 0
	.set _ZN9rocsparseL16sddmm_csx_kernelILi512ELi8EL20rocsparse_direction_0EflifffEEv20rocsparse_operation_S2_16rocsparse_order_S3_T4_S4_S4_T3_NS_24const_host_device_scalarIT2_EEPKT5_lPKT6_lS8_PT7_PKS5_PKS4_21rocsparse_index_base_b.private_seg_size, 0
	.set _ZN9rocsparseL16sddmm_csx_kernelILi512ELi8EL20rocsparse_direction_0EflifffEEv20rocsparse_operation_S2_16rocsparse_order_S3_T4_S4_S4_T3_NS_24const_host_device_scalarIT2_EEPKT5_lPKT6_lS8_PT7_PKS5_PKS4_21rocsparse_index_base_b.uses_vcc, 1
	.set _ZN9rocsparseL16sddmm_csx_kernelILi512ELi8EL20rocsparse_direction_0EflifffEEv20rocsparse_operation_S2_16rocsparse_order_S3_T4_S4_S4_T3_NS_24const_host_device_scalarIT2_EEPKT5_lPKT6_lS8_PT7_PKS5_PKS4_21rocsparse_index_base_b.uses_flat_scratch, 0
	.set _ZN9rocsparseL16sddmm_csx_kernelILi512ELi8EL20rocsparse_direction_0EflifffEEv20rocsparse_operation_S2_16rocsparse_order_S3_T4_S4_S4_T3_NS_24const_host_device_scalarIT2_EEPKT5_lPKT6_lS8_PT7_PKS5_PKS4_21rocsparse_index_base_b.has_dyn_sized_stack, 0
	.set _ZN9rocsparseL16sddmm_csx_kernelILi512ELi8EL20rocsparse_direction_0EflifffEEv20rocsparse_operation_S2_16rocsparse_order_S3_T4_S4_S4_T3_NS_24const_host_device_scalarIT2_EEPKT5_lPKT6_lS8_PT7_PKS5_PKS4_21rocsparse_index_base_b.has_recursion, 0
	.set _ZN9rocsparseL16sddmm_csx_kernelILi512ELi8EL20rocsparse_direction_0EflifffEEv20rocsparse_operation_S2_16rocsparse_order_S3_T4_S4_S4_T3_NS_24const_host_device_scalarIT2_EEPKT5_lPKT6_lS8_PT7_PKS5_PKS4_21rocsparse_index_base_b.has_indirect_call, 0
	.section	.AMDGPU.csdata,"",@progbits
; Kernel info:
; codeLenInByte = 1132
; TotalNumSgprs: 42
; NumVgprs: 19
; NumAgprs: 0
; TotalNumVgprs: 19
; ScratchSize: 0
; MemoryBound: 0
; FloatMode: 240
; IeeeMode: 1
; LDSByteSize: 2048 bytes/workgroup (compile time only)
; SGPRBlocks: 5
; VGPRBlocks: 2
; NumSGPRsForWavesPerEU: 42
; NumVGPRsForWavesPerEU: 19
; AccumOffset: 20
; Occupancy: 8
; WaveLimiterHint : 0
; COMPUTE_PGM_RSRC2:SCRATCH_EN: 0
; COMPUTE_PGM_RSRC2:USER_SGPR: 2
; COMPUTE_PGM_RSRC2:TRAP_HANDLER: 0
; COMPUTE_PGM_RSRC2:TGID_X_EN: 1
; COMPUTE_PGM_RSRC2:TGID_Y_EN: 0
; COMPUTE_PGM_RSRC2:TGID_Z_EN: 0
; COMPUTE_PGM_RSRC2:TIDIG_COMP_CNT: 0
; COMPUTE_PGM_RSRC3_GFX90A:ACCUM_OFFSET: 4
; COMPUTE_PGM_RSRC3_GFX90A:TG_SPLIT: 0
	.section	.text._ZN9rocsparseL16sddmm_csx_kernelILi512ELi4EL20rocsparse_direction_0EflifffEEv20rocsparse_operation_S2_16rocsparse_order_S3_T4_S4_S4_T3_NS_24const_host_device_scalarIT2_EEPKT5_lPKT6_lS8_PT7_PKS5_PKS4_21rocsparse_index_base_b,"axG",@progbits,_ZN9rocsparseL16sddmm_csx_kernelILi512ELi4EL20rocsparse_direction_0EflifffEEv20rocsparse_operation_S2_16rocsparse_order_S3_T4_S4_S4_T3_NS_24const_host_device_scalarIT2_EEPKT5_lPKT6_lS8_PT7_PKS5_PKS4_21rocsparse_index_base_b,comdat
	.globl	_ZN9rocsparseL16sddmm_csx_kernelILi512ELi4EL20rocsparse_direction_0EflifffEEv20rocsparse_operation_S2_16rocsparse_order_S3_T4_S4_S4_T3_NS_24const_host_device_scalarIT2_EEPKT5_lPKT6_lS8_PT7_PKS5_PKS4_21rocsparse_index_base_b ; -- Begin function _ZN9rocsparseL16sddmm_csx_kernelILi512ELi4EL20rocsparse_direction_0EflifffEEv20rocsparse_operation_S2_16rocsparse_order_S3_T4_S4_S4_T3_NS_24const_host_device_scalarIT2_EEPKT5_lPKT6_lS8_PT7_PKS5_PKS4_21rocsparse_index_base_b
	.p2align	8
	.type	_ZN9rocsparseL16sddmm_csx_kernelILi512ELi4EL20rocsparse_direction_0EflifffEEv20rocsparse_operation_S2_16rocsparse_order_S3_T4_S4_S4_T3_NS_24const_host_device_scalarIT2_EEPKT5_lPKT6_lS8_PT7_PKS5_PKS4_21rocsparse_index_base_b,@function
_ZN9rocsparseL16sddmm_csx_kernelILi512ELi4EL20rocsparse_direction_0EflifffEEv20rocsparse_operation_S2_16rocsparse_order_S3_T4_S4_S4_T3_NS_24const_host_device_scalarIT2_EEPKT5_lPKT6_lS8_PT7_PKS5_PKS4_21rocsparse_index_base_b: ; @_ZN9rocsparseL16sddmm_csx_kernelILi512ELi4EL20rocsparse_direction_0EflifffEEv20rocsparse_operation_S2_16rocsparse_order_S3_T4_S4_S4_T3_NS_24const_host_device_scalarIT2_EEPKT5_lPKT6_lS8_PT7_PKS5_PKS4_21rocsparse_index_base_b
; %bb.0:
	s_load_dwordx2 s[10:11], s[0:1], 0x70
	s_load_dwordx2 s[6:7], s[0:1], 0x28
	s_load_dwordx4 s[12:15], s[0:1], 0x48
	s_waitcnt lgkmcnt(0)
	s_bitcmp1_b32 s11, 0
	s_cselect_b64 s[8:9], -1, 0
	s_xor_b64 s[4:5], s[8:9], -1
	s_and_b64 vcc, exec, s[8:9]
	s_mov_b32 s17, s6
	s_cbranch_vccnz .LBB102_2
; %bb.1:
	s_load_dword s17, s[6:7], 0x0
.LBB102_2:
	s_andn2_b64 vcc, exec, s[4:5]
	s_mov_b32 s16, s14
	s_cbranch_vccnz .LBB102_4
; %bb.3:
	s_load_dword s16, s[14:15], 0x0
.LBB102_4:
	s_waitcnt lgkmcnt(0)
	v_cmp_eq_f32_e64 s[4:5], s17, 0
	v_cmp_eq_f32_e64 s[6:7], s16, 1.0
	s_and_b64 s[4:5], s[4:5], s[6:7]
	s_and_b64 vcc, exec, s[4:5]
	s_cbranch_vccnz .LBB102_34
; %bb.5:
	s_load_dword s4, s[0:1], 0x10
	v_lshrrev_b32_e32 v8, 2, v0
	v_lshl_or_b32 v2, s2, 7, v8
	v_mov_b32_e32 v3, 0
	s_waitcnt lgkmcnt(0)
	s_ashr_i32 s5, s4, 31
	v_cmp_gt_i64_e32 vcc, s[4:5], v[2:3]
	s_and_saveexec_b64 s[2:3], vcc
	s_cbranch_execz .LBB102_34
; %bb.6:
	s_load_dwordx4 s[4:7], s[0:1], 0x0
	s_load_dwordx2 s[14:15], s[0:1], 0x60
	s_load_dwordx2 s[2:3], s[0:1], 0x38
	s_waitcnt lgkmcnt(0)
	s_cmp_eq_u32 s6, 1
	s_cselect_b64 s[8:9], -1, 0
	s_cmpk_eq_i32 s4, 0x6f
	s_cselect_b64 s[18:19], -1, 0
	s_cmpk_lg_i32 s4, 0x6f
	s_cselect_b64 s[20:21], -1, 0
	s_cmp_lg_u32 s6, 1
	s_cbranch_scc0 .LBB102_10
; %bb.7:
	s_andn2_b64 vcc, exec, s[18:19]
	v_mov_b64_e32 v[6:7], v[2:3]
	s_cbranch_vccnz .LBB102_9
; %bb.8:
	v_mad_u64_u32 v[6:7], s[22:23], s2, v2, 0
	v_mov_b32_e32 v4, v7
	v_mad_u64_u32 v[4:5], s[22:23], s3, v2, v[4:5]
	v_mov_b32_e32 v7, v4
.LBB102_9:
	s_cbranch_execz .LBB102_11
	s_branch .LBB102_13
.LBB102_10:
                                        ; implicit-def: $vgpr6_vgpr7
.LBB102_11:
	s_andn2_b64 vcc, exec, s[20:21]
	v_mov_b64_e32 v[6:7], v[2:3]
	s_cbranch_vccnz .LBB102_13
; %bb.12:
	v_mad_u64_u32 v[6:7], s[20:21], s2, v2, 0
	v_mov_b32_e32 v4, v7
	v_mad_u64_u32 v[4:5], s[20:21], s3, v2, v[4:5]
	v_mov_b32_e32 v7, v4
.LBB102_13:
	v_lshl_add_u64 v[2:3], v[2:3], 3, s[14:15]
	global_load_dwordx4 v[2:5], v[2:3], off
	s_waitcnt vmcnt(0)
	v_cmp_lt_i64_e32 vcc, v[2:3], v[4:5]
	s_and_b64 exec, exec, vcc
	s_cbranch_execz .LBB102_34
; %bb.14:
	s_xor_b64 s[8:9], s[18:19], s[8:9]
	s_and_b64 s[8:9], s[8:9], exec
	v_and_b32_e32 v12, 3, v0
	v_subrev_co_u32_e32 v0, vcc, s10, v2
	s_cselect_b32 s9, 0, s3
	s_cselect_b32 s8, 1, s2
	s_cmp_lg_u32 s7, 1
	v_subbrev_co_u32_e32 v1, vcc, 0, v3, vcc
	s_cselect_b64 s[18:19], -1, 0
	s_cmp_eq_u32 s7, 1
	v_subrev_co_u32_e32 v2, vcc, s10, v4
	s_cselect_b64 s[2:3], -1, 0
	s_cmpk_eq_i32 s5, 0x6f
	v_subbrev_co_u32_e32 v3, vcc, 0, v5, vcc
	v_mad_u64_u32 v[4:5], s[26:27], s8, v12, 0
	s_cselect_b64 s[6:7], -1, 0
	s_cmpk_lg_i32 s5, 0x6f
	s_load_dwordx2 s[24:25], s[0:1], 0x40
	s_load_dwordx2 s[20:21], s[0:1], 0x58
	;; [unrolled: 1-line block ×3, first 2 shown]
	s_load_dword s11, s[0:1], 0x18
	v_lshlrev_b32_e32 v13, 4, v8
	v_mov_b32_e32 v8, v5
	s_cselect_b64 s[28:29], -1, 0
	s_xor_b64 s[2:3], s[6:7], s[2:3]
	v_mad_u64_u32 v[8:9], s[26:27], s9, v12, v[8:9]
	s_and_b64 s[2:3], s[2:3], exec
	v_mov_b32_e32 v5, v8
	v_lshlrev_b64 v[6:7], 2, v[6:7]
	v_cndmask_b32_e64 v10, 0, 1, s[6:7]
	s_cselect_b32 s6, s12, 1
	v_lshl_add_u64 v[4:5], v[4:5], 2, v[6:7]
	s_load_dwordx2 s[14:15], s[0:1], 0x68
	s_cselect_b32 s7, s13, 0
	s_waitcnt lgkmcnt(0)
	v_lshl_add_u64 v[4:5], s[22:23], 0, v[4:5]
	s_lshl_b64 s[22:23], s[8:9], 4
	v_mad_u64_u32 v[6:7], s[8:9], s6, v12, 0
	v_mov_b32_e32 v8, v7
	v_mad_u64_u32 v[8:9], s[8:9], s7, v12, v[8:9]
	v_mov_b32_e32 v7, v8
	v_cndmask_b32_e64 v8, 0, 1, s[28:29]
	v_cmp_gt_i32_e64 s[0:1], s11, v12
	v_lshl_or_b32 v14, v12, 2, v13
	v_cmp_eq_u32_e64 s[2:3], 0, v12
	v_cmp_gt_u32_e64 s[4:5], 2, v12
	v_lshl_add_u64 v[6:7], v[6:7], 2, s[24:25]
	s_lshl_b64 s[24:25], s[6:7], 4
	s_mov_b64 s[26:27], 0
	v_cmp_ne_u32_e64 s[6:7], 1, v8
	v_cmp_ne_u32_e64 s[8:9], 1, v10
	s_branch .LBB102_16
.LBB102_15:                             ;   in Loop: Header=BB102_16 Depth=1
	s_or_b64 exec, exec, s[28:29]
	v_lshl_add_u64 v[0:1], v[0:1], 0, 1
	v_cmp_ge_i64_e32 vcc, v[0:1], v[2:3]
	s_or_b64 s[26:27], vcc, s[26:27]
	s_andn2_b64 exec, exec, s[26:27]
	s_cbranch_execz .LBB102_34
.LBB102_16:                             ; =>This Loop Header: Depth=1
                                        ;     Child Loop BB102_26 Depth 2
	v_lshl_add_u64 v[8:9], v[0:1], 2, s[14:15]
	global_load_dword v8, v[8:9], off
	s_mov_b64 s[28:29], -1
	s_and_b64 vcc, exec, s[18:19]
                                        ; implicit-def: $vgpr10_vgpr11
	s_waitcnt vmcnt(0)
	v_subrev_u32_e32 v8, s10, v8
	v_ashrrev_i32_e32 v9, 31, v8
	s_cbranch_vccnz .LBB102_19
; %bb.17:                               ;   in Loop: Header=BB102_16 Depth=1
	s_andn2_b64 vcc, exec, s[28:29]
	s_cbranch_vccz .LBB102_22
.LBB102_18:                             ;   in Loop: Header=BB102_16 Depth=1
	v_mov_b32_e32 v15, 0
	s_and_saveexec_b64 s[28:29], s[0:1]
	s_cbranch_execnz .LBB102_25
	s_branch .LBB102_28
.LBB102_19:                             ;   in Loop: Header=BB102_16 Depth=1
	s_and_b64 vcc, exec, s[6:7]
	v_mov_b64_e32 v[10:11], v[8:9]
	s_cbranch_vccnz .LBB102_21
; %bb.20:                               ;   in Loop: Header=BB102_16 Depth=1
	v_mul_lo_u32 v15, s13, v8
	v_mul_lo_u32 v16, s12, v9
	v_mad_u64_u32 v[10:11], s[28:29], s12, v8, 0
	v_add3_u32 v11, v11, v16, v15
.LBB102_21:                             ;   in Loop: Header=BB102_16 Depth=1
	s_cbranch_execnz .LBB102_18
.LBB102_22:                             ;   in Loop: Header=BB102_16 Depth=1
	s_and_b64 vcc, exec, s[8:9]
	s_cbranch_vccnz .LBB102_24
; %bb.23:                               ;   in Loop: Header=BB102_16 Depth=1
	v_mul_lo_u32 v10, s13, v8
	v_mul_lo_u32 v11, s12, v9
	v_mad_u64_u32 v[8:9], s[28:29], s12, v8, 0
	v_add3_u32 v9, v9, v11, v10
.LBB102_24:                             ;   in Loop: Header=BB102_16 Depth=1
	v_mov_b64_e32 v[10:11], v[8:9]
	v_mov_b32_e32 v15, 0
	s_and_saveexec_b64 s[28:29], s[0:1]
	s_cbranch_execz .LBB102_28
.LBB102_25:                             ;   in Loop: Header=BB102_16 Depth=1
	v_lshl_add_u64 v[8:9], v[10:11], 2, v[6:7]
	v_mov_b32_e32 v15, 0
	s_mov_b64 s[30:31], 0
	v_mov_b64_e32 v[10:11], v[4:5]
	v_mov_b32_e32 v16, v12
.LBB102_26:                             ;   Parent Loop BB102_16 Depth=1
                                        ; =>  This Inner Loop Header: Depth=2
	global_load_dword v17, v[10:11], off
	global_load_dword v18, v[8:9], off
	v_add_u32_e32 v16, 4, v16
	v_cmp_le_i32_e32 vcc, s11, v16
	v_lshl_add_u64 v[10:11], v[10:11], 0, s[22:23]
	v_lshl_add_u64 v[8:9], v[8:9], 0, s[24:25]
	s_or_b64 s[30:31], vcc, s[30:31]
	s_waitcnt vmcnt(0)
	v_fmac_f32_e32 v15, v17, v18
	s_andn2_b64 exec, exec, s[30:31]
	s_cbranch_execnz .LBB102_26
; %bb.27:                               ;   in Loop: Header=BB102_16 Depth=1
	s_or_b64 exec, exec, s[30:31]
.LBB102_28:                             ;   in Loop: Header=BB102_16 Depth=1
	s_or_b64 exec, exec, s[28:29]
	ds_write_b32 v14, v15
	s_waitcnt lgkmcnt(0)
	s_barrier
	s_and_saveexec_b64 s[28:29], s[4:5]
	s_cbranch_execz .LBB102_30
; %bb.29:                               ;   in Loop: Header=BB102_16 Depth=1
	ds_read2_b32 v[8:9], v14 offset1:2
	s_waitcnt lgkmcnt(0)
	v_add_f32_e32 v8, v9, v8
	ds_write_b32 v14, v8
.LBB102_30:                             ;   in Loop: Header=BB102_16 Depth=1
	s_or_b64 exec, exec, s[28:29]
	s_waitcnt lgkmcnt(0)
	s_barrier
	s_and_saveexec_b64 s[28:29], s[2:3]
	s_cbranch_execz .LBB102_32
; %bb.31:                               ;   in Loop: Header=BB102_16 Depth=1
	ds_read2_b32 v[8:9], v14 offset1:1
	s_waitcnt lgkmcnt(0)
	v_add_f32_e32 v8, v9, v8
	ds_write_b32 v14, v8
.LBB102_32:                             ;   in Loop: Header=BB102_16 Depth=1
	s_or_b64 exec, exec, s[28:29]
	s_waitcnt lgkmcnt(0)
	s_barrier
	s_and_saveexec_b64 s[28:29], s[2:3]
	s_cbranch_execz .LBB102_15
; %bb.33:                               ;   in Loop: Header=BB102_16 Depth=1
	v_lshl_add_u64 v[8:9], v[0:1], 2, s[20:21]
	global_load_dword v10, v[8:9], off
	ds_read_b32 v11, v13
	s_waitcnt vmcnt(0) lgkmcnt(0)
	v_pk_mul_f32 v[10:11], s[16:17], v[10:11]
	s_nop 0
	v_add_f32_e32 v10, v10, v11
	global_store_dword v[8:9], v10, off
	s_branch .LBB102_15
.LBB102_34:
	s_endpgm
	.section	.rodata,"a",@progbits
	.p2align	6, 0x0
	.amdhsa_kernel _ZN9rocsparseL16sddmm_csx_kernelILi512ELi4EL20rocsparse_direction_0EflifffEEv20rocsparse_operation_S2_16rocsparse_order_S3_T4_S4_S4_T3_NS_24const_host_device_scalarIT2_EEPKT5_lPKT6_lS8_PT7_PKS5_PKS4_21rocsparse_index_base_b
		.amdhsa_group_segment_fixed_size 2048
		.amdhsa_private_segment_fixed_size 0
		.amdhsa_kernarg_size 120
		.amdhsa_user_sgpr_count 2
		.amdhsa_user_sgpr_dispatch_ptr 0
		.amdhsa_user_sgpr_queue_ptr 0
		.amdhsa_user_sgpr_kernarg_segment_ptr 1
		.amdhsa_user_sgpr_dispatch_id 0
		.amdhsa_user_sgpr_kernarg_preload_length 0
		.amdhsa_user_sgpr_kernarg_preload_offset 0
		.amdhsa_user_sgpr_private_segment_size 0
		.amdhsa_uses_dynamic_stack 0
		.amdhsa_enable_private_segment 0
		.amdhsa_system_sgpr_workgroup_id_x 1
		.amdhsa_system_sgpr_workgroup_id_y 0
		.amdhsa_system_sgpr_workgroup_id_z 0
		.amdhsa_system_sgpr_workgroup_info 0
		.amdhsa_system_vgpr_workitem_id 0
		.amdhsa_next_free_vgpr 19
		.amdhsa_next_free_sgpr 32
		.amdhsa_accum_offset 20
		.amdhsa_reserve_vcc 1
		.amdhsa_float_round_mode_32 0
		.amdhsa_float_round_mode_16_64 0
		.amdhsa_float_denorm_mode_32 3
		.amdhsa_float_denorm_mode_16_64 3
		.amdhsa_dx10_clamp 1
		.amdhsa_ieee_mode 1
		.amdhsa_fp16_overflow 0
		.amdhsa_tg_split 0
		.amdhsa_exception_fp_ieee_invalid_op 0
		.amdhsa_exception_fp_denorm_src 0
		.amdhsa_exception_fp_ieee_div_zero 0
		.amdhsa_exception_fp_ieee_overflow 0
		.amdhsa_exception_fp_ieee_underflow 0
		.amdhsa_exception_fp_ieee_inexact 0
		.amdhsa_exception_int_div_zero 0
	.end_amdhsa_kernel
	.section	.text._ZN9rocsparseL16sddmm_csx_kernelILi512ELi4EL20rocsparse_direction_0EflifffEEv20rocsparse_operation_S2_16rocsparse_order_S3_T4_S4_S4_T3_NS_24const_host_device_scalarIT2_EEPKT5_lPKT6_lS8_PT7_PKS5_PKS4_21rocsparse_index_base_b,"axG",@progbits,_ZN9rocsparseL16sddmm_csx_kernelILi512ELi4EL20rocsparse_direction_0EflifffEEv20rocsparse_operation_S2_16rocsparse_order_S3_T4_S4_S4_T3_NS_24const_host_device_scalarIT2_EEPKT5_lPKT6_lS8_PT7_PKS5_PKS4_21rocsparse_index_base_b,comdat
.Lfunc_end102:
	.size	_ZN9rocsparseL16sddmm_csx_kernelILi512ELi4EL20rocsparse_direction_0EflifffEEv20rocsparse_operation_S2_16rocsparse_order_S3_T4_S4_S4_T3_NS_24const_host_device_scalarIT2_EEPKT5_lPKT6_lS8_PT7_PKS5_PKS4_21rocsparse_index_base_b, .Lfunc_end102-_ZN9rocsparseL16sddmm_csx_kernelILi512ELi4EL20rocsparse_direction_0EflifffEEv20rocsparse_operation_S2_16rocsparse_order_S3_T4_S4_S4_T3_NS_24const_host_device_scalarIT2_EEPKT5_lPKT6_lS8_PT7_PKS5_PKS4_21rocsparse_index_base_b
                                        ; -- End function
	.set _ZN9rocsparseL16sddmm_csx_kernelILi512ELi4EL20rocsparse_direction_0EflifffEEv20rocsparse_operation_S2_16rocsparse_order_S3_T4_S4_S4_T3_NS_24const_host_device_scalarIT2_EEPKT5_lPKT6_lS8_PT7_PKS5_PKS4_21rocsparse_index_base_b.num_vgpr, 19
	.set _ZN9rocsparseL16sddmm_csx_kernelILi512ELi4EL20rocsparse_direction_0EflifffEEv20rocsparse_operation_S2_16rocsparse_order_S3_T4_S4_S4_T3_NS_24const_host_device_scalarIT2_EEPKT5_lPKT6_lS8_PT7_PKS5_PKS4_21rocsparse_index_base_b.num_agpr, 0
	.set _ZN9rocsparseL16sddmm_csx_kernelILi512ELi4EL20rocsparse_direction_0EflifffEEv20rocsparse_operation_S2_16rocsparse_order_S3_T4_S4_S4_T3_NS_24const_host_device_scalarIT2_EEPKT5_lPKT6_lS8_PT7_PKS5_PKS4_21rocsparse_index_base_b.numbered_sgpr, 32
	.set _ZN9rocsparseL16sddmm_csx_kernelILi512ELi4EL20rocsparse_direction_0EflifffEEv20rocsparse_operation_S2_16rocsparse_order_S3_T4_S4_S4_T3_NS_24const_host_device_scalarIT2_EEPKT5_lPKT6_lS8_PT7_PKS5_PKS4_21rocsparse_index_base_b.num_named_barrier, 0
	.set _ZN9rocsparseL16sddmm_csx_kernelILi512ELi4EL20rocsparse_direction_0EflifffEEv20rocsparse_operation_S2_16rocsparse_order_S3_T4_S4_S4_T3_NS_24const_host_device_scalarIT2_EEPKT5_lPKT6_lS8_PT7_PKS5_PKS4_21rocsparse_index_base_b.private_seg_size, 0
	.set _ZN9rocsparseL16sddmm_csx_kernelILi512ELi4EL20rocsparse_direction_0EflifffEEv20rocsparse_operation_S2_16rocsparse_order_S3_T4_S4_S4_T3_NS_24const_host_device_scalarIT2_EEPKT5_lPKT6_lS8_PT7_PKS5_PKS4_21rocsparse_index_base_b.uses_vcc, 1
	.set _ZN9rocsparseL16sddmm_csx_kernelILi512ELi4EL20rocsparse_direction_0EflifffEEv20rocsparse_operation_S2_16rocsparse_order_S3_T4_S4_S4_T3_NS_24const_host_device_scalarIT2_EEPKT5_lPKT6_lS8_PT7_PKS5_PKS4_21rocsparse_index_base_b.uses_flat_scratch, 0
	.set _ZN9rocsparseL16sddmm_csx_kernelILi512ELi4EL20rocsparse_direction_0EflifffEEv20rocsparse_operation_S2_16rocsparse_order_S3_T4_S4_S4_T3_NS_24const_host_device_scalarIT2_EEPKT5_lPKT6_lS8_PT7_PKS5_PKS4_21rocsparse_index_base_b.has_dyn_sized_stack, 0
	.set _ZN9rocsparseL16sddmm_csx_kernelILi512ELi4EL20rocsparse_direction_0EflifffEEv20rocsparse_operation_S2_16rocsparse_order_S3_T4_S4_S4_T3_NS_24const_host_device_scalarIT2_EEPKT5_lPKT6_lS8_PT7_PKS5_PKS4_21rocsparse_index_base_b.has_recursion, 0
	.set _ZN9rocsparseL16sddmm_csx_kernelILi512ELi4EL20rocsparse_direction_0EflifffEEv20rocsparse_operation_S2_16rocsparse_order_S3_T4_S4_S4_T3_NS_24const_host_device_scalarIT2_EEPKT5_lPKT6_lS8_PT7_PKS5_PKS4_21rocsparse_index_base_b.has_indirect_call, 0
	.section	.AMDGPU.csdata,"",@progbits
; Kernel info:
; codeLenInByte = 1080
; TotalNumSgprs: 38
; NumVgprs: 19
; NumAgprs: 0
; TotalNumVgprs: 19
; ScratchSize: 0
; MemoryBound: 0
; FloatMode: 240
; IeeeMode: 1
; LDSByteSize: 2048 bytes/workgroup (compile time only)
; SGPRBlocks: 4
; VGPRBlocks: 2
; NumSGPRsForWavesPerEU: 38
; NumVGPRsForWavesPerEU: 19
; AccumOffset: 20
; Occupancy: 8
; WaveLimiterHint : 0
; COMPUTE_PGM_RSRC2:SCRATCH_EN: 0
; COMPUTE_PGM_RSRC2:USER_SGPR: 2
; COMPUTE_PGM_RSRC2:TRAP_HANDLER: 0
; COMPUTE_PGM_RSRC2:TGID_X_EN: 1
; COMPUTE_PGM_RSRC2:TGID_Y_EN: 0
; COMPUTE_PGM_RSRC2:TGID_Z_EN: 0
; COMPUTE_PGM_RSRC2:TIDIG_COMP_CNT: 0
; COMPUTE_PGM_RSRC3_GFX90A:ACCUM_OFFSET: 4
; COMPUTE_PGM_RSRC3_GFX90A:TG_SPLIT: 0
	.section	.text._ZN9rocsparseL16sddmm_csx_kernelILi512ELi2EL20rocsparse_direction_0EflifffEEv20rocsparse_operation_S2_16rocsparse_order_S3_T4_S4_S4_T3_NS_24const_host_device_scalarIT2_EEPKT5_lPKT6_lS8_PT7_PKS5_PKS4_21rocsparse_index_base_b,"axG",@progbits,_ZN9rocsparseL16sddmm_csx_kernelILi512ELi2EL20rocsparse_direction_0EflifffEEv20rocsparse_operation_S2_16rocsparse_order_S3_T4_S4_S4_T3_NS_24const_host_device_scalarIT2_EEPKT5_lPKT6_lS8_PT7_PKS5_PKS4_21rocsparse_index_base_b,comdat
	.globl	_ZN9rocsparseL16sddmm_csx_kernelILi512ELi2EL20rocsparse_direction_0EflifffEEv20rocsparse_operation_S2_16rocsparse_order_S3_T4_S4_S4_T3_NS_24const_host_device_scalarIT2_EEPKT5_lPKT6_lS8_PT7_PKS5_PKS4_21rocsparse_index_base_b ; -- Begin function _ZN9rocsparseL16sddmm_csx_kernelILi512ELi2EL20rocsparse_direction_0EflifffEEv20rocsparse_operation_S2_16rocsparse_order_S3_T4_S4_S4_T3_NS_24const_host_device_scalarIT2_EEPKT5_lPKT6_lS8_PT7_PKS5_PKS4_21rocsparse_index_base_b
	.p2align	8
	.type	_ZN9rocsparseL16sddmm_csx_kernelILi512ELi2EL20rocsparse_direction_0EflifffEEv20rocsparse_operation_S2_16rocsparse_order_S3_T4_S4_S4_T3_NS_24const_host_device_scalarIT2_EEPKT5_lPKT6_lS8_PT7_PKS5_PKS4_21rocsparse_index_base_b,@function
_ZN9rocsparseL16sddmm_csx_kernelILi512ELi2EL20rocsparse_direction_0EflifffEEv20rocsparse_operation_S2_16rocsparse_order_S3_T4_S4_S4_T3_NS_24const_host_device_scalarIT2_EEPKT5_lPKT6_lS8_PT7_PKS5_PKS4_21rocsparse_index_base_b: ; @_ZN9rocsparseL16sddmm_csx_kernelILi512ELi2EL20rocsparse_direction_0EflifffEEv20rocsparse_operation_S2_16rocsparse_order_S3_T4_S4_S4_T3_NS_24const_host_device_scalarIT2_EEPKT5_lPKT6_lS8_PT7_PKS5_PKS4_21rocsparse_index_base_b
; %bb.0:
	s_load_dwordx2 s[12:13], s[0:1], 0x70
	s_load_dwordx2 s[6:7], s[0:1], 0x28
	s_load_dwordx4 s[8:11], s[0:1], 0x48
	s_waitcnt lgkmcnt(0)
	s_bitcmp1_b32 s13, 0
	s_cselect_b64 s[14:15], -1, 0
	s_xor_b64 s[4:5], s[14:15], -1
	s_and_b64 vcc, exec, s[14:15]
	s_mov_b32 s15, s6
	s_cbranch_vccnz .LBB103_2
; %bb.1:
	s_load_dword s15, s[6:7], 0x0
.LBB103_2:
	s_andn2_b64 vcc, exec, s[4:5]
	s_mov_b32 s14, s10
	s_cbranch_vccnz .LBB103_4
; %bb.3:
	s_load_dword s14, s[10:11], 0x0
.LBB103_4:
	s_waitcnt lgkmcnt(0)
	v_cmp_eq_f32_e64 s[4:5], s15, 0
	v_cmp_eq_f32_e64 s[6:7], s14, 1.0
	s_and_b64 s[4:5], s[4:5], s[6:7]
	s_and_b64 vcc, exec, s[4:5]
	s_cbranch_vccnz .LBB103_32
; %bb.5:
	s_load_dword s4, s[0:1], 0x10
	v_lshrrev_b32_e32 v8, 1, v0
	v_lshl_or_b32 v2, s2, 8, v8
	v_mov_b32_e32 v3, 0
	s_waitcnt lgkmcnt(0)
	s_ashr_i32 s5, s4, 31
	v_cmp_gt_i64_e32 vcc, s[4:5], v[2:3]
	s_and_saveexec_b64 s[2:3], vcc
	s_cbranch_execz .LBB103_32
; %bb.6:
	s_load_dwordx4 s[4:7], s[0:1], 0x0
	s_load_dwordx2 s[10:11], s[0:1], 0x60
	s_load_dwordx2 s[2:3], s[0:1], 0x38
	s_waitcnt lgkmcnt(0)
	s_cmp_eq_u32 s6, 1
	s_cselect_b64 s[16:17], -1, 0
	s_cmpk_eq_i32 s4, 0x6f
	s_cselect_b64 s[18:19], -1, 0
	s_cmpk_lg_i32 s4, 0x6f
	s_cselect_b64 s[20:21], -1, 0
	s_cmp_lg_u32 s6, 1
	s_cbranch_scc0 .LBB103_10
; %bb.7:
	s_andn2_b64 vcc, exec, s[18:19]
	v_mov_b64_e32 v[6:7], v[2:3]
	s_cbranch_vccnz .LBB103_9
; %bb.8:
	v_mad_u64_u32 v[6:7], s[22:23], s2, v2, 0
	v_mov_b32_e32 v4, v7
	v_mad_u64_u32 v[4:5], s[22:23], s3, v2, v[4:5]
	v_mov_b32_e32 v7, v4
.LBB103_9:
	s_cbranch_execz .LBB103_11
	s_branch .LBB103_13
.LBB103_10:
                                        ; implicit-def: $vgpr6_vgpr7
.LBB103_11:
	s_andn2_b64 vcc, exec, s[20:21]
	v_mov_b64_e32 v[6:7], v[2:3]
	s_cbranch_vccnz .LBB103_13
; %bb.12:
	v_mad_u64_u32 v[6:7], s[20:21], s2, v2, 0
	v_mov_b32_e32 v4, v7
	v_mad_u64_u32 v[4:5], s[20:21], s3, v2, v[4:5]
	v_mov_b32_e32 v7, v4
.LBB103_13:
	v_lshl_add_u64 v[2:3], v[2:3], 3, s[10:11]
	global_load_dwordx4 v[2:5], v[2:3], off
	s_waitcnt vmcnt(0)
	v_cmp_lt_i64_e32 vcc, v[2:3], v[4:5]
	s_and_b64 exec, exec, vcc
	s_cbranch_execz .LBB103_32
; %bb.14:
	s_xor_b64 s[16:17], s[18:19], s[16:17]
	s_and_b64 s[16:17], s[16:17], exec
	s_cselect_b32 s21, 0, s3
	s_cselect_b32 s20, 1, s2
	s_cmp_lg_u32 s7, 1
	s_cselect_b64 s[16:17], -1, 0
	s_cmp_eq_u32 s7, 1
	s_cselect_b64 s[2:3], -1, 0
	s_cmpk_eq_i32 s5, 0x6f
	s_cselect_b64 s[6:7], -1, 0
	s_cmpk_lg_i32 s5, 0x6f
	v_and_b32_e32 v12, 1, v0
	s_load_dwordx2 s[22:23], s[0:1], 0x40
	s_load_dwordx2 s[18:19], s[0:1], 0x58
	;; [unrolled: 1-line block ×3, first 2 shown]
	s_load_dword s13, s[0:1], 0x18
	v_subrev_co_u32_e32 v0, vcc, s12, v2
	s_load_dwordx2 s[10:11], s[0:1], 0x68
	s_cselect_b64 s[4:5], -1, 0
	s_xor_b64 s[2:3], s[6:7], s[2:3]
	v_subbrev_co_u32_e32 v1, vcc, 0, v3, vcc
	s_and_b64 s[2:3], s[2:3], exec
	v_subrev_co_u32_e32 v2, vcc, s12, v4
	v_cndmask_b32_e64 v9, 0, 1, s[6:7]
	s_cselect_b32 s7, s9, 0
	s_cselect_b32 s6, s8, 1
	v_subbrev_co_u32_e32 v3, vcc, 0, v5, vcc
	v_mul_lo_u32 v5, s21, v12
	v_mul_lo_u32 v4, s20, v12
	v_lshlrev_b64 v[6:7], 2, v[6:7]
	v_lshlrev_b32_e32 v13, 3, v8
	v_lshl_add_u64 v[4:5], v[4:5], 2, v[6:7]
	v_mul_lo_u32 v7, s7, v12
	v_mul_lo_u32 v6, s6, v12
	v_cndmask_b32_e64 v8, 0, 1, s[4:5]
	s_waitcnt lgkmcnt(0)
	v_cmp_gt_i32_e64 s[0:1], s13, v12
	v_lshl_or_b32 v14, v12, 2, v13
	v_cmp_eq_u32_e64 s[2:3], 0, v12
	v_lshl_add_u64 v[4:5], s[24:25], 0, v[4:5]
	s_lshl_b64 s[20:21], s[20:21], 3
	v_lshl_add_u64 v[6:7], v[6:7], 2, s[22:23]
	s_lshl_b64 s[22:23], s[6:7], 3
	s_mov_b64 s[24:25], 0
	v_cmp_ne_u32_e64 s[4:5], 1, v8
	v_cmp_ne_u32_e64 s[6:7], 1, v9
	s_branch .LBB103_16
.LBB103_15:                             ;   in Loop: Header=BB103_16 Depth=1
	s_or_b64 exec, exec, s[26:27]
	v_lshl_add_u64 v[0:1], v[0:1], 0, 1
	v_cmp_ge_i64_e32 vcc, v[0:1], v[2:3]
	s_or_b64 s[24:25], vcc, s[24:25]
	s_andn2_b64 exec, exec, s[24:25]
	s_cbranch_execz .LBB103_32
.LBB103_16:                             ; =>This Loop Header: Depth=1
                                        ;     Child Loop BB103_26 Depth 2
	v_lshl_add_u64 v[8:9], v[0:1], 2, s[10:11]
	global_load_dword v8, v[8:9], off
	s_mov_b64 s[26:27], -1
	s_and_b64 vcc, exec, s[16:17]
                                        ; implicit-def: $vgpr10_vgpr11
	s_waitcnt vmcnt(0)
	v_subrev_u32_e32 v8, s12, v8
	v_ashrrev_i32_e32 v9, 31, v8
	s_cbranch_vccnz .LBB103_19
; %bb.17:                               ;   in Loop: Header=BB103_16 Depth=1
	s_andn2_b64 vcc, exec, s[26:27]
	s_cbranch_vccz .LBB103_22
.LBB103_18:                             ;   in Loop: Header=BB103_16 Depth=1
	v_mov_b32_e32 v15, 0
	s_and_saveexec_b64 s[26:27], s[0:1]
	s_cbranch_execnz .LBB103_25
	s_branch .LBB103_28
.LBB103_19:                             ;   in Loop: Header=BB103_16 Depth=1
	s_and_b64 vcc, exec, s[4:5]
	v_mov_b64_e32 v[10:11], v[8:9]
	s_cbranch_vccnz .LBB103_21
; %bb.20:                               ;   in Loop: Header=BB103_16 Depth=1
	v_mul_lo_u32 v15, s9, v8
	v_mul_lo_u32 v16, s8, v9
	v_mad_u64_u32 v[10:11], s[26:27], s8, v8, 0
	v_add3_u32 v11, v11, v16, v15
.LBB103_21:                             ;   in Loop: Header=BB103_16 Depth=1
	s_cbranch_execnz .LBB103_18
.LBB103_22:                             ;   in Loop: Header=BB103_16 Depth=1
	s_and_b64 vcc, exec, s[6:7]
	s_cbranch_vccnz .LBB103_24
; %bb.23:                               ;   in Loop: Header=BB103_16 Depth=1
	v_mul_lo_u32 v10, s9, v8
	v_mul_lo_u32 v11, s8, v9
	v_mad_u64_u32 v[8:9], s[26:27], s8, v8, 0
	v_add3_u32 v9, v9, v11, v10
.LBB103_24:                             ;   in Loop: Header=BB103_16 Depth=1
	v_mov_b64_e32 v[10:11], v[8:9]
	v_mov_b32_e32 v15, 0
	s_and_saveexec_b64 s[26:27], s[0:1]
	s_cbranch_execz .LBB103_28
.LBB103_25:                             ;   in Loop: Header=BB103_16 Depth=1
	v_lshl_add_u64 v[8:9], v[10:11], 2, v[6:7]
	v_mov_b32_e32 v15, 0
	s_mov_b64 s[28:29], 0
	v_mov_b64_e32 v[10:11], v[4:5]
	v_mov_b32_e32 v16, v12
.LBB103_26:                             ;   Parent Loop BB103_16 Depth=1
                                        ; =>  This Inner Loop Header: Depth=2
	global_load_dword v17, v[10:11], off
	global_load_dword v18, v[8:9], off
	v_add_u32_e32 v16, 2, v16
	v_cmp_le_i32_e32 vcc, s13, v16
	v_lshl_add_u64 v[10:11], v[10:11], 0, s[20:21]
	v_lshl_add_u64 v[8:9], v[8:9], 0, s[22:23]
	s_or_b64 s[28:29], vcc, s[28:29]
	s_waitcnt vmcnt(0)
	v_fmac_f32_e32 v15, v17, v18
	s_andn2_b64 exec, exec, s[28:29]
	s_cbranch_execnz .LBB103_26
; %bb.27:                               ;   in Loop: Header=BB103_16 Depth=1
	s_or_b64 exec, exec, s[28:29]
.LBB103_28:                             ;   in Loop: Header=BB103_16 Depth=1
	s_or_b64 exec, exec, s[26:27]
	ds_write_b32 v14, v15
	s_waitcnt lgkmcnt(0)
	s_barrier
	s_and_saveexec_b64 s[26:27], s[2:3]
	s_cbranch_execz .LBB103_30
; %bb.29:                               ;   in Loop: Header=BB103_16 Depth=1
	ds_read_b32 v8, v13 offset:4
	ds_read_b32 v9, v14
	s_waitcnt lgkmcnt(0)
	v_add_f32_e32 v8, v8, v9
	ds_write_b32 v14, v8
.LBB103_30:                             ;   in Loop: Header=BB103_16 Depth=1
	s_or_b64 exec, exec, s[26:27]
	s_waitcnt lgkmcnt(0)
	s_barrier
	s_and_saveexec_b64 s[26:27], s[2:3]
	s_cbranch_execz .LBB103_15
; %bb.31:                               ;   in Loop: Header=BB103_16 Depth=1
	v_lshl_add_u64 v[8:9], v[0:1], 2, s[18:19]
	global_load_dword v10, v[8:9], off
	ds_read_b32 v11, v13
	s_waitcnt vmcnt(0) lgkmcnt(0)
	v_pk_mul_f32 v[10:11], s[14:15], v[10:11]
	s_nop 0
	v_add_f32_e32 v10, v10, v11
	global_store_dword v[8:9], v10, off
	s_branch .LBB103_15
.LBB103_32:
	s_endpgm
	.section	.rodata,"a",@progbits
	.p2align	6, 0x0
	.amdhsa_kernel _ZN9rocsparseL16sddmm_csx_kernelILi512ELi2EL20rocsparse_direction_0EflifffEEv20rocsparse_operation_S2_16rocsparse_order_S3_T4_S4_S4_T3_NS_24const_host_device_scalarIT2_EEPKT5_lPKT6_lS8_PT7_PKS5_PKS4_21rocsparse_index_base_b
		.amdhsa_group_segment_fixed_size 2048
		.amdhsa_private_segment_fixed_size 0
		.amdhsa_kernarg_size 120
		.amdhsa_user_sgpr_count 2
		.amdhsa_user_sgpr_dispatch_ptr 0
		.amdhsa_user_sgpr_queue_ptr 0
		.amdhsa_user_sgpr_kernarg_segment_ptr 1
		.amdhsa_user_sgpr_dispatch_id 0
		.amdhsa_user_sgpr_kernarg_preload_length 0
		.amdhsa_user_sgpr_kernarg_preload_offset 0
		.amdhsa_user_sgpr_private_segment_size 0
		.amdhsa_uses_dynamic_stack 0
		.amdhsa_enable_private_segment 0
		.amdhsa_system_sgpr_workgroup_id_x 1
		.amdhsa_system_sgpr_workgroup_id_y 0
		.amdhsa_system_sgpr_workgroup_id_z 0
		.amdhsa_system_sgpr_workgroup_info 0
		.amdhsa_system_vgpr_workitem_id 0
		.amdhsa_next_free_vgpr 19
		.amdhsa_next_free_sgpr 30
		.amdhsa_accum_offset 20
		.amdhsa_reserve_vcc 1
		.amdhsa_float_round_mode_32 0
		.amdhsa_float_round_mode_16_64 0
		.amdhsa_float_denorm_mode_32 3
		.amdhsa_float_denorm_mode_16_64 3
		.amdhsa_dx10_clamp 1
		.amdhsa_ieee_mode 1
		.amdhsa_fp16_overflow 0
		.amdhsa_tg_split 0
		.amdhsa_exception_fp_ieee_invalid_op 0
		.amdhsa_exception_fp_denorm_src 0
		.amdhsa_exception_fp_ieee_div_zero 0
		.amdhsa_exception_fp_ieee_overflow 0
		.amdhsa_exception_fp_ieee_underflow 0
		.amdhsa_exception_fp_ieee_inexact 0
		.amdhsa_exception_int_div_zero 0
	.end_amdhsa_kernel
	.section	.text._ZN9rocsparseL16sddmm_csx_kernelILi512ELi2EL20rocsparse_direction_0EflifffEEv20rocsparse_operation_S2_16rocsparse_order_S3_T4_S4_S4_T3_NS_24const_host_device_scalarIT2_EEPKT5_lPKT6_lS8_PT7_PKS5_PKS4_21rocsparse_index_base_b,"axG",@progbits,_ZN9rocsparseL16sddmm_csx_kernelILi512ELi2EL20rocsparse_direction_0EflifffEEv20rocsparse_operation_S2_16rocsparse_order_S3_T4_S4_S4_T3_NS_24const_host_device_scalarIT2_EEPKT5_lPKT6_lS8_PT7_PKS5_PKS4_21rocsparse_index_base_b,comdat
.Lfunc_end103:
	.size	_ZN9rocsparseL16sddmm_csx_kernelILi512ELi2EL20rocsparse_direction_0EflifffEEv20rocsparse_operation_S2_16rocsparse_order_S3_T4_S4_S4_T3_NS_24const_host_device_scalarIT2_EEPKT5_lPKT6_lS8_PT7_PKS5_PKS4_21rocsparse_index_base_b, .Lfunc_end103-_ZN9rocsparseL16sddmm_csx_kernelILi512ELi2EL20rocsparse_direction_0EflifffEEv20rocsparse_operation_S2_16rocsparse_order_S3_T4_S4_S4_T3_NS_24const_host_device_scalarIT2_EEPKT5_lPKT6_lS8_PT7_PKS5_PKS4_21rocsparse_index_base_b
                                        ; -- End function
	.set _ZN9rocsparseL16sddmm_csx_kernelILi512ELi2EL20rocsparse_direction_0EflifffEEv20rocsparse_operation_S2_16rocsparse_order_S3_T4_S4_S4_T3_NS_24const_host_device_scalarIT2_EEPKT5_lPKT6_lS8_PT7_PKS5_PKS4_21rocsparse_index_base_b.num_vgpr, 19
	.set _ZN9rocsparseL16sddmm_csx_kernelILi512ELi2EL20rocsparse_direction_0EflifffEEv20rocsparse_operation_S2_16rocsparse_order_S3_T4_S4_S4_T3_NS_24const_host_device_scalarIT2_EEPKT5_lPKT6_lS8_PT7_PKS5_PKS4_21rocsparse_index_base_b.num_agpr, 0
	.set _ZN9rocsparseL16sddmm_csx_kernelILi512ELi2EL20rocsparse_direction_0EflifffEEv20rocsparse_operation_S2_16rocsparse_order_S3_T4_S4_S4_T3_NS_24const_host_device_scalarIT2_EEPKT5_lPKT6_lS8_PT7_PKS5_PKS4_21rocsparse_index_base_b.numbered_sgpr, 30
	.set _ZN9rocsparseL16sddmm_csx_kernelILi512ELi2EL20rocsparse_direction_0EflifffEEv20rocsparse_operation_S2_16rocsparse_order_S3_T4_S4_S4_T3_NS_24const_host_device_scalarIT2_EEPKT5_lPKT6_lS8_PT7_PKS5_PKS4_21rocsparse_index_base_b.num_named_barrier, 0
	.set _ZN9rocsparseL16sddmm_csx_kernelILi512ELi2EL20rocsparse_direction_0EflifffEEv20rocsparse_operation_S2_16rocsparse_order_S3_T4_S4_S4_T3_NS_24const_host_device_scalarIT2_EEPKT5_lPKT6_lS8_PT7_PKS5_PKS4_21rocsparse_index_base_b.private_seg_size, 0
	.set _ZN9rocsparseL16sddmm_csx_kernelILi512ELi2EL20rocsparse_direction_0EflifffEEv20rocsparse_operation_S2_16rocsparse_order_S3_T4_S4_S4_T3_NS_24const_host_device_scalarIT2_EEPKT5_lPKT6_lS8_PT7_PKS5_PKS4_21rocsparse_index_base_b.uses_vcc, 1
	.set _ZN9rocsparseL16sddmm_csx_kernelILi512ELi2EL20rocsparse_direction_0EflifffEEv20rocsparse_operation_S2_16rocsparse_order_S3_T4_S4_S4_T3_NS_24const_host_device_scalarIT2_EEPKT5_lPKT6_lS8_PT7_PKS5_PKS4_21rocsparse_index_base_b.uses_flat_scratch, 0
	.set _ZN9rocsparseL16sddmm_csx_kernelILi512ELi2EL20rocsparse_direction_0EflifffEEv20rocsparse_operation_S2_16rocsparse_order_S3_T4_S4_S4_T3_NS_24const_host_device_scalarIT2_EEPKT5_lPKT6_lS8_PT7_PKS5_PKS4_21rocsparse_index_base_b.has_dyn_sized_stack, 0
	.set _ZN9rocsparseL16sddmm_csx_kernelILi512ELi2EL20rocsparse_direction_0EflifffEEv20rocsparse_operation_S2_16rocsparse_order_S3_T4_S4_S4_T3_NS_24const_host_device_scalarIT2_EEPKT5_lPKT6_lS8_PT7_PKS5_PKS4_21rocsparse_index_base_b.has_recursion, 0
	.set _ZN9rocsparseL16sddmm_csx_kernelILi512ELi2EL20rocsparse_direction_0EflifffEEv20rocsparse_operation_S2_16rocsparse_order_S3_T4_S4_S4_T3_NS_24const_host_device_scalarIT2_EEPKT5_lPKT6_lS8_PT7_PKS5_PKS4_21rocsparse_index_base_b.has_indirect_call, 0
	.section	.AMDGPU.csdata,"",@progbits
; Kernel info:
; codeLenInByte = 1020
; TotalNumSgprs: 36
; NumVgprs: 19
; NumAgprs: 0
; TotalNumVgprs: 19
; ScratchSize: 0
; MemoryBound: 0
; FloatMode: 240
; IeeeMode: 1
; LDSByteSize: 2048 bytes/workgroup (compile time only)
; SGPRBlocks: 4
; VGPRBlocks: 2
; NumSGPRsForWavesPerEU: 36
; NumVGPRsForWavesPerEU: 19
; AccumOffset: 20
; Occupancy: 8
; WaveLimiterHint : 0
; COMPUTE_PGM_RSRC2:SCRATCH_EN: 0
; COMPUTE_PGM_RSRC2:USER_SGPR: 2
; COMPUTE_PGM_RSRC2:TRAP_HANDLER: 0
; COMPUTE_PGM_RSRC2:TGID_X_EN: 1
; COMPUTE_PGM_RSRC2:TGID_Y_EN: 0
; COMPUTE_PGM_RSRC2:TGID_Z_EN: 0
; COMPUTE_PGM_RSRC2:TIDIG_COMP_CNT: 0
; COMPUTE_PGM_RSRC3_GFX90A:ACCUM_OFFSET: 4
; COMPUTE_PGM_RSRC3_GFX90A:TG_SPLIT: 0
	.section	.text._ZN9rocsparseL16sddmm_csx_kernelILi512ELi1EL20rocsparse_direction_0EflifffEEv20rocsparse_operation_S2_16rocsparse_order_S3_T4_S4_S4_T3_NS_24const_host_device_scalarIT2_EEPKT5_lPKT6_lS8_PT7_PKS5_PKS4_21rocsparse_index_base_b,"axG",@progbits,_ZN9rocsparseL16sddmm_csx_kernelILi512ELi1EL20rocsparse_direction_0EflifffEEv20rocsparse_operation_S2_16rocsparse_order_S3_T4_S4_S4_T3_NS_24const_host_device_scalarIT2_EEPKT5_lPKT6_lS8_PT7_PKS5_PKS4_21rocsparse_index_base_b,comdat
	.globl	_ZN9rocsparseL16sddmm_csx_kernelILi512ELi1EL20rocsparse_direction_0EflifffEEv20rocsparse_operation_S2_16rocsparse_order_S3_T4_S4_S4_T3_NS_24const_host_device_scalarIT2_EEPKT5_lPKT6_lS8_PT7_PKS5_PKS4_21rocsparse_index_base_b ; -- Begin function _ZN9rocsparseL16sddmm_csx_kernelILi512ELi1EL20rocsparse_direction_0EflifffEEv20rocsparse_operation_S2_16rocsparse_order_S3_T4_S4_S4_T3_NS_24const_host_device_scalarIT2_EEPKT5_lPKT6_lS8_PT7_PKS5_PKS4_21rocsparse_index_base_b
	.p2align	8
	.type	_ZN9rocsparseL16sddmm_csx_kernelILi512ELi1EL20rocsparse_direction_0EflifffEEv20rocsparse_operation_S2_16rocsparse_order_S3_T4_S4_S4_T3_NS_24const_host_device_scalarIT2_EEPKT5_lPKT6_lS8_PT7_PKS5_PKS4_21rocsparse_index_base_b,@function
_ZN9rocsparseL16sddmm_csx_kernelILi512ELi1EL20rocsparse_direction_0EflifffEEv20rocsparse_operation_S2_16rocsparse_order_S3_T4_S4_S4_T3_NS_24const_host_device_scalarIT2_EEPKT5_lPKT6_lS8_PT7_PKS5_PKS4_21rocsparse_index_base_b: ; @_ZN9rocsparseL16sddmm_csx_kernelILi512ELi1EL20rocsparse_direction_0EflifffEEv20rocsparse_operation_S2_16rocsparse_order_S3_T4_S4_S4_T3_NS_24const_host_device_scalarIT2_EEPKT5_lPKT6_lS8_PT7_PKS5_PKS4_21rocsparse_index_base_b
; %bb.0:
	s_load_dwordx2 s[12:13], s[0:1], 0x70
	s_load_dwordx2 s[6:7], s[0:1], 0x28
	s_load_dwordx4 s[8:11], s[0:1], 0x48
	s_waitcnt lgkmcnt(0)
	s_bitcmp1_b32 s13, 0
	s_cselect_b64 s[14:15], -1, 0
	s_xor_b64 s[4:5], s[14:15], -1
	s_and_b64 vcc, exec, s[14:15]
	s_mov_b32 s15, s6
	s_cbranch_vccnz .LBB104_2
; %bb.1:
	s_load_dword s15, s[6:7], 0x0
.LBB104_2:
	s_andn2_b64 vcc, exec, s[4:5]
	s_mov_b32 s14, s10
	s_cbranch_vccnz .LBB104_4
; %bb.3:
	s_load_dword s14, s[10:11], 0x0
.LBB104_4:
	s_waitcnt lgkmcnt(0)
	v_cmp_eq_f32_e64 s[4:5], s15, 0
	v_cmp_eq_f32_e64 s[6:7], s14, 1.0
	s_and_b64 s[4:5], s[4:5], s[6:7]
	s_and_b64 vcc, exec, s[4:5]
	s_cbranch_vccnz .LBB104_28
; %bb.5:
	s_load_dword s4, s[0:1], 0x10
	v_lshl_or_b32 v2, s2, 9, v0
	v_mov_b32_e32 v3, 0
	s_waitcnt lgkmcnt(0)
	s_ashr_i32 s5, s4, 31
	v_cmp_gt_i64_e32 vcc, s[4:5], v[2:3]
	s_and_saveexec_b64 s[2:3], vcc
	s_cbranch_execz .LBB104_28
; %bb.6:
	s_load_dwordx4 s[4:7], s[0:1], 0x0
	s_load_dwordx2 s[10:11], s[0:1], 0x60
	s_load_dwordx2 s[2:3], s[0:1], 0x38
	s_waitcnt lgkmcnt(0)
	s_cmp_eq_u32 s6, 1
	s_cselect_b64 s[20:21], -1, 0
	s_cmpk_eq_i32 s4, 0x6f
	s_cselect_b64 s[22:23], -1, 0
	s_cmpk_lg_i32 s4, 0x6f
	s_cselect_b64 s[16:17], -1, 0
	s_cmp_lg_u32 s6, 1
	s_cbranch_scc0 .LBB104_10
; %bb.7:
	s_andn2_b64 vcc, exec, s[22:23]
	v_mov_b64_e32 v[6:7], v[2:3]
	s_cbranch_vccnz .LBB104_9
; %bb.8:
	v_mad_u64_u32 v[6:7], s[18:19], s2, v2, 0
	v_mov_b32_e32 v4, v7
	v_mad_u64_u32 v[4:5], s[18:19], s3, v2, v[4:5]
	v_mov_b32_e32 v7, v4
.LBB104_9:
	s_cbranch_execz .LBB104_11
	s_branch .LBB104_13
.LBB104_10:
                                        ; implicit-def: $vgpr6_vgpr7
.LBB104_11:
	s_andn2_b64 vcc, exec, s[16:17]
	v_mov_b64_e32 v[6:7], v[2:3]
	s_cbranch_vccnz .LBB104_13
; %bb.12:
	v_mad_u64_u32 v[6:7], s[16:17], s2, v2, 0
	v_mov_b32_e32 v4, v7
	v_mad_u64_u32 v[4:5], s[16:17], s3, v2, v[4:5]
	v_mov_b32_e32 v7, v4
.LBB104_13:
	v_lshl_add_u64 v[2:3], v[2:3], 3, s[10:11]
	global_load_dwordx4 v[2:5], v[2:3], off
	s_waitcnt vmcnt(0)
	v_cmp_lt_i64_e32 vcc, v[2:3], v[4:5]
	s_and_b64 exec, exec, vcc
	s_cbranch_execz .LBB104_28
; %bb.14:
	s_load_dwordx2 s[24:25], s[0:1], 0x30
	s_load_dwordx2 s[10:11], s[0:1], 0x68
	;; [unrolled: 1-line block ×4, first 2 shown]
	s_load_dword s13, s[0:1], 0x18
	s_xor_b64 s[0:1], s[22:23], s[20:21]
	s_and_b64 s[0:1], s[0:1], exec
	s_cselect_b32 s1, 0, s3
	s_cselect_b32 s0, 1, s2
	s_cmp_lg_u32 s7, 1
	s_cselect_b64 s[20:21], -1, 0
	s_cmp_eq_u32 s7, 1
	s_cselect_b64 s[2:3], -1, 0
	s_cmpk_eq_i32 s5, 0x6f
	s_cselect_b64 s[6:7], -1, 0
	s_cmpk_lg_i32 s5, 0x6f
	s_cselect_b64 s[4:5], -1, 0
	s_xor_b64 s[2:3], s[6:7], s[2:3]
	s_and_b64 s[2:3], s[2:3], exec
	v_subrev_co_u32_e32 v2, vcc, s12, v2
	s_cselect_b32 s3, s9, 0
	s_cselect_b32 s2, s8, 1
	v_subbrev_co_u32_e32 v3, vcc, 0, v3, vcc
	s_waitcnt lgkmcnt(0)
	s_cmp_gt_i32 s13, 0
	s_cselect_b64 s[26:27], -1, 0
	v_lshlrev_b32_e32 v10, 2, v0
	v_subrev_co_u32_e32 v0, vcc, s12, v4
	v_cndmask_b32_e64 v4, 0, 1, s[4:5]
	v_cndmask_b32_e64 v8, 0, 1, s[6:7]
	s_lshl_b64 s[6:7], s[0:1], 2
	v_cmp_ne_u32_e64 s[0:1], 1, v4
	v_cndmask_b32_e64 v4, 0, 1, s[26:27]
	v_lshl_add_u64 v[6:7], v[6:7], 2, s[24:25]
	v_subbrev_co_u32_e32 v1, vcc, 0, v5, vcc
	s_lshl_b64 s[22:23], s[2:3], 2
	s_mov_b64 s[24:25], 0
	v_cmp_ne_u32_e64 s[2:3], 1, v8
	v_cmp_ne_u32_e64 s[4:5], 1, v4
	s_branch .LBB104_17
.LBB104_15:                             ;   in Loop: Header=BB104_17 Depth=1
	v_mov_b32_e32 v11, 0
.LBB104_16:                             ;   in Loop: Header=BB104_17 Depth=1
	v_lshl_add_u64 v[4:5], v[2:3], 2, s[18:19]
	ds_write_b32 v10, v11
	s_waitcnt lgkmcnt(0)
	s_barrier
	global_load_dword v8, v[4:5], off
	ds_read_b32 v9, v10
	v_lshl_add_u64 v[2:3], v[2:3], 0, 1
	v_cmp_ge_i64_e32 vcc, v[2:3], v[0:1]
	s_or_b64 s[24:25], vcc, s[24:25]
	s_waitcnt vmcnt(0) lgkmcnt(0)
	v_pk_mul_f32 v[8:9], s[14:15], v[8:9]
	s_nop 0
	v_add_f32_e32 v8, v8, v9
	global_store_dword v[4:5], v8, off
	s_andn2_b64 exec, exec, s[24:25]
	s_cbranch_execz .LBB104_28
.LBB104_17:                             ; =>This Loop Header: Depth=1
                                        ;     Child Loop BB104_27 Depth 2
	v_lshl_add_u64 v[4:5], v[2:3], 2, s[10:11]
	global_load_dword v4, v[4:5], off
	s_mov_b64 s[26:27], -1
	s_and_b64 vcc, exec, s[20:21]
                                        ; implicit-def: $vgpr8_vgpr9
	s_waitcnt vmcnt(0)
	v_subrev_u32_e32 v4, s12, v4
	v_ashrrev_i32_e32 v5, 31, v4
	s_cbranch_vccnz .LBB104_20
; %bb.18:                               ;   in Loop: Header=BB104_17 Depth=1
	s_andn2_b64 vcc, exec, s[26:27]
	s_cbranch_vccz .LBB104_23
.LBB104_19:                             ;   in Loop: Header=BB104_17 Depth=1
	s_and_b64 vcc, exec, s[4:5]
	s_cbranch_vccz .LBB104_26
	s_branch .LBB104_15
.LBB104_20:                             ;   in Loop: Header=BB104_17 Depth=1
	s_and_b64 vcc, exec, s[0:1]
	v_mov_b64_e32 v[8:9], v[4:5]
	s_cbranch_vccnz .LBB104_22
; %bb.21:                               ;   in Loop: Header=BB104_17 Depth=1
	v_mul_lo_u32 v11, s9, v4
	v_mul_lo_u32 v12, s8, v5
	v_mad_u64_u32 v[8:9], s[26:27], s8, v4, 0
	v_add3_u32 v9, v9, v12, v11
.LBB104_22:                             ;   in Loop: Header=BB104_17 Depth=1
	s_cbranch_execnz .LBB104_19
.LBB104_23:                             ;   in Loop: Header=BB104_17 Depth=1
	s_and_b64 vcc, exec, s[2:3]
	s_cbranch_vccnz .LBB104_25
; %bb.24:                               ;   in Loop: Header=BB104_17 Depth=1
	v_mul_lo_u32 v8, s9, v4
	v_mul_lo_u32 v9, s8, v5
	v_mad_u64_u32 v[4:5], s[26:27], s8, v4, 0
	v_add3_u32 v5, v5, v9, v8
.LBB104_25:                             ;   in Loop: Header=BB104_17 Depth=1
	v_mov_b64_e32 v[8:9], v[4:5]
	s_and_b64 vcc, exec, s[4:5]
	s_cbranch_vccnz .LBB104_15
.LBB104_26:                             ;   in Loop: Header=BB104_17 Depth=1
	v_lshl_add_u64 v[4:5], v[8:9], 2, s[16:17]
	v_mov_b32_e32 v11, 0
	v_mov_b64_e32 v[8:9], v[6:7]
	s_mov_b32 s26, s13
.LBB104_27:                             ;   Parent Loop BB104_17 Depth=1
                                        ; =>  This Inner Loop Header: Depth=2
	global_load_dword v12, v[8:9], off
	global_load_dword v13, v[4:5], off
	s_add_i32 s26, s26, -1
	v_lshl_add_u64 v[8:9], v[8:9], 0, s[6:7]
	v_lshl_add_u64 v[4:5], v[4:5], 0, s[22:23]
	s_cmp_eq_u32 s26, 0
	s_waitcnt vmcnt(0)
	v_fmac_f32_e32 v11, v12, v13
	s_cbranch_scc0 .LBB104_27
	s_branch .LBB104_16
.LBB104_28:
	s_endpgm
	.section	.rodata,"a",@progbits
	.p2align	6, 0x0
	.amdhsa_kernel _ZN9rocsparseL16sddmm_csx_kernelILi512ELi1EL20rocsparse_direction_0EflifffEEv20rocsparse_operation_S2_16rocsparse_order_S3_T4_S4_S4_T3_NS_24const_host_device_scalarIT2_EEPKT5_lPKT6_lS8_PT7_PKS5_PKS4_21rocsparse_index_base_b
		.amdhsa_group_segment_fixed_size 2048
		.amdhsa_private_segment_fixed_size 0
		.amdhsa_kernarg_size 120
		.amdhsa_user_sgpr_count 2
		.amdhsa_user_sgpr_dispatch_ptr 0
		.amdhsa_user_sgpr_queue_ptr 0
		.amdhsa_user_sgpr_kernarg_segment_ptr 1
		.amdhsa_user_sgpr_dispatch_id 0
		.amdhsa_user_sgpr_kernarg_preload_length 0
		.amdhsa_user_sgpr_kernarg_preload_offset 0
		.amdhsa_user_sgpr_private_segment_size 0
		.amdhsa_uses_dynamic_stack 0
		.amdhsa_enable_private_segment 0
		.amdhsa_system_sgpr_workgroup_id_x 1
		.amdhsa_system_sgpr_workgroup_id_y 0
		.amdhsa_system_sgpr_workgroup_id_z 0
		.amdhsa_system_sgpr_workgroup_info 0
		.amdhsa_system_vgpr_workitem_id 0
		.amdhsa_next_free_vgpr 14
		.amdhsa_next_free_sgpr 28
		.amdhsa_accum_offset 16
		.amdhsa_reserve_vcc 1
		.amdhsa_float_round_mode_32 0
		.amdhsa_float_round_mode_16_64 0
		.amdhsa_float_denorm_mode_32 3
		.amdhsa_float_denorm_mode_16_64 3
		.amdhsa_dx10_clamp 1
		.amdhsa_ieee_mode 1
		.amdhsa_fp16_overflow 0
		.amdhsa_tg_split 0
		.amdhsa_exception_fp_ieee_invalid_op 0
		.amdhsa_exception_fp_denorm_src 0
		.amdhsa_exception_fp_ieee_div_zero 0
		.amdhsa_exception_fp_ieee_overflow 0
		.amdhsa_exception_fp_ieee_underflow 0
		.amdhsa_exception_fp_ieee_inexact 0
		.amdhsa_exception_int_div_zero 0
	.end_amdhsa_kernel
	.section	.text._ZN9rocsparseL16sddmm_csx_kernelILi512ELi1EL20rocsparse_direction_0EflifffEEv20rocsparse_operation_S2_16rocsparse_order_S3_T4_S4_S4_T3_NS_24const_host_device_scalarIT2_EEPKT5_lPKT6_lS8_PT7_PKS5_PKS4_21rocsparse_index_base_b,"axG",@progbits,_ZN9rocsparseL16sddmm_csx_kernelILi512ELi1EL20rocsparse_direction_0EflifffEEv20rocsparse_operation_S2_16rocsparse_order_S3_T4_S4_S4_T3_NS_24const_host_device_scalarIT2_EEPKT5_lPKT6_lS8_PT7_PKS5_PKS4_21rocsparse_index_base_b,comdat
.Lfunc_end104:
	.size	_ZN9rocsparseL16sddmm_csx_kernelILi512ELi1EL20rocsparse_direction_0EflifffEEv20rocsparse_operation_S2_16rocsparse_order_S3_T4_S4_S4_T3_NS_24const_host_device_scalarIT2_EEPKT5_lPKT6_lS8_PT7_PKS5_PKS4_21rocsparse_index_base_b, .Lfunc_end104-_ZN9rocsparseL16sddmm_csx_kernelILi512ELi1EL20rocsparse_direction_0EflifffEEv20rocsparse_operation_S2_16rocsparse_order_S3_T4_S4_S4_T3_NS_24const_host_device_scalarIT2_EEPKT5_lPKT6_lS8_PT7_PKS5_PKS4_21rocsparse_index_base_b
                                        ; -- End function
	.set _ZN9rocsparseL16sddmm_csx_kernelILi512ELi1EL20rocsparse_direction_0EflifffEEv20rocsparse_operation_S2_16rocsparse_order_S3_T4_S4_S4_T3_NS_24const_host_device_scalarIT2_EEPKT5_lPKT6_lS8_PT7_PKS5_PKS4_21rocsparse_index_base_b.num_vgpr, 14
	.set _ZN9rocsparseL16sddmm_csx_kernelILi512ELi1EL20rocsparse_direction_0EflifffEEv20rocsparse_operation_S2_16rocsparse_order_S3_T4_S4_S4_T3_NS_24const_host_device_scalarIT2_EEPKT5_lPKT6_lS8_PT7_PKS5_PKS4_21rocsparse_index_base_b.num_agpr, 0
	.set _ZN9rocsparseL16sddmm_csx_kernelILi512ELi1EL20rocsparse_direction_0EflifffEEv20rocsparse_operation_S2_16rocsparse_order_S3_T4_S4_S4_T3_NS_24const_host_device_scalarIT2_EEPKT5_lPKT6_lS8_PT7_PKS5_PKS4_21rocsparse_index_base_b.numbered_sgpr, 28
	.set _ZN9rocsparseL16sddmm_csx_kernelILi512ELi1EL20rocsparse_direction_0EflifffEEv20rocsparse_operation_S2_16rocsparse_order_S3_T4_S4_S4_T3_NS_24const_host_device_scalarIT2_EEPKT5_lPKT6_lS8_PT7_PKS5_PKS4_21rocsparse_index_base_b.num_named_barrier, 0
	.set _ZN9rocsparseL16sddmm_csx_kernelILi512ELi1EL20rocsparse_direction_0EflifffEEv20rocsparse_operation_S2_16rocsparse_order_S3_T4_S4_S4_T3_NS_24const_host_device_scalarIT2_EEPKT5_lPKT6_lS8_PT7_PKS5_PKS4_21rocsparse_index_base_b.private_seg_size, 0
	.set _ZN9rocsparseL16sddmm_csx_kernelILi512ELi1EL20rocsparse_direction_0EflifffEEv20rocsparse_operation_S2_16rocsparse_order_S3_T4_S4_S4_T3_NS_24const_host_device_scalarIT2_EEPKT5_lPKT6_lS8_PT7_PKS5_PKS4_21rocsparse_index_base_b.uses_vcc, 1
	.set _ZN9rocsparseL16sddmm_csx_kernelILi512ELi1EL20rocsparse_direction_0EflifffEEv20rocsparse_operation_S2_16rocsparse_order_S3_T4_S4_S4_T3_NS_24const_host_device_scalarIT2_EEPKT5_lPKT6_lS8_PT7_PKS5_PKS4_21rocsparse_index_base_b.uses_flat_scratch, 0
	.set _ZN9rocsparseL16sddmm_csx_kernelILi512ELi1EL20rocsparse_direction_0EflifffEEv20rocsparse_operation_S2_16rocsparse_order_S3_T4_S4_S4_T3_NS_24const_host_device_scalarIT2_EEPKT5_lPKT6_lS8_PT7_PKS5_PKS4_21rocsparse_index_base_b.has_dyn_sized_stack, 0
	.set _ZN9rocsparseL16sddmm_csx_kernelILi512ELi1EL20rocsparse_direction_0EflifffEEv20rocsparse_operation_S2_16rocsparse_order_S3_T4_S4_S4_T3_NS_24const_host_device_scalarIT2_EEPKT5_lPKT6_lS8_PT7_PKS5_PKS4_21rocsparse_index_base_b.has_recursion, 0
	.set _ZN9rocsparseL16sddmm_csx_kernelILi512ELi1EL20rocsparse_direction_0EflifffEEv20rocsparse_operation_S2_16rocsparse_order_S3_T4_S4_S4_T3_NS_24const_host_device_scalarIT2_EEPKT5_lPKT6_lS8_PT7_PKS5_PKS4_21rocsparse_index_base_b.has_indirect_call, 0
	.section	.AMDGPU.csdata,"",@progbits
; Kernel info:
; codeLenInByte = 868
; TotalNumSgprs: 34
; NumVgprs: 14
; NumAgprs: 0
; TotalNumVgprs: 14
; ScratchSize: 0
; MemoryBound: 0
; FloatMode: 240
; IeeeMode: 1
; LDSByteSize: 2048 bytes/workgroup (compile time only)
; SGPRBlocks: 4
; VGPRBlocks: 1
; NumSGPRsForWavesPerEU: 34
; NumVGPRsForWavesPerEU: 14
; AccumOffset: 16
; Occupancy: 8
; WaveLimiterHint : 0
; COMPUTE_PGM_RSRC2:SCRATCH_EN: 0
; COMPUTE_PGM_RSRC2:USER_SGPR: 2
; COMPUTE_PGM_RSRC2:TRAP_HANDLER: 0
; COMPUTE_PGM_RSRC2:TGID_X_EN: 1
; COMPUTE_PGM_RSRC2:TGID_Y_EN: 0
; COMPUTE_PGM_RSRC2:TGID_Z_EN: 0
; COMPUTE_PGM_RSRC2:TIDIG_COMP_CNT: 0
; COMPUTE_PGM_RSRC3_GFX90A:ACCUM_OFFSET: 3
; COMPUTE_PGM_RSRC3_GFX90A:TG_SPLIT: 0
	.section	.text._ZN9rocsparseL16csr2dense_kernelILi16ELi32ElidEEviT2_S1_PKT3_PKT1_PKS1_PS2_l16rocsparse_order_,"axG",@progbits,_ZN9rocsparseL16csr2dense_kernelILi16ELi32ElidEEviT2_S1_PKT3_PKT1_PKS1_PS2_l16rocsparse_order_,comdat
	.globl	_ZN9rocsparseL16csr2dense_kernelILi16ELi32ElidEEviT2_S1_PKT3_PKT1_PKS1_PS2_l16rocsparse_order_ ; -- Begin function _ZN9rocsparseL16csr2dense_kernelILi16ELi32ElidEEviT2_S1_PKT3_PKT1_PKS1_PS2_l16rocsparse_order_
	.p2align	8
	.type	_ZN9rocsparseL16csr2dense_kernelILi16ELi32ElidEEviT2_S1_PKT3_PKT1_PKS1_PS2_l16rocsparse_order_,@function
_ZN9rocsparseL16csr2dense_kernelILi16ELi32ElidEEviT2_S1_PKT3_PKT1_PKS1_PS2_l16rocsparse_order_: ; @_ZN9rocsparseL16csr2dense_kernelILi16ELi32ElidEEviT2_S1_PKT3_PKT1_PKS1_PS2_l16rocsparse_order_
; %bb.0:
	s_load_dwordx2 s[4:5], s[0:1], 0x0
	v_lshrrev_b32_e32 v1, 5, v0
	v_lshl_or_b32 v8, s2, 4, v1
	s_waitcnt lgkmcnt(0)
	v_cmp_gt_i32_e32 vcc, s5, v8
	s_and_saveexec_b64 s[2:3], vcc
	s_cbranch_execz .LBB105_8
; %bb.1:
	s_load_dwordx2 s[2:3], s[0:1], 0x18
	v_ashrrev_i32_e32 v9, 31, v8
	v_and_b32_e32 v0, 31, v0
	v_mov_b32_e32 v1, 0
	s_waitcnt lgkmcnt(0)
	v_lshl_add_u64 v[2:3], v[8:9], 3, s[2:3]
	global_load_dwordx4 v[2:5], v[2:3], off
	s_waitcnt vmcnt(0)
	v_sub_co_u32_e32 v4, vcc, v4, v2
	s_nop 1
	v_subb_co_u32_e32 v5, vcc, v5, v3, vcc
	v_cmp_gt_i64_e32 vcc, v[4:5], v[0:1]
	s_and_b64 exec, exec, vcc
	s_cbranch_execz .LBB105_8
; %bb.2:
	s_load_dwordx4 s[8:11], s[0:1], 0x20
	s_load_dword s5, s[0:1], 0x38
	s_load_dwordx2 s[6:7], s[0:1], 0x10
	s_load_dwordx2 s[2:3], s[0:1], 0x30
	s_ashr_i32 s14, s4, 31
	s_waitcnt lgkmcnt(0)
	v_lshl_add_u64 v[6:7], v[8:9], 3, s[10:11]
	v_lshl_add_u64 v[2:3], v[2:3], 0, v[0:1]
	s_cmp_lg_u32 s5, 1
	v_mul_lo_u32 v10, s3, v8
	v_mul_lo_u32 v11, s2, v9
	v_mad_u64_u32 v[8:9], s[12:13], s2, v8, 0
	v_add3_u32 v9, v9, v11, v10
	v_mov_b32_e32 v11, s14
	v_subrev_co_u32_e32 v10, vcc, s4, v2
	s_cselect_b64 s[0:1], -1, 0
	s_nop 0
	v_subb_co_u32_e32 v11, vcc, v3, v11, vcc
	v_lshl_add_u64 v[8:9], v[8:9], 3, s[10:11]
	v_lshl_add_u64 v[2:3], v[10:11], 2, s[8:9]
	;; [unrolled: 1-line block ×3, first 2 shown]
	s_mov_b64 s[6:7], 0
	s_mov_b64 s[8:9], 0x80
	;; [unrolled: 1-line block ×3, first 2 shown]
	s_branch .LBB105_4
.LBB105_3:                              ;   in Loop: Header=BB105_4 Depth=1
	v_lshl_add_u64 v[0:1], v[0:1], 0, 32
	v_cmp_ge_i64_e32 vcc, v[0:1], v[4:5]
	v_lshl_add_u64 v[2:3], v[2:3], 0, s[8:9]
	s_or_b64 s[6:7], vcc, s[6:7]
	v_lshl_add_u64 v[10:11], v[10:11], 0, s[10:11]
	s_andn2_b64 exec, exec, s[6:7]
	s_cbranch_execz .LBB105_8
.LBB105_4:                              ; =>This Inner Loop Header: Depth=1
	s_barrier
	global_load_dword v14, v[2:3], off
	global_load_dwordx2 v[12:13], v[10:11], off
	s_mov_b64 s[12:13], -1
	s_and_b64 vcc, exec, s[0:1]
	s_waitcnt vmcnt(1)
	v_subrev_u32_e32 v14, s4, v14
	v_ashrrev_i32_e32 v15, 31, v14
	s_cbranch_vccz .LBB105_6
; %bb.5:                                ;   in Loop: Header=BB105_4 Depth=1
	v_lshl_add_u64 v[16:17], v[14:15], 3, v[8:9]
	s_waitcnt vmcnt(0)
	global_store_dwordx2 v[16:17], v[12:13], off
	s_mov_b64 s[12:13], 0
.LBB105_6:                              ;   in Loop: Header=BB105_4 Depth=1
	s_andn2_b64 vcc, exec, s[12:13]
	s_cbranch_vccnz .LBB105_3
; %bb.7:                                ;   in Loop: Header=BB105_4 Depth=1
	v_mul_lo_u32 v16, s3, v14
	v_mul_lo_u32 v17, s2, v15
	v_mad_u64_u32 v[14:15], s[12:13], s2, v14, 0
	v_add3_u32 v15, v15, v17, v16
	v_lshl_add_u64 v[14:15], v[14:15], 3, v[6:7]
	s_waitcnt vmcnt(0)
	global_store_dwordx2 v[14:15], v[12:13], off
	s_branch .LBB105_3
.LBB105_8:
	s_endpgm
	.section	.rodata,"a",@progbits
	.p2align	6, 0x0
	.amdhsa_kernel _ZN9rocsparseL16csr2dense_kernelILi16ELi32ElidEEviT2_S1_PKT3_PKT1_PKS1_PS2_l16rocsparse_order_
		.amdhsa_group_segment_fixed_size 0
		.amdhsa_private_segment_fixed_size 0
		.amdhsa_kernarg_size 60
		.amdhsa_user_sgpr_count 2
		.amdhsa_user_sgpr_dispatch_ptr 0
		.amdhsa_user_sgpr_queue_ptr 0
		.amdhsa_user_sgpr_kernarg_segment_ptr 1
		.amdhsa_user_sgpr_dispatch_id 0
		.amdhsa_user_sgpr_kernarg_preload_length 0
		.amdhsa_user_sgpr_kernarg_preload_offset 0
		.amdhsa_user_sgpr_private_segment_size 0
		.amdhsa_uses_dynamic_stack 0
		.amdhsa_enable_private_segment 0
		.amdhsa_system_sgpr_workgroup_id_x 1
		.amdhsa_system_sgpr_workgroup_id_y 0
		.amdhsa_system_sgpr_workgroup_id_z 0
		.amdhsa_system_sgpr_workgroup_info 0
		.amdhsa_system_vgpr_workitem_id 0
		.amdhsa_next_free_vgpr 18
		.amdhsa_next_free_sgpr 15
		.amdhsa_accum_offset 20
		.amdhsa_reserve_vcc 1
		.amdhsa_float_round_mode_32 0
		.amdhsa_float_round_mode_16_64 0
		.amdhsa_float_denorm_mode_32 3
		.amdhsa_float_denorm_mode_16_64 3
		.amdhsa_dx10_clamp 1
		.amdhsa_ieee_mode 1
		.amdhsa_fp16_overflow 0
		.amdhsa_tg_split 0
		.amdhsa_exception_fp_ieee_invalid_op 0
		.amdhsa_exception_fp_denorm_src 0
		.amdhsa_exception_fp_ieee_div_zero 0
		.amdhsa_exception_fp_ieee_overflow 0
		.amdhsa_exception_fp_ieee_underflow 0
		.amdhsa_exception_fp_ieee_inexact 0
		.amdhsa_exception_int_div_zero 0
	.end_amdhsa_kernel
	.section	.text._ZN9rocsparseL16csr2dense_kernelILi16ELi32ElidEEviT2_S1_PKT3_PKT1_PKS1_PS2_l16rocsparse_order_,"axG",@progbits,_ZN9rocsparseL16csr2dense_kernelILi16ELi32ElidEEviT2_S1_PKT3_PKT1_PKS1_PS2_l16rocsparse_order_,comdat
.Lfunc_end105:
	.size	_ZN9rocsparseL16csr2dense_kernelILi16ELi32ElidEEviT2_S1_PKT3_PKT1_PKS1_PS2_l16rocsparse_order_, .Lfunc_end105-_ZN9rocsparseL16csr2dense_kernelILi16ELi32ElidEEviT2_S1_PKT3_PKT1_PKS1_PS2_l16rocsparse_order_
                                        ; -- End function
	.set _ZN9rocsparseL16csr2dense_kernelILi16ELi32ElidEEviT2_S1_PKT3_PKT1_PKS1_PS2_l16rocsparse_order_.num_vgpr, 18
	.set _ZN9rocsparseL16csr2dense_kernelILi16ELi32ElidEEviT2_S1_PKT3_PKT1_PKS1_PS2_l16rocsparse_order_.num_agpr, 0
	.set _ZN9rocsparseL16csr2dense_kernelILi16ELi32ElidEEviT2_S1_PKT3_PKT1_PKS1_PS2_l16rocsparse_order_.numbered_sgpr, 15
	.set _ZN9rocsparseL16csr2dense_kernelILi16ELi32ElidEEviT2_S1_PKT3_PKT1_PKS1_PS2_l16rocsparse_order_.num_named_barrier, 0
	.set _ZN9rocsparseL16csr2dense_kernelILi16ELi32ElidEEviT2_S1_PKT3_PKT1_PKS1_PS2_l16rocsparse_order_.private_seg_size, 0
	.set _ZN9rocsparseL16csr2dense_kernelILi16ELi32ElidEEviT2_S1_PKT3_PKT1_PKS1_PS2_l16rocsparse_order_.uses_vcc, 1
	.set _ZN9rocsparseL16csr2dense_kernelILi16ELi32ElidEEviT2_S1_PKT3_PKT1_PKS1_PS2_l16rocsparse_order_.uses_flat_scratch, 0
	.set _ZN9rocsparseL16csr2dense_kernelILi16ELi32ElidEEviT2_S1_PKT3_PKT1_PKS1_PS2_l16rocsparse_order_.has_dyn_sized_stack, 0
	.set _ZN9rocsparseL16csr2dense_kernelILi16ELi32ElidEEviT2_S1_PKT3_PKT1_PKS1_PS2_l16rocsparse_order_.has_recursion, 0
	.set _ZN9rocsparseL16csr2dense_kernelILi16ELi32ElidEEviT2_S1_PKT3_PKT1_PKS1_PS2_l16rocsparse_order_.has_indirect_call, 0
	.section	.AMDGPU.csdata,"",@progbits
; Kernel info:
; codeLenInByte = 440
; TotalNumSgprs: 21
; NumVgprs: 18
; NumAgprs: 0
; TotalNumVgprs: 18
; ScratchSize: 0
; MemoryBound: 0
; FloatMode: 240
; IeeeMode: 1
; LDSByteSize: 0 bytes/workgroup (compile time only)
; SGPRBlocks: 2
; VGPRBlocks: 2
; NumSGPRsForWavesPerEU: 21
; NumVGPRsForWavesPerEU: 18
; AccumOffset: 20
; Occupancy: 8
; WaveLimiterHint : 1
; COMPUTE_PGM_RSRC2:SCRATCH_EN: 0
; COMPUTE_PGM_RSRC2:USER_SGPR: 2
; COMPUTE_PGM_RSRC2:TRAP_HANDLER: 0
; COMPUTE_PGM_RSRC2:TGID_X_EN: 1
; COMPUTE_PGM_RSRC2:TGID_Y_EN: 0
; COMPUTE_PGM_RSRC2:TGID_Z_EN: 0
; COMPUTE_PGM_RSRC2:TIDIG_COMP_CNT: 0
; COMPUTE_PGM_RSRC3_GFX90A:ACCUM_OFFSET: 4
; COMPUTE_PGM_RSRC3_GFX90A:TG_SPLIT: 0
	.section	.text._ZN9rocsparseL16csr2dense_kernelILi16ELi64ElidEEviT2_S1_PKT3_PKT1_PKS1_PS2_l16rocsparse_order_,"axG",@progbits,_ZN9rocsparseL16csr2dense_kernelILi16ELi64ElidEEviT2_S1_PKT3_PKT1_PKS1_PS2_l16rocsparse_order_,comdat
	.globl	_ZN9rocsparseL16csr2dense_kernelILi16ELi64ElidEEviT2_S1_PKT3_PKT1_PKS1_PS2_l16rocsparse_order_ ; -- Begin function _ZN9rocsparseL16csr2dense_kernelILi16ELi64ElidEEviT2_S1_PKT3_PKT1_PKS1_PS2_l16rocsparse_order_
	.p2align	8
	.type	_ZN9rocsparseL16csr2dense_kernelILi16ELi64ElidEEviT2_S1_PKT3_PKT1_PKS1_PS2_l16rocsparse_order_,@function
_ZN9rocsparseL16csr2dense_kernelILi16ELi64ElidEEviT2_S1_PKT3_PKT1_PKS1_PS2_l16rocsparse_order_: ; @_ZN9rocsparseL16csr2dense_kernelILi16ELi64ElidEEviT2_S1_PKT3_PKT1_PKS1_PS2_l16rocsparse_order_
; %bb.0:
	s_load_dwordx2 s[4:5], s[0:1], 0x0
	v_lshrrev_b32_e32 v1, 6, v0
	v_lshl_or_b32 v8, s2, 4, v1
	s_waitcnt lgkmcnt(0)
	v_cmp_gt_i32_e32 vcc, s5, v8
	s_and_saveexec_b64 s[2:3], vcc
	s_cbranch_execz .LBB106_8
; %bb.1:
	s_load_dwordx2 s[2:3], s[0:1], 0x18
	v_ashrrev_i32_e32 v9, 31, v8
	v_and_b32_e32 v0, 63, v0
	v_mov_b32_e32 v1, 0
	s_waitcnt lgkmcnt(0)
	v_lshl_add_u64 v[2:3], v[8:9], 3, s[2:3]
	global_load_dwordx4 v[2:5], v[2:3], off
	s_waitcnt vmcnt(0)
	v_sub_co_u32_e32 v4, vcc, v4, v2
	s_nop 1
	v_subb_co_u32_e32 v5, vcc, v5, v3, vcc
	v_cmp_gt_i64_e32 vcc, v[4:5], v[0:1]
	s_and_b64 exec, exec, vcc
	s_cbranch_execz .LBB106_8
; %bb.2:
	s_load_dwordx4 s[8:11], s[0:1], 0x20
	s_load_dword s5, s[0:1], 0x38
	s_load_dwordx2 s[6:7], s[0:1], 0x10
	s_load_dwordx2 s[2:3], s[0:1], 0x30
	s_ashr_i32 s14, s4, 31
	s_waitcnt lgkmcnt(0)
	v_lshl_add_u64 v[6:7], v[8:9], 3, s[10:11]
	v_lshl_add_u64 v[2:3], v[2:3], 0, v[0:1]
	s_cmp_lg_u32 s5, 1
	v_mul_lo_u32 v10, s3, v8
	v_mul_lo_u32 v11, s2, v9
	v_mad_u64_u32 v[8:9], s[12:13], s2, v8, 0
	v_add3_u32 v9, v9, v11, v10
	v_mov_b32_e32 v11, s14
	v_subrev_co_u32_e32 v10, vcc, s4, v2
	s_cselect_b64 s[0:1], -1, 0
	s_nop 0
	v_subb_co_u32_e32 v11, vcc, v3, v11, vcc
	v_lshl_add_u64 v[8:9], v[8:9], 3, s[10:11]
	v_lshl_add_u64 v[2:3], v[10:11], 2, s[8:9]
	;; [unrolled: 1-line block ×3, first 2 shown]
	s_mov_b64 s[6:7], 0
	s_mov_b64 s[8:9], 0x100
	;; [unrolled: 1-line block ×3, first 2 shown]
	s_branch .LBB106_4
.LBB106_3:                              ;   in Loop: Header=BB106_4 Depth=1
	v_lshl_add_u64 v[0:1], v[0:1], 0, 64
	v_cmp_ge_i64_e32 vcc, v[0:1], v[4:5]
	v_lshl_add_u64 v[2:3], v[2:3], 0, s[8:9]
	s_or_b64 s[6:7], vcc, s[6:7]
	v_lshl_add_u64 v[10:11], v[10:11], 0, s[10:11]
	s_andn2_b64 exec, exec, s[6:7]
	s_cbranch_execz .LBB106_8
.LBB106_4:                              ; =>This Inner Loop Header: Depth=1
	s_barrier
	global_load_dword v14, v[2:3], off
	global_load_dwordx2 v[12:13], v[10:11], off
	s_mov_b64 s[12:13], -1
	s_and_b64 vcc, exec, s[0:1]
	s_waitcnt vmcnt(1)
	v_subrev_u32_e32 v14, s4, v14
	v_ashrrev_i32_e32 v15, 31, v14
	s_cbranch_vccz .LBB106_6
; %bb.5:                                ;   in Loop: Header=BB106_4 Depth=1
	v_lshl_add_u64 v[16:17], v[14:15], 3, v[8:9]
	s_waitcnt vmcnt(0)
	global_store_dwordx2 v[16:17], v[12:13], off
	s_mov_b64 s[12:13], 0
.LBB106_6:                              ;   in Loop: Header=BB106_4 Depth=1
	s_andn2_b64 vcc, exec, s[12:13]
	s_cbranch_vccnz .LBB106_3
; %bb.7:                                ;   in Loop: Header=BB106_4 Depth=1
	v_mul_lo_u32 v16, s3, v14
	v_mul_lo_u32 v17, s2, v15
	v_mad_u64_u32 v[14:15], s[12:13], s2, v14, 0
	v_add3_u32 v15, v15, v17, v16
	v_lshl_add_u64 v[14:15], v[14:15], 3, v[6:7]
	s_waitcnt vmcnt(0)
	global_store_dwordx2 v[14:15], v[12:13], off
	s_branch .LBB106_3
.LBB106_8:
	s_endpgm
	.section	.rodata,"a",@progbits
	.p2align	6, 0x0
	.amdhsa_kernel _ZN9rocsparseL16csr2dense_kernelILi16ELi64ElidEEviT2_S1_PKT3_PKT1_PKS1_PS2_l16rocsparse_order_
		.amdhsa_group_segment_fixed_size 0
		.amdhsa_private_segment_fixed_size 0
		.amdhsa_kernarg_size 60
		.amdhsa_user_sgpr_count 2
		.amdhsa_user_sgpr_dispatch_ptr 0
		.amdhsa_user_sgpr_queue_ptr 0
		.amdhsa_user_sgpr_kernarg_segment_ptr 1
		.amdhsa_user_sgpr_dispatch_id 0
		.amdhsa_user_sgpr_kernarg_preload_length 0
		.amdhsa_user_sgpr_kernarg_preload_offset 0
		.amdhsa_user_sgpr_private_segment_size 0
		.amdhsa_uses_dynamic_stack 0
		.amdhsa_enable_private_segment 0
		.amdhsa_system_sgpr_workgroup_id_x 1
		.amdhsa_system_sgpr_workgroup_id_y 0
		.amdhsa_system_sgpr_workgroup_id_z 0
		.amdhsa_system_sgpr_workgroup_info 0
		.amdhsa_system_vgpr_workitem_id 0
		.amdhsa_next_free_vgpr 18
		.amdhsa_next_free_sgpr 15
		.amdhsa_accum_offset 20
		.amdhsa_reserve_vcc 1
		.amdhsa_float_round_mode_32 0
		.amdhsa_float_round_mode_16_64 0
		.amdhsa_float_denorm_mode_32 3
		.amdhsa_float_denorm_mode_16_64 3
		.amdhsa_dx10_clamp 1
		.amdhsa_ieee_mode 1
		.amdhsa_fp16_overflow 0
		.amdhsa_tg_split 0
		.amdhsa_exception_fp_ieee_invalid_op 0
		.amdhsa_exception_fp_denorm_src 0
		.amdhsa_exception_fp_ieee_div_zero 0
		.amdhsa_exception_fp_ieee_overflow 0
		.amdhsa_exception_fp_ieee_underflow 0
		.amdhsa_exception_fp_ieee_inexact 0
		.amdhsa_exception_int_div_zero 0
	.end_amdhsa_kernel
	.section	.text._ZN9rocsparseL16csr2dense_kernelILi16ELi64ElidEEviT2_S1_PKT3_PKT1_PKS1_PS2_l16rocsparse_order_,"axG",@progbits,_ZN9rocsparseL16csr2dense_kernelILi16ELi64ElidEEviT2_S1_PKT3_PKT1_PKS1_PS2_l16rocsparse_order_,comdat
.Lfunc_end106:
	.size	_ZN9rocsparseL16csr2dense_kernelILi16ELi64ElidEEviT2_S1_PKT3_PKT1_PKS1_PS2_l16rocsparse_order_, .Lfunc_end106-_ZN9rocsparseL16csr2dense_kernelILi16ELi64ElidEEviT2_S1_PKT3_PKT1_PKS1_PS2_l16rocsparse_order_
                                        ; -- End function
	.set _ZN9rocsparseL16csr2dense_kernelILi16ELi64ElidEEviT2_S1_PKT3_PKT1_PKS1_PS2_l16rocsparse_order_.num_vgpr, 18
	.set _ZN9rocsparseL16csr2dense_kernelILi16ELi64ElidEEviT2_S1_PKT3_PKT1_PKS1_PS2_l16rocsparse_order_.num_agpr, 0
	.set _ZN9rocsparseL16csr2dense_kernelILi16ELi64ElidEEviT2_S1_PKT3_PKT1_PKS1_PS2_l16rocsparse_order_.numbered_sgpr, 15
	.set _ZN9rocsparseL16csr2dense_kernelILi16ELi64ElidEEviT2_S1_PKT3_PKT1_PKS1_PS2_l16rocsparse_order_.num_named_barrier, 0
	.set _ZN9rocsparseL16csr2dense_kernelILi16ELi64ElidEEviT2_S1_PKT3_PKT1_PKS1_PS2_l16rocsparse_order_.private_seg_size, 0
	.set _ZN9rocsparseL16csr2dense_kernelILi16ELi64ElidEEviT2_S1_PKT3_PKT1_PKS1_PS2_l16rocsparse_order_.uses_vcc, 1
	.set _ZN9rocsparseL16csr2dense_kernelILi16ELi64ElidEEviT2_S1_PKT3_PKT1_PKS1_PS2_l16rocsparse_order_.uses_flat_scratch, 0
	.set _ZN9rocsparseL16csr2dense_kernelILi16ELi64ElidEEviT2_S1_PKT3_PKT1_PKS1_PS2_l16rocsparse_order_.has_dyn_sized_stack, 0
	.set _ZN9rocsparseL16csr2dense_kernelILi16ELi64ElidEEviT2_S1_PKT3_PKT1_PKS1_PS2_l16rocsparse_order_.has_recursion, 0
	.set _ZN9rocsparseL16csr2dense_kernelILi16ELi64ElidEEviT2_S1_PKT3_PKT1_PKS1_PS2_l16rocsparse_order_.has_indirect_call, 0
	.section	.AMDGPU.csdata,"",@progbits
; Kernel info:
; codeLenInByte = 440
; TotalNumSgprs: 21
; NumVgprs: 18
; NumAgprs: 0
; TotalNumVgprs: 18
; ScratchSize: 0
; MemoryBound: 0
; FloatMode: 240
; IeeeMode: 1
; LDSByteSize: 0 bytes/workgroup (compile time only)
; SGPRBlocks: 2
; VGPRBlocks: 2
; NumSGPRsForWavesPerEU: 21
; NumVGPRsForWavesPerEU: 18
; AccumOffset: 20
; Occupancy: 8
; WaveLimiterHint : 1
; COMPUTE_PGM_RSRC2:SCRATCH_EN: 0
; COMPUTE_PGM_RSRC2:USER_SGPR: 2
; COMPUTE_PGM_RSRC2:TRAP_HANDLER: 0
; COMPUTE_PGM_RSRC2:TGID_X_EN: 1
; COMPUTE_PGM_RSRC2:TGID_Y_EN: 0
; COMPUTE_PGM_RSRC2:TGID_Z_EN: 0
; COMPUTE_PGM_RSRC2:TIDIG_COMP_CNT: 0
; COMPUTE_PGM_RSRC3_GFX90A:ACCUM_OFFSET: 4
; COMPUTE_PGM_RSRC3_GFX90A:TG_SPLIT: 0
	.section	.text._ZN9rocsparseL16csc2dense_kernelILi16ELi32ElidEEviT2_S1_PKT3_PKT1_PKS1_PS2_l16rocsparse_order_,"axG",@progbits,_ZN9rocsparseL16csc2dense_kernelILi16ELi32ElidEEviT2_S1_PKT3_PKT1_PKS1_PS2_l16rocsparse_order_,comdat
	.globl	_ZN9rocsparseL16csc2dense_kernelILi16ELi32ElidEEviT2_S1_PKT3_PKT1_PKS1_PS2_l16rocsparse_order_ ; -- Begin function _ZN9rocsparseL16csc2dense_kernelILi16ELi32ElidEEviT2_S1_PKT3_PKT1_PKS1_PS2_l16rocsparse_order_
	.p2align	8
	.type	_ZN9rocsparseL16csc2dense_kernelILi16ELi32ElidEEviT2_S1_PKT3_PKT1_PKS1_PS2_l16rocsparse_order_,@function
_ZN9rocsparseL16csc2dense_kernelILi16ELi32ElidEEviT2_S1_PKT3_PKT1_PKS1_PS2_l16rocsparse_order_: ; @_ZN9rocsparseL16csc2dense_kernelILi16ELi32ElidEEviT2_S1_PKT3_PKT1_PKS1_PS2_l16rocsparse_order_
; %bb.0:
	s_load_dword s3, s[0:1], 0x8
	v_lshrrev_b32_e32 v1, 5, v0
	v_lshl_or_b32 v8, s2, 4, v1
	s_waitcnt lgkmcnt(0)
	v_cmp_gt_i32_e32 vcc, s3, v8
	s_and_saveexec_b64 s[2:3], vcc
	s_cbranch_execz .LBB107_8
; %bb.1:
	s_load_dwordx2 s[2:3], s[0:1], 0x18
	v_ashrrev_i32_e32 v9, 31, v8
	v_and_b32_e32 v0, 31, v0
	v_mov_b32_e32 v1, 0
	s_waitcnt lgkmcnt(0)
	v_lshl_add_u64 v[2:3], v[8:9], 3, s[2:3]
	global_load_dwordx4 v[2:5], v[2:3], off
	s_waitcnt vmcnt(0)
	v_sub_co_u32_e32 v4, vcc, v4, v2
	s_nop 1
	v_subb_co_u32_e32 v5, vcc, v5, v3, vcc
	v_cmp_gt_i64_e32 vcc, v[4:5], v[0:1]
	s_and_b64 exec, exec, vcc
	s_cbranch_execz .LBB107_8
; %bb.2:
	s_load_dword s12, s[0:1], 0x0
	s_load_dwordx4 s[4:7], s[0:1], 0x20
	s_load_dword s10, s[0:1], 0x38
	s_load_dwordx2 s[8:9], s[0:1], 0x10
	s_load_dwordx2 s[2:3], s[0:1], 0x30
	s_waitcnt lgkmcnt(0)
	s_ashr_i32 s13, s12, 31
	v_lshl_add_u64 v[6:7], v[8:9], 3, s[6:7]
	s_cmp_lg_u32 s10, 1
	v_lshl_add_u64 v[2:3], v[2:3], 0, v[0:1]
	v_mul_lo_u32 v10, s3, v8
	v_mul_lo_u32 v11, s2, v9
	v_mad_u64_u32 v[8:9], s[10:11], s2, v8, 0
	v_add3_u32 v9, v9, v11, v10
	v_mov_b32_e32 v11, s13
	v_subrev_co_u32_e32 v10, vcc, s12, v2
	s_cselect_b64 s[0:1], -1, 0
	s_nop 0
	v_subb_co_u32_e32 v11, vcc, v3, v11, vcc
	v_lshl_add_u64 v[8:9], v[8:9], 3, s[6:7]
	v_lshl_add_u64 v[2:3], v[10:11], 2, s[4:5]
	;; [unrolled: 1-line block ×3, first 2 shown]
	s_mov_b64 s[4:5], 0
	s_mov_b64 s[6:7], 0x80
	;; [unrolled: 1-line block ×3, first 2 shown]
	s_branch .LBB107_4
.LBB107_3:                              ;   in Loop: Header=BB107_4 Depth=1
	v_lshl_add_u64 v[0:1], v[0:1], 0, 32
	v_cmp_ge_i64_e32 vcc, v[0:1], v[4:5]
	v_lshl_add_u64 v[2:3], v[2:3], 0, s[6:7]
	s_or_b64 s[4:5], vcc, s[4:5]
	v_lshl_add_u64 v[10:11], v[10:11], 0, s[8:9]
	s_andn2_b64 exec, exec, s[4:5]
	s_cbranch_execz .LBB107_8
.LBB107_4:                              ; =>This Inner Loop Header: Depth=1
	global_load_dword v14, v[2:3], off
	global_load_dwordx2 v[12:13], v[10:11], off
	s_mov_b64 s[10:11], -1
	s_and_b64 vcc, exec, s[0:1]
	s_waitcnt vmcnt(1)
	v_subrev_u32_e32 v14, s12, v14
	v_ashrrev_i32_e32 v15, 31, v14
	s_cbranch_vccz .LBB107_6
; %bb.5:                                ;   in Loop: Header=BB107_4 Depth=1
	v_mul_lo_u32 v18, s3, v14
	v_mul_lo_u32 v19, s2, v15
	v_mad_u64_u32 v[16:17], s[10:11], s2, v14, 0
	v_add3_u32 v17, v17, v19, v18
	v_lshl_add_u64 v[16:17], v[16:17], 3, v[6:7]
	s_waitcnt vmcnt(0)
	global_store_dwordx2 v[16:17], v[12:13], off
	s_mov_b64 s[10:11], 0
.LBB107_6:                              ;   in Loop: Header=BB107_4 Depth=1
	s_andn2_b64 vcc, exec, s[10:11]
	s_cbranch_vccnz .LBB107_3
; %bb.7:                                ;   in Loop: Header=BB107_4 Depth=1
	v_lshl_add_u64 v[14:15], v[14:15], 3, v[8:9]
	s_waitcnt vmcnt(0)
	global_store_dwordx2 v[14:15], v[12:13], off
	s_branch .LBB107_3
.LBB107_8:
	s_endpgm
	.section	.rodata,"a",@progbits
	.p2align	6, 0x0
	.amdhsa_kernel _ZN9rocsparseL16csc2dense_kernelILi16ELi32ElidEEviT2_S1_PKT3_PKT1_PKS1_PS2_l16rocsparse_order_
		.amdhsa_group_segment_fixed_size 0
		.amdhsa_private_segment_fixed_size 0
		.amdhsa_kernarg_size 60
		.amdhsa_user_sgpr_count 2
		.amdhsa_user_sgpr_dispatch_ptr 0
		.amdhsa_user_sgpr_queue_ptr 0
		.amdhsa_user_sgpr_kernarg_segment_ptr 1
		.amdhsa_user_sgpr_dispatch_id 0
		.amdhsa_user_sgpr_kernarg_preload_length 0
		.amdhsa_user_sgpr_kernarg_preload_offset 0
		.amdhsa_user_sgpr_private_segment_size 0
		.amdhsa_uses_dynamic_stack 0
		.amdhsa_enable_private_segment 0
		.amdhsa_system_sgpr_workgroup_id_x 1
		.amdhsa_system_sgpr_workgroup_id_y 0
		.amdhsa_system_sgpr_workgroup_id_z 0
		.amdhsa_system_sgpr_workgroup_info 0
		.amdhsa_system_vgpr_workitem_id 0
		.amdhsa_next_free_vgpr 20
		.amdhsa_next_free_sgpr 14
		.amdhsa_accum_offset 20
		.amdhsa_reserve_vcc 1
		.amdhsa_float_round_mode_32 0
		.amdhsa_float_round_mode_16_64 0
		.amdhsa_float_denorm_mode_32 3
		.amdhsa_float_denorm_mode_16_64 3
		.amdhsa_dx10_clamp 1
		.amdhsa_ieee_mode 1
		.amdhsa_fp16_overflow 0
		.amdhsa_tg_split 0
		.amdhsa_exception_fp_ieee_invalid_op 0
		.amdhsa_exception_fp_denorm_src 0
		.amdhsa_exception_fp_ieee_div_zero 0
		.amdhsa_exception_fp_ieee_overflow 0
		.amdhsa_exception_fp_ieee_underflow 0
		.amdhsa_exception_fp_ieee_inexact 0
		.amdhsa_exception_int_div_zero 0
	.end_amdhsa_kernel
	.section	.text._ZN9rocsparseL16csc2dense_kernelILi16ELi32ElidEEviT2_S1_PKT3_PKT1_PKS1_PS2_l16rocsparse_order_,"axG",@progbits,_ZN9rocsparseL16csc2dense_kernelILi16ELi32ElidEEviT2_S1_PKT3_PKT1_PKS1_PS2_l16rocsparse_order_,comdat
.Lfunc_end107:
	.size	_ZN9rocsparseL16csc2dense_kernelILi16ELi32ElidEEviT2_S1_PKT3_PKT1_PKS1_PS2_l16rocsparse_order_, .Lfunc_end107-_ZN9rocsparseL16csc2dense_kernelILi16ELi32ElidEEviT2_S1_PKT3_PKT1_PKS1_PS2_l16rocsparse_order_
                                        ; -- End function
	.set _ZN9rocsparseL16csc2dense_kernelILi16ELi32ElidEEviT2_S1_PKT3_PKT1_PKS1_PS2_l16rocsparse_order_.num_vgpr, 20
	.set _ZN9rocsparseL16csc2dense_kernelILi16ELi32ElidEEviT2_S1_PKT3_PKT1_PKS1_PS2_l16rocsparse_order_.num_agpr, 0
	.set _ZN9rocsparseL16csc2dense_kernelILi16ELi32ElidEEviT2_S1_PKT3_PKT1_PKS1_PS2_l16rocsparse_order_.numbered_sgpr, 14
	.set _ZN9rocsparseL16csc2dense_kernelILi16ELi32ElidEEviT2_S1_PKT3_PKT1_PKS1_PS2_l16rocsparse_order_.num_named_barrier, 0
	.set _ZN9rocsparseL16csc2dense_kernelILi16ELi32ElidEEviT2_S1_PKT3_PKT1_PKS1_PS2_l16rocsparse_order_.private_seg_size, 0
	.set _ZN9rocsparseL16csc2dense_kernelILi16ELi32ElidEEviT2_S1_PKT3_PKT1_PKS1_PS2_l16rocsparse_order_.uses_vcc, 1
	.set _ZN9rocsparseL16csc2dense_kernelILi16ELi32ElidEEviT2_S1_PKT3_PKT1_PKS1_PS2_l16rocsparse_order_.uses_flat_scratch, 0
	.set _ZN9rocsparseL16csc2dense_kernelILi16ELi32ElidEEviT2_S1_PKT3_PKT1_PKS1_PS2_l16rocsparse_order_.has_dyn_sized_stack, 0
	.set _ZN9rocsparseL16csc2dense_kernelILi16ELi32ElidEEviT2_S1_PKT3_PKT1_PKS1_PS2_l16rocsparse_order_.has_recursion, 0
	.set _ZN9rocsparseL16csc2dense_kernelILi16ELi32ElidEEviT2_S1_PKT3_PKT1_PKS1_PS2_l16rocsparse_order_.has_indirect_call, 0
	.section	.AMDGPU.csdata,"",@progbits
; Kernel info:
; codeLenInByte = 444
; TotalNumSgprs: 20
; NumVgprs: 20
; NumAgprs: 0
; TotalNumVgprs: 20
; ScratchSize: 0
; MemoryBound: 0
; FloatMode: 240
; IeeeMode: 1
; LDSByteSize: 0 bytes/workgroup (compile time only)
; SGPRBlocks: 2
; VGPRBlocks: 2
; NumSGPRsForWavesPerEU: 20
; NumVGPRsForWavesPerEU: 20
; AccumOffset: 20
; Occupancy: 8
; WaveLimiterHint : 1
; COMPUTE_PGM_RSRC2:SCRATCH_EN: 0
; COMPUTE_PGM_RSRC2:USER_SGPR: 2
; COMPUTE_PGM_RSRC2:TRAP_HANDLER: 0
; COMPUTE_PGM_RSRC2:TGID_X_EN: 1
; COMPUTE_PGM_RSRC2:TGID_Y_EN: 0
; COMPUTE_PGM_RSRC2:TGID_Z_EN: 0
; COMPUTE_PGM_RSRC2:TIDIG_COMP_CNT: 0
; COMPUTE_PGM_RSRC3_GFX90A:ACCUM_OFFSET: 4
; COMPUTE_PGM_RSRC3_GFX90A:TG_SPLIT: 0
	.section	.text._ZN9rocsparseL16csc2dense_kernelILi16ELi64ElidEEviT2_S1_PKT3_PKT1_PKS1_PS2_l16rocsparse_order_,"axG",@progbits,_ZN9rocsparseL16csc2dense_kernelILi16ELi64ElidEEviT2_S1_PKT3_PKT1_PKS1_PS2_l16rocsparse_order_,comdat
	.globl	_ZN9rocsparseL16csc2dense_kernelILi16ELi64ElidEEviT2_S1_PKT3_PKT1_PKS1_PS2_l16rocsparse_order_ ; -- Begin function _ZN9rocsparseL16csc2dense_kernelILi16ELi64ElidEEviT2_S1_PKT3_PKT1_PKS1_PS2_l16rocsparse_order_
	.p2align	8
	.type	_ZN9rocsparseL16csc2dense_kernelILi16ELi64ElidEEviT2_S1_PKT3_PKT1_PKS1_PS2_l16rocsparse_order_,@function
_ZN9rocsparseL16csc2dense_kernelILi16ELi64ElidEEviT2_S1_PKT3_PKT1_PKS1_PS2_l16rocsparse_order_: ; @_ZN9rocsparseL16csc2dense_kernelILi16ELi64ElidEEviT2_S1_PKT3_PKT1_PKS1_PS2_l16rocsparse_order_
; %bb.0:
	s_load_dword s3, s[0:1], 0x8
	v_lshrrev_b32_e32 v1, 6, v0
	v_lshl_or_b32 v8, s2, 4, v1
	s_waitcnt lgkmcnt(0)
	v_cmp_gt_i32_e32 vcc, s3, v8
	s_and_saveexec_b64 s[2:3], vcc
	s_cbranch_execz .LBB108_8
; %bb.1:
	s_load_dwordx2 s[2:3], s[0:1], 0x18
	v_ashrrev_i32_e32 v9, 31, v8
	v_and_b32_e32 v0, 63, v0
	v_mov_b32_e32 v1, 0
	s_waitcnt lgkmcnt(0)
	v_lshl_add_u64 v[2:3], v[8:9], 3, s[2:3]
	global_load_dwordx4 v[2:5], v[2:3], off
	s_waitcnt vmcnt(0)
	v_sub_co_u32_e32 v4, vcc, v4, v2
	s_nop 1
	v_subb_co_u32_e32 v5, vcc, v5, v3, vcc
	v_cmp_gt_i64_e32 vcc, v[4:5], v[0:1]
	s_and_b64 exec, exec, vcc
	s_cbranch_execz .LBB108_8
; %bb.2:
	s_load_dword s12, s[0:1], 0x0
	s_load_dwordx4 s[4:7], s[0:1], 0x20
	s_load_dword s10, s[0:1], 0x38
	s_load_dwordx2 s[8:9], s[0:1], 0x10
	s_load_dwordx2 s[2:3], s[0:1], 0x30
	s_waitcnt lgkmcnt(0)
	s_ashr_i32 s13, s12, 31
	v_lshl_add_u64 v[6:7], v[8:9], 3, s[6:7]
	s_cmp_lg_u32 s10, 1
	v_lshl_add_u64 v[2:3], v[2:3], 0, v[0:1]
	v_mul_lo_u32 v10, s3, v8
	v_mul_lo_u32 v11, s2, v9
	v_mad_u64_u32 v[8:9], s[10:11], s2, v8, 0
	v_add3_u32 v9, v9, v11, v10
	v_mov_b32_e32 v11, s13
	v_subrev_co_u32_e32 v10, vcc, s12, v2
	s_cselect_b64 s[0:1], -1, 0
	s_nop 0
	v_subb_co_u32_e32 v11, vcc, v3, v11, vcc
	v_lshl_add_u64 v[8:9], v[8:9], 3, s[6:7]
	v_lshl_add_u64 v[2:3], v[10:11], 2, s[4:5]
	;; [unrolled: 1-line block ×3, first 2 shown]
	s_mov_b64 s[4:5], 0
	s_mov_b64 s[6:7], 0x100
	;; [unrolled: 1-line block ×3, first 2 shown]
	s_branch .LBB108_4
.LBB108_3:                              ;   in Loop: Header=BB108_4 Depth=1
	v_lshl_add_u64 v[0:1], v[0:1], 0, 64
	v_cmp_ge_i64_e32 vcc, v[0:1], v[4:5]
	v_lshl_add_u64 v[2:3], v[2:3], 0, s[6:7]
	s_or_b64 s[4:5], vcc, s[4:5]
	v_lshl_add_u64 v[10:11], v[10:11], 0, s[8:9]
	s_andn2_b64 exec, exec, s[4:5]
	s_cbranch_execz .LBB108_8
.LBB108_4:                              ; =>This Inner Loop Header: Depth=1
	global_load_dword v14, v[2:3], off
	global_load_dwordx2 v[12:13], v[10:11], off
	s_mov_b64 s[10:11], -1
	s_and_b64 vcc, exec, s[0:1]
	s_waitcnt vmcnt(1)
	v_subrev_u32_e32 v14, s12, v14
	v_ashrrev_i32_e32 v15, 31, v14
	s_cbranch_vccz .LBB108_6
; %bb.5:                                ;   in Loop: Header=BB108_4 Depth=1
	v_mul_lo_u32 v18, s3, v14
	v_mul_lo_u32 v19, s2, v15
	v_mad_u64_u32 v[16:17], s[10:11], s2, v14, 0
	v_add3_u32 v17, v17, v19, v18
	v_lshl_add_u64 v[16:17], v[16:17], 3, v[6:7]
	s_waitcnt vmcnt(0)
	global_store_dwordx2 v[16:17], v[12:13], off
	s_mov_b64 s[10:11], 0
.LBB108_6:                              ;   in Loop: Header=BB108_4 Depth=1
	s_andn2_b64 vcc, exec, s[10:11]
	s_cbranch_vccnz .LBB108_3
; %bb.7:                                ;   in Loop: Header=BB108_4 Depth=1
	v_lshl_add_u64 v[14:15], v[14:15], 3, v[8:9]
	s_waitcnt vmcnt(0)
	global_store_dwordx2 v[14:15], v[12:13], off
	s_branch .LBB108_3
.LBB108_8:
	s_endpgm
	.section	.rodata,"a",@progbits
	.p2align	6, 0x0
	.amdhsa_kernel _ZN9rocsparseL16csc2dense_kernelILi16ELi64ElidEEviT2_S1_PKT3_PKT1_PKS1_PS2_l16rocsparse_order_
		.amdhsa_group_segment_fixed_size 0
		.amdhsa_private_segment_fixed_size 0
		.amdhsa_kernarg_size 60
		.amdhsa_user_sgpr_count 2
		.amdhsa_user_sgpr_dispatch_ptr 0
		.amdhsa_user_sgpr_queue_ptr 0
		.amdhsa_user_sgpr_kernarg_segment_ptr 1
		.amdhsa_user_sgpr_dispatch_id 0
		.amdhsa_user_sgpr_kernarg_preload_length 0
		.amdhsa_user_sgpr_kernarg_preload_offset 0
		.amdhsa_user_sgpr_private_segment_size 0
		.amdhsa_uses_dynamic_stack 0
		.amdhsa_enable_private_segment 0
		.amdhsa_system_sgpr_workgroup_id_x 1
		.amdhsa_system_sgpr_workgroup_id_y 0
		.amdhsa_system_sgpr_workgroup_id_z 0
		.amdhsa_system_sgpr_workgroup_info 0
		.amdhsa_system_vgpr_workitem_id 0
		.amdhsa_next_free_vgpr 20
		.amdhsa_next_free_sgpr 14
		.amdhsa_accum_offset 20
		.amdhsa_reserve_vcc 1
		.amdhsa_float_round_mode_32 0
		.amdhsa_float_round_mode_16_64 0
		.amdhsa_float_denorm_mode_32 3
		.amdhsa_float_denorm_mode_16_64 3
		.amdhsa_dx10_clamp 1
		.amdhsa_ieee_mode 1
		.amdhsa_fp16_overflow 0
		.amdhsa_tg_split 0
		.amdhsa_exception_fp_ieee_invalid_op 0
		.amdhsa_exception_fp_denorm_src 0
		.amdhsa_exception_fp_ieee_div_zero 0
		.amdhsa_exception_fp_ieee_overflow 0
		.amdhsa_exception_fp_ieee_underflow 0
		.amdhsa_exception_fp_ieee_inexact 0
		.amdhsa_exception_int_div_zero 0
	.end_amdhsa_kernel
	.section	.text._ZN9rocsparseL16csc2dense_kernelILi16ELi64ElidEEviT2_S1_PKT3_PKT1_PKS1_PS2_l16rocsparse_order_,"axG",@progbits,_ZN9rocsparseL16csc2dense_kernelILi16ELi64ElidEEviT2_S1_PKT3_PKT1_PKS1_PS2_l16rocsparse_order_,comdat
.Lfunc_end108:
	.size	_ZN9rocsparseL16csc2dense_kernelILi16ELi64ElidEEviT2_S1_PKT3_PKT1_PKS1_PS2_l16rocsparse_order_, .Lfunc_end108-_ZN9rocsparseL16csc2dense_kernelILi16ELi64ElidEEviT2_S1_PKT3_PKT1_PKS1_PS2_l16rocsparse_order_
                                        ; -- End function
	.set _ZN9rocsparseL16csc2dense_kernelILi16ELi64ElidEEviT2_S1_PKT3_PKT1_PKS1_PS2_l16rocsparse_order_.num_vgpr, 20
	.set _ZN9rocsparseL16csc2dense_kernelILi16ELi64ElidEEviT2_S1_PKT3_PKT1_PKS1_PS2_l16rocsparse_order_.num_agpr, 0
	.set _ZN9rocsparseL16csc2dense_kernelILi16ELi64ElidEEviT2_S1_PKT3_PKT1_PKS1_PS2_l16rocsparse_order_.numbered_sgpr, 14
	.set _ZN9rocsparseL16csc2dense_kernelILi16ELi64ElidEEviT2_S1_PKT3_PKT1_PKS1_PS2_l16rocsparse_order_.num_named_barrier, 0
	.set _ZN9rocsparseL16csc2dense_kernelILi16ELi64ElidEEviT2_S1_PKT3_PKT1_PKS1_PS2_l16rocsparse_order_.private_seg_size, 0
	.set _ZN9rocsparseL16csc2dense_kernelILi16ELi64ElidEEviT2_S1_PKT3_PKT1_PKS1_PS2_l16rocsparse_order_.uses_vcc, 1
	.set _ZN9rocsparseL16csc2dense_kernelILi16ELi64ElidEEviT2_S1_PKT3_PKT1_PKS1_PS2_l16rocsparse_order_.uses_flat_scratch, 0
	.set _ZN9rocsparseL16csc2dense_kernelILi16ELi64ElidEEviT2_S1_PKT3_PKT1_PKS1_PS2_l16rocsparse_order_.has_dyn_sized_stack, 0
	.set _ZN9rocsparseL16csc2dense_kernelILi16ELi64ElidEEviT2_S1_PKT3_PKT1_PKS1_PS2_l16rocsparse_order_.has_recursion, 0
	.set _ZN9rocsparseL16csc2dense_kernelILi16ELi64ElidEEviT2_S1_PKT3_PKT1_PKS1_PS2_l16rocsparse_order_.has_indirect_call, 0
	.section	.AMDGPU.csdata,"",@progbits
; Kernel info:
; codeLenInByte = 444
; TotalNumSgprs: 20
; NumVgprs: 20
; NumAgprs: 0
; TotalNumVgprs: 20
; ScratchSize: 0
; MemoryBound: 0
; FloatMode: 240
; IeeeMode: 1
; LDSByteSize: 0 bytes/workgroup (compile time only)
; SGPRBlocks: 2
; VGPRBlocks: 2
; NumSGPRsForWavesPerEU: 20
; NumVGPRsForWavesPerEU: 20
; AccumOffset: 20
; Occupancy: 8
; WaveLimiterHint : 1
; COMPUTE_PGM_RSRC2:SCRATCH_EN: 0
; COMPUTE_PGM_RSRC2:USER_SGPR: 2
; COMPUTE_PGM_RSRC2:TRAP_HANDLER: 0
; COMPUTE_PGM_RSRC2:TGID_X_EN: 1
; COMPUTE_PGM_RSRC2:TGID_Y_EN: 0
; COMPUTE_PGM_RSRC2:TGID_Z_EN: 0
; COMPUTE_PGM_RSRC2:TIDIG_COMP_CNT: 0
; COMPUTE_PGM_RSRC3_GFX90A:ACCUM_OFFSET: 4
; COMPUTE_PGM_RSRC3_GFX90A:TG_SPLIT: 0
	.section	.text._ZN9rocsparseL23sddmm_csx_sample_kernelILi512ELi64EL20rocsparse_direction_1EdlidEEvT4_S2_T3_PKT5_S2_PS4_PKS3_PKS2_21rocsparse_index_base_,"axG",@progbits,_ZN9rocsparseL23sddmm_csx_sample_kernelILi512ELi64EL20rocsparse_direction_1EdlidEEvT4_S2_T3_PKT5_S2_PS4_PKS3_PKS2_21rocsparse_index_base_,comdat
	.globl	_ZN9rocsparseL23sddmm_csx_sample_kernelILi512ELi64EL20rocsparse_direction_1EdlidEEvT4_S2_T3_PKT5_S2_PS4_PKS3_PKS2_21rocsparse_index_base_ ; -- Begin function _ZN9rocsparseL23sddmm_csx_sample_kernelILi512ELi64EL20rocsparse_direction_1EdlidEEvT4_S2_T3_PKT5_S2_PS4_PKS3_PKS2_21rocsparse_index_base_
	.p2align	8
	.type	_ZN9rocsparseL23sddmm_csx_sample_kernelILi512ELi64EL20rocsparse_direction_1EdlidEEvT4_S2_T3_PKT5_S2_PS4_PKS3_PKS2_21rocsparse_index_base_,@function
_ZN9rocsparseL23sddmm_csx_sample_kernelILi512ELi64EL20rocsparse_direction_1EdlidEEvT4_S2_T3_PKT5_S2_PS4_PKS3_PKS2_21rocsparse_index_base_: ; @_ZN9rocsparseL23sddmm_csx_sample_kernelILi512ELi64EL20rocsparse_direction_1EdlidEEvT4_S2_T3_PKT5_S2_PS4_PKS3_PKS2_21rocsparse_index_base_
; %bb.0:
	s_load_dword s3, s[0:1], 0x4
	v_lshrrev_b32_e32 v1, 6, v0
	v_lshl_or_b32 v4, s2, 3, v1
	s_waitcnt lgkmcnt(0)
	v_cmp_gt_u32_e32 vcc, s3, v4
	s_and_saveexec_b64 s[2:3], vcc
	s_cbranch_execz .LBB109_4
; %bb.1:
	s_load_dwordx2 s[2:3], s[0:1], 0x28
	s_load_dword s4, s[0:1], 0x38
	v_mov_b32_e32 v5, 0
	v_and_b32_e32 v0, 63, v0
	s_waitcnt lgkmcnt(0)
	v_lshl_add_u64 v[2:3], v[4:5], 3, s[2:3]
	global_load_dwordx4 v[6:9], v[2:3], off
	v_subrev_co_u32_e32 v0, vcc, s4, v0
	s_nop 1
	v_subb_co_u32_e64 v1, s[2:3], 0, 0, vcc
	s_waitcnt vmcnt(0)
	v_subrev_co_u32_e32 v2, vcc, s4, v8
	v_lshl_add_u64 v[0:1], v[0:1], 0, v[6:7]
	s_nop 0
	v_subbrev_co_u32_e32 v3, vcc, 0, v9, vcc
	v_cmp_lt_i64_e32 vcc, v[0:1], v[2:3]
	s_and_b64 exec, exec, vcc
	s_cbranch_execz .LBB109_4
; %bb.2:
	s_load_dwordx2 s[6:7], s[0:1], 0x30
	s_load_dword s5, s[0:1], 0x18
	s_load_dwordx2 s[8:9], s[0:1], 0x20
	s_load_dwordx2 s[2:3], s[0:1], 0x10
	s_mov_b64 s[0:1], 0
	s_waitcnt lgkmcnt(0)
	v_mul_lo_u32 v6, s5, v4
	v_lshl_add_u64 v[4:5], v[0:1], 3, s[8:9]
	v_subrev_u32_e32 v8, s4, v6
	v_lshl_add_u64 v[6:7], v[0:1], 2, s[6:7]
	s_mov_b64 s[4:5], 0x200
	s_mov_b64 s[6:7], 0x100
.LBB109_3:                              ; =>This Inner Loop Header: Depth=1
	global_load_dword v9, v[6:7], off
	v_lshl_add_u64 v[0:1], v[0:1], 0, 64
	v_cmp_ge_i64_e32 vcc, v[0:1], v[2:3]
	v_lshl_add_u64 v[6:7], v[6:7], 0, s[6:7]
	s_or_b64 s[0:1], vcc, s[0:1]
	s_waitcnt vmcnt(0)
	v_add_u32_e32 v10, v8, v9
	v_ashrrev_i32_e32 v11, 31, v10
	v_lshl_add_u64 v[10:11], v[10:11], 3, s[2:3]
	global_load_dwordx2 v[10:11], v[10:11], off
	s_waitcnt vmcnt(0)
	global_store_dwordx2 v[4:5], v[10:11], off
	v_lshl_add_u64 v[4:5], v[4:5], 0, s[4:5]
	s_andn2_b64 exec, exec, s[0:1]
	s_cbranch_execnz .LBB109_3
.LBB109_4:
	s_endpgm
	.section	.rodata,"a",@progbits
	.p2align	6, 0x0
	.amdhsa_kernel _ZN9rocsparseL23sddmm_csx_sample_kernelILi512ELi64EL20rocsparse_direction_1EdlidEEvT4_S2_T3_PKT5_S2_PS4_PKS3_PKS2_21rocsparse_index_base_
		.amdhsa_group_segment_fixed_size 0
		.amdhsa_private_segment_fixed_size 0
		.amdhsa_kernarg_size 60
		.amdhsa_user_sgpr_count 2
		.amdhsa_user_sgpr_dispatch_ptr 0
		.amdhsa_user_sgpr_queue_ptr 0
		.amdhsa_user_sgpr_kernarg_segment_ptr 1
		.amdhsa_user_sgpr_dispatch_id 0
		.amdhsa_user_sgpr_kernarg_preload_length 0
		.amdhsa_user_sgpr_kernarg_preload_offset 0
		.amdhsa_user_sgpr_private_segment_size 0
		.amdhsa_uses_dynamic_stack 0
		.amdhsa_enable_private_segment 0
		.amdhsa_system_sgpr_workgroup_id_x 1
		.amdhsa_system_sgpr_workgroup_id_y 0
		.amdhsa_system_sgpr_workgroup_id_z 0
		.amdhsa_system_sgpr_workgroup_info 0
		.amdhsa_system_vgpr_workitem_id 0
		.amdhsa_next_free_vgpr 12
		.amdhsa_next_free_sgpr 10
		.amdhsa_accum_offset 12
		.amdhsa_reserve_vcc 1
		.amdhsa_float_round_mode_32 0
		.amdhsa_float_round_mode_16_64 0
		.amdhsa_float_denorm_mode_32 3
		.amdhsa_float_denorm_mode_16_64 3
		.amdhsa_dx10_clamp 1
		.amdhsa_ieee_mode 1
		.amdhsa_fp16_overflow 0
		.amdhsa_tg_split 0
		.amdhsa_exception_fp_ieee_invalid_op 0
		.amdhsa_exception_fp_denorm_src 0
		.amdhsa_exception_fp_ieee_div_zero 0
		.amdhsa_exception_fp_ieee_overflow 0
		.amdhsa_exception_fp_ieee_underflow 0
		.amdhsa_exception_fp_ieee_inexact 0
		.amdhsa_exception_int_div_zero 0
	.end_amdhsa_kernel
	.section	.text._ZN9rocsparseL23sddmm_csx_sample_kernelILi512ELi64EL20rocsparse_direction_1EdlidEEvT4_S2_T3_PKT5_S2_PS4_PKS3_PKS2_21rocsparse_index_base_,"axG",@progbits,_ZN9rocsparseL23sddmm_csx_sample_kernelILi512ELi64EL20rocsparse_direction_1EdlidEEvT4_S2_T3_PKT5_S2_PS4_PKS3_PKS2_21rocsparse_index_base_,comdat
.Lfunc_end109:
	.size	_ZN9rocsparseL23sddmm_csx_sample_kernelILi512ELi64EL20rocsparse_direction_1EdlidEEvT4_S2_T3_PKT5_S2_PS4_PKS3_PKS2_21rocsparse_index_base_, .Lfunc_end109-_ZN9rocsparseL23sddmm_csx_sample_kernelILi512ELi64EL20rocsparse_direction_1EdlidEEvT4_S2_T3_PKT5_S2_PS4_PKS3_PKS2_21rocsparse_index_base_
                                        ; -- End function
	.set _ZN9rocsparseL23sddmm_csx_sample_kernelILi512ELi64EL20rocsparse_direction_1EdlidEEvT4_S2_T3_PKT5_S2_PS4_PKS3_PKS2_21rocsparse_index_base_.num_vgpr, 12
	.set _ZN9rocsparseL23sddmm_csx_sample_kernelILi512ELi64EL20rocsparse_direction_1EdlidEEvT4_S2_T3_PKT5_S2_PS4_PKS3_PKS2_21rocsparse_index_base_.num_agpr, 0
	.set _ZN9rocsparseL23sddmm_csx_sample_kernelILi512ELi64EL20rocsparse_direction_1EdlidEEvT4_S2_T3_PKT5_S2_PS4_PKS3_PKS2_21rocsparse_index_base_.numbered_sgpr, 10
	.set _ZN9rocsparseL23sddmm_csx_sample_kernelILi512ELi64EL20rocsparse_direction_1EdlidEEvT4_S2_T3_PKT5_S2_PS4_PKS3_PKS2_21rocsparse_index_base_.num_named_barrier, 0
	.set _ZN9rocsparseL23sddmm_csx_sample_kernelILi512ELi64EL20rocsparse_direction_1EdlidEEvT4_S2_T3_PKT5_S2_PS4_PKS3_PKS2_21rocsparse_index_base_.private_seg_size, 0
	.set _ZN9rocsparseL23sddmm_csx_sample_kernelILi512ELi64EL20rocsparse_direction_1EdlidEEvT4_S2_T3_PKT5_S2_PS4_PKS3_PKS2_21rocsparse_index_base_.uses_vcc, 1
	.set _ZN9rocsparseL23sddmm_csx_sample_kernelILi512ELi64EL20rocsparse_direction_1EdlidEEvT4_S2_T3_PKT5_S2_PS4_PKS3_PKS2_21rocsparse_index_base_.uses_flat_scratch, 0
	.set _ZN9rocsparseL23sddmm_csx_sample_kernelILi512ELi64EL20rocsparse_direction_1EdlidEEvT4_S2_T3_PKT5_S2_PS4_PKS3_PKS2_21rocsparse_index_base_.has_dyn_sized_stack, 0
	.set _ZN9rocsparseL23sddmm_csx_sample_kernelILi512ELi64EL20rocsparse_direction_1EdlidEEvT4_S2_T3_PKT5_S2_PS4_PKS3_PKS2_21rocsparse_index_base_.has_recursion, 0
	.set _ZN9rocsparseL23sddmm_csx_sample_kernelILi512ELi64EL20rocsparse_direction_1EdlidEEvT4_S2_T3_PKT5_S2_PS4_PKS3_PKS2_21rocsparse_index_base_.has_indirect_call, 0
	.section	.AMDGPU.csdata,"",@progbits
; Kernel info:
; codeLenInByte = 308
; TotalNumSgprs: 16
; NumVgprs: 12
; NumAgprs: 0
; TotalNumVgprs: 12
; ScratchSize: 0
; MemoryBound: 0
; FloatMode: 240
; IeeeMode: 1
; LDSByteSize: 0 bytes/workgroup (compile time only)
; SGPRBlocks: 1
; VGPRBlocks: 1
; NumSGPRsForWavesPerEU: 16
; NumVGPRsForWavesPerEU: 12
; AccumOffset: 12
; Occupancy: 8
; WaveLimiterHint : 1
; COMPUTE_PGM_RSRC2:SCRATCH_EN: 0
; COMPUTE_PGM_RSRC2:USER_SGPR: 2
; COMPUTE_PGM_RSRC2:TRAP_HANDLER: 0
; COMPUTE_PGM_RSRC2:TGID_X_EN: 1
; COMPUTE_PGM_RSRC2:TGID_Y_EN: 0
; COMPUTE_PGM_RSRC2:TGID_Z_EN: 0
; COMPUTE_PGM_RSRC2:TIDIG_COMP_CNT: 0
; COMPUTE_PGM_RSRC3_GFX90A:ACCUM_OFFSET: 2
; COMPUTE_PGM_RSRC3_GFX90A:TG_SPLIT: 0
	.section	.text._ZN9rocsparseL23sddmm_csx_sample_kernelILi512ELi32EL20rocsparse_direction_1EdlidEEvT4_S2_T3_PKT5_S2_PS4_PKS3_PKS2_21rocsparse_index_base_,"axG",@progbits,_ZN9rocsparseL23sddmm_csx_sample_kernelILi512ELi32EL20rocsparse_direction_1EdlidEEvT4_S2_T3_PKT5_S2_PS4_PKS3_PKS2_21rocsparse_index_base_,comdat
	.globl	_ZN9rocsparseL23sddmm_csx_sample_kernelILi512ELi32EL20rocsparse_direction_1EdlidEEvT4_S2_T3_PKT5_S2_PS4_PKS3_PKS2_21rocsparse_index_base_ ; -- Begin function _ZN9rocsparseL23sddmm_csx_sample_kernelILi512ELi32EL20rocsparse_direction_1EdlidEEvT4_S2_T3_PKT5_S2_PS4_PKS3_PKS2_21rocsparse_index_base_
	.p2align	8
	.type	_ZN9rocsparseL23sddmm_csx_sample_kernelILi512ELi32EL20rocsparse_direction_1EdlidEEvT4_S2_T3_PKT5_S2_PS4_PKS3_PKS2_21rocsparse_index_base_,@function
_ZN9rocsparseL23sddmm_csx_sample_kernelILi512ELi32EL20rocsparse_direction_1EdlidEEvT4_S2_T3_PKT5_S2_PS4_PKS3_PKS2_21rocsparse_index_base_: ; @_ZN9rocsparseL23sddmm_csx_sample_kernelILi512ELi32EL20rocsparse_direction_1EdlidEEvT4_S2_T3_PKT5_S2_PS4_PKS3_PKS2_21rocsparse_index_base_
; %bb.0:
	s_load_dword s3, s[0:1], 0x4
	v_lshrrev_b32_e32 v1, 5, v0
	v_lshl_or_b32 v4, s2, 4, v1
	s_waitcnt lgkmcnt(0)
	v_cmp_gt_u32_e32 vcc, s3, v4
	s_and_saveexec_b64 s[2:3], vcc
	s_cbranch_execz .LBB110_4
; %bb.1:
	s_load_dwordx2 s[2:3], s[0:1], 0x28
	s_load_dword s4, s[0:1], 0x38
	v_mov_b32_e32 v5, 0
	v_and_b32_e32 v0, 31, v0
	s_waitcnt lgkmcnt(0)
	v_lshl_add_u64 v[2:3], v[4:5], 3, s[2:3]
	global_load_dwordx4 v[6:9], v[2:3], off
	v_subrev_co_u32_e32 v0, vcc, s4, v0
	s_nop 1
	v_subb_co_u32_e64 v1, s[2:3], 0, 0, vcc
	s_waitcnt vmcnt(0)
	v_subrev_co_u32_e32 v2, vcc, s4, v8
	v_lshl_add_u64 v[0:1], v[0:1], 0, v[6:7]
	s_nop 0
	v_subbrev_co_u32_e32 v3, vcc, 0, v9, vcc
	v_cmp_lt_i64_e32 vcc, v[0:1], v[2:3]
	s_and_b64 exec, exec, vcc
	s_cbranch_execz .LBB110_4
; %bb.2:
	s_load_dwordx2 s[6:7], s[0:1], 0x30
	s_load_dword s5, s[0:1], 0x18
	s_load_dwordx2 s[8:9], s[0:1], 0x20
	s_load_dwordx2 s[2:3], s[0:1], 0x10
	s_mov_b64 s[0:1], 0
	s_waitcnt lgkmcnt(0)
	v_mul_lo_u32 v6, s5, v4
	v_lshl_add_u64 v[4:5], v[0:1], 3, s[8:9]
	v_subrev_u32_e32 v8, s4, v6
	v_lshl_add_u64 v[6:7], v[0:1], 2, s[6:7]
	s_mov_b64 s[4:5], 0x100
	s_mov_b64 s[6:7], 0x80
.LBB110_3:                              ; =>This Inner Loop Header: Depth=1
	global_load_dword v9, v[6:7], off
	v_lshl_add_u64 v[0:1], v[0:1], 0, 32
	v_cmp_ge_i64_e32 vcc, v[0:1], v[2:3]
	v_lshl_add_u64 v[6:7], v[6:7], 0, s[6:7]
	s_or_b64 s[0:1], vcc, s[0:1]
	s_waitcnt vmcnt(0)
	v_add_u32_e32 v10, v8, v9
	v_ashrrev_i32_e32 v11, 31, v10
	v_lshl_add_u64 v[10:11], v[10:11], 3, s[2:3]
	global_load_dwordx2 v[10:11], v[10:11], off
	s_waitcnt vmcnt(0)
	global_store_dwordx2 v[4:5], v[10:11], off
	v_lshl_add_u64 v[4:5], v[4:5], 0, s[4:5]
	s_andn2_b64 exec, exec, s[0:1]
	s_cbranch_execnz .LBB110_3
.LBB110_4:
	s_endpgm
	.section	.rodata,"a",@progbits
	.p2align	6, 0x0
	.amdhsa_kernel _ZN9rocsparseL23sddmm_csx_sample_kernelILi512ELi32EL20rocsparse_direction_1EdlidEEvT4_S2_T3_PKT5_S2_PS4_PKS3_PKS2_21rocsparse_index_base_
		.amdhsa_group_segment_fixed_size 0
		.amdhsa_private_segment_fixed_size 0
		.amdhsa_kernarg_size 60
		.amdhsa_user_sgpr_count 2
		.amdhsa_user_sgpr_dispatch_ptr 0
		.amdhsa_user_sgpr_queue_ptr 0
		.amdhsa_user_sgpr_kernarg_segment_ptr 1
		.amdhsa_user_sgpr_dispatch_id 0
		.amdhsa_user_sgpr_kernarg_preload_length 0
		.amdhsa_user_sgpr_kernarg_preload_offset 0
		.amdhsa_user_sgpr_private_segment_size 0
		.amdhsa_uses_dynamic_stack 0
		.amdhsa_enable_private_segment 0
		.amdhsa_system_sgpr_workgroup_id_x 1
		.amdhsa_system_sgpr_workgroup_id_y 0
		.amdhsa_system_sgpr_workgroup_id_z 0
		.amdhsa_system_sgpr_workgroup_info 0
		.amdhsa_system_vgpr_workitem_id 0
		.amdhsa_next_free_vgpr 12
		.amdhsa_next_free_sgpr 10
		.amdhsa_accum_offset 12
		.amdhsa_reserve_vcc 1
		.amdhsa_float_round_mode_32 0
		.amdhsa_float_round_mode_16_64 0
		.amdhsa_float_denorm_mode_32 3
		.amdhsa_float_denorm_mode_16_64 3
		.amdhsa_dx10_clamp 1
		.amdhsa_ieee_mode 1
		.amdhsa_fp16_overflow 0
		.amdhsa_tg_split 0
		.amdhsa_exception_fp_ieee_invalid_op 0
		.amdhsa_exception_fp_denorm_src 0
		.amdhsa_exception_fp_ieee_div_zero 0
		.amdhsa_exception_fp_ieee_overflow 0
		.amdhsa_exception_fp_ieee_underflow 0
		.amdhsa_exception_fp_ieee_inexact 0
		.amdhsa_exception_int_div_zero 0
	.end_amdhsa_kernel
	.section	.text._ZN9rocsparseL23sddmm_csx_sample_kernelILi512ELi32EL20rocsparse_direction_1EdlidEEvT4_S2_T3_PKT5_S2_PS4_PKS3_PKS2_21rocsparse_index_base_,"axG",@progbits,_ZN9rocsparseL23sddmm_csx_sample_kernelILi512ELi32EL20rocsparse_direction_1EdlidEEvT4_S2_T3_PKT5_S2_PS4_PKS3_PKS2_21rocsparse_index_base_,comdat
.Lfunc_end110:
	.size	_ZN9rocsparseL23sddmm_csx_sample_kernelILi512ELi32EL20rocsparse_direction_1EdlidEEvT4_S2_T3_PKT5_S2_PS4_PKS3_PKS2_21rocsparse_index_base_, .Lfunc_end110-_ZN9rocsparseL23sddmm_csx_sample_kernelILi512ELi32EL20rocsparse_direction_1EdlidEEvT4_S2_T3_PKT5_S2_PS4_PKS3_PKS2_21rocsparse_index_base_
                                        ; -- End function
	.set _ZN9rocsparseL23sddmm_csx_sample_kernelILi512ELi32EL20rocsparse_direction_1EdlidEEvT4_S2_T3_PKT5_S2_PS4_PKS3_PKS2_21rocsparse_index_base_.num_vgpr, 12
	.set _ZN9rocsparseL23sddmm_csx_sample_kernelILi512ELi32EL20rocsparse_direction_1EdlidEEvT4_S2_T3_PKT5_S2_PS4_PKS3_PKS2_21rocsparse_index_base_.num_agpr, 0
	.set _ZN9rocsparseL23sddmm_csx_sample_kernelILi512ELi32EL20rocsparse_direction_1EdlidEEvT4_S2_T3_PKT5_S2_PS4_PKS3_PKS2_21rocsparse_index_base_.numbered_sgpr, 10
	.set _ZN9rocsparseL23sddmm_csx_sample_kernelILi512ELi32EL20rocsparse_direction_1EdlidEEvT4_S2_T3_PKT5_S2_PS4_PKS3_PKS2_21rocsparse_index_base_.num_named_barrier, 0
	.set _ZN9rocsparseL23sddmm_csx_sample_kernelILi512ELi32EL20rocsparse_direction_1EdlidEEvT4_S2_T3_PKT5_S2_PS4_PKS3_PKS2_21rocsparse_index_base_.private_seg_size, 0
	.set _ZN9rocsparseL23sddmm_csx_sample_kernelILi512ELi32EL20rocsparse_direction_1EdlidEEvT4_S2_T3_PKT5_S2_PS4_PKS3_PKS2_21rocsparse_index_base_.uses_vcc, 1
	.set _ZN9rocsparseL23sddmm_csx_sample_kernelILi512ELi32EL20rocsparse_direction_1EdlidEEvT4_S2_T3_PKT5_S2_PS4_PKS3_PKS2_21rocsparse_index_base_.uses_flat_scratch, 0
	.set _ZN9rocsparseL23sddmm_csx_sample_kernelILi512ELi32EL20rocsparse_direction_1EdlidEEvT4_S2_T3_PKT5_S2_PS4_PKS3_PKS2_21rocsparse_index_base_.has_dyn_sized_stack, 0
	.set _ZN9rocsparseL23sddmm_csx_sample_kernelILi512ELi32EL20rocsparse_direction_1EdlidEEvT4_S2_T3_PKT5_S2_PS4_PKS3_PKS2_21rocsparse_index_base_.has_recursion, 0
	.set _ZN9rocsparseL23sddmm_csx_sample_kernelILi512ELi32EL20rocsparse_direction_1EdlidEEvT4_S2_T3_PKT5_S2_PS4_PKS3_PKS2_21rocsparse_index_base_.has_indirect_call, 0
	.section	.AMDGPU.csdata,"",@progbits
; Kernel info:
; codeLenInByte = 308
; TotalNumSgprs: 16
; NumVgprs: 12
; NumAgprs: 0
; TotalNumVgprs: 12
; ScratchSize: 0
; MemoryBound: 0
; FloatMode: 240
; IeeeMode: 1
; LDSByteSize: 0 bytes/workgroup (compile time only)
; SGPRBlocks: 1
; VGPRBlocks: 1
; NumSGPRsForWavesPerEU: 16
; NumVGPRsForWavesPerEU: 12
; AccumOffset: 12
; Occupancy: 8
; WaveLimiterHint : 1
; COMPUTE_PGM_RSRC2:SCRATCH_EN: 0
; COMPUTE_PGM_RSRC2:USER_SGPR: 2
; COMPUTE_PGM_RSRC2:TRAP_HANDLER: 0
; COMPUTE_PGM_RSRC2:TGID_X_EN: 1
; COMPUTE_PGM_RSRC2:TGID_Y_EN: 0
; COMPUTE_PGM_RSRC2:TGID_Z_EN: 0
; COMPUTE_PGM_RSRC2:TIDIG_COMP_CNT: 0
; COMPUTE_PGM_RSRC3_GFX90A:ACCUM_OFFSET: 2
; COMPUTE_PGM_RSRC3_GFX90A:TG_SPLIT: 0
	.section	.text._ZN9rocsparseL23sddmm_csx_sample_kernelILi512ELi16EL20rocsparse_direction_1EdlidEEvT4_S2_T3_PKT5_S2_PS4_PKS3_PKS2_21rocsparse_index_base_,"axG",@progbits,_ZN9rocsparseL23sddmm_csx_sample_kernelILi512ELi16EL20rocsparse_direction_1EdlidEEvT4_S2_T3_PKT5_S2_PS4_PKS3_PKS2_21rocsparse_index_base_,comdat
	.globl	_ZN9rocsparseL23sddmm_csx_sample_kernelILi512ELi16EL20rocsparse_direction_1EdlidEEvT4_S2_T3_PKT5_S2_PS4_PKS3_PKS2_21rocsparse_index_base_ ; -- Begin function _ZN9rocsparseL23sddmm_csx_sample_kernelILi512ELi16EL20rocsparse_direction_1EdlidEEvT4_S2_T3_PKT5_S2_PS4_PKS3_PKS2_21rocsparse_index_base_
	.p2align	8
	.type	_ZN9rocsparseL23sddmm_csx_sample_kernelILi512ELi16EL20rocsparse_direction_1EdlidEEvT4_S2_T3_PKT5_S2_PS4_PKS3_PKS2_21rocsparse_index_base_,@function
_ZN9rocsparseL23sddmm_csx_sample_kernelILi512ELi16EL20rocsparse_direction_1EdlidEEvT4_S2_T3_PKT5_S2_PS4_PKS3_PKS2_21rocsparse_index_base_: ; @_ZN9rocsparseL23sddmm_csx_sample_kernelILi512ELi16EL20rocsparse_direction_1EdlidEEvT4_S2_T3_PKT5_S2_PS4_PKS3_PKS2_21rocsparse_index_base_
; %bb.0:
	s_load_dword s3, s[0:1], 0x4
	v_lshrrev_b32_e32 v1, 4, v0
	v_lshl_or_b32 v4, s2, 5, v1
	s_waitcnt lgkmcnt(0)
	v_cmp_gt_u32_e32 vcc, s3, v4
	s_and_saveexec_b64 s[2:3], vcc
	s_cbranch_execz .LBB111_4
; %bb.1:
	s_load_dwordx2 s[2:3], s[0:1], 0x28
	s_load_dword s4, s[0:1], 0x38
	v_mov_b32_e32 v5, 0
	v_and_b32_e32 v0, 15, v0
	s_waitcnt lgkmcnt(0)
	v_lshl_add_u64 v[2:3], v[4:5], 3, s[2:3]
	global_load_dwordx4 v[6:9], v[2:3], off
	v_subrev_co_u32_e32 v0, vcc, s4, v0
	s_nop 1
	v_subb_co_u32_e64 v1, s[2:3], 0, 0, vcc
	s_waitcnt vmcnt(0)
	v_subrev_co_u32_e32 v2, vcc, s4, v8
	v_lshl_add_u64 v[0:1], v[0:1], 0, v[6:7]
	s_nop 0
	v_subbrev_co_u32_e32 v3, vcc, 0, v9, vcc
	v_cmp_lt_i64_e32 vcc, v[0:1], v[2:3]
	s_and_b64 exec, exec, vcc
	s_cbranch_execz .LBB111_4
; %bb.2:
	s_load_dwordx2 s[6:7], s[0:1], 0x30
	s_load_dword s5, s[0:1], 0x18
	s_load_dwordx2 s[8:9], s[0:1], 0x20
	s_load_dwordx2 s[2:3], s[0:1], 0x10
	s_mov_b64 s[0:1], 0
	s_waitcnt lgkmcnt(0)
	v_mul_lo_u32 v6, s5, v4
	v_lshl_add_u64 v[4:5], v[0:1], 3, s[8:9]
	v_subrev_u32_e32 v8, s4, v6
	v_lshl_add_u64 v[6:7], v[0:1], 2, s[6:7]
	s_mov_b64 s[4:5], 0x80
.LBB111_3:                              ; =>This Inner Loop Header: Depth=1
	global_load_dword v9, v[6:7], off
	v_lshl_add_u64 v[0:1], v[0:1], 0, 16
	v_cmp_ge_i64_e32 vcc, v[0:1], v[2:3]
	v_lshl_add_u64 v[6:7], v[6:7], 0, 64
	s_or_b64 s[0:1], vcc, s[0:1]
	s_waitcnt vmcnt(0)
	v_add_u32_e32 v10, v8, v9
	v_ashrrev_i32_e32 v11, 31, v10
	v_lshl_add_u64 v[10:11], v[10:11], 3, s[2:3]
	global_load_dwordx2 v[10:11], v[10:11], off
	s_waitcnt vmcnt(0)
	global_store_dwordx2 v[4:5], v[10:11], off
	v_lshl_add_u64 v[4:5], v[4:5], 0, s[4:5]
	s_andn2_b64 exec, exec, s[0:1]
	s_cbranch_execnz .LBB111_3
.LBB111_4:
	s_endpgm
	.section	.rodata,"a",@progbits
	.p2align	6, 0x0
	.amdhsa_kernel _ZN9rocsparseL23sddmm_csx_sample_kernelILi512ELi16EL20rocsparse_direction_1EdlidEEvT4_S2_T3_PKT5_S2_PS4_PKS3_PKS2_21rocsparse_index_base_
		.amdhsa_group_segment_fixed_size 0
		.amdhsa_private_segment_fixed_size 0
		.amdhsa_kernarg_size 60
		.amdhsa_user_sgpr_count 2
		.amdhsa_user_sgpr_dispatch_ptr 0
		.amdhsa_user_sgpr_queue_ptr 0
		.amdhsa_user_sgpr_kernarg_segment_ptr 1
		.amdhsa_user_sgpr_dispatch_id 0
		.amdhsa_user_sgpr_kernarg_preload_length 0
		.amdhsa_user_sgpr_kernarg_preload_offset 0
		.amdhsa_user_sgpr_private_segment_size 0
		.amdhsa_uses_dynamic_stack 0
		.amdhsa_enable_private_segment 0
		.amdhsa_system_sgpr_workgroup_id_x 1
		.amdhsa_system_sgpr_workgroup_id_y 0
		.amdhsa_system_sgpr_workgroup_id_z 0
		.amdhsa_system_sgpr_workgroup_info 0
		.amdhsa_system_vgpr_workitem_id 0
		.amdhsa_next_free_vgpr 12
		.amdhsa_next_free_sgpr 10
		.amdhsa_accum_offset 12
		.amdhsa_reserve_vcc 1
		.amdhsa_float_round_mode_32 0
		.amdhsa_float_round_mode_16_64 0
		.amdhsa_float_denorm_mode_32 3
		.amdhsa_float_denorm_mode_16_64 3
		.amdhsa_dx10_clamp 1
		.amdhsa_ieee_mode 1
		.amdhsa_fp16_overflow 0
		.amdhsa_tg_split 0
		.amdhsa_exception_fp_ieee_invalid_op 0
		.amdhsa_exception_fp_denorm_src 0
		.amdhsa_exception_fp_ieee_div_zero 0
		.amdhsa_exception_fp_ieee_overflow 0
		.amdhsa_exception_fp_ieee_underflow 0
		.amdhsa_exception_fp_ieee_inexact 0
		.amdhsa_exception_int_div_zero 0
	.end_amdhsa_kernel
	.section	.text._ZN9rocsparseL23sddmm_csx_sample_kernelILi512ELi16EL20rocsparse_direction_1EdlidEEvT4_S2_T3_PKT5_S2_PS4_PKS3_PKS2_21rocsparse_index_base_,"axG",@progbits,_ZN9rocsparseL23sddmm_csx_sample_kernelILi512ELi16EL20rocsparse_direction_1EdlidEEvT4_S2_T3_PKT5_S2_PS4_PKS3_PKS2_21rocsparse_index_base_,comdat
.Lfunc_end111:
	.size	_ZN9rocsparseL23sddmm_csx_sample_kernelILi512ELi16EL20rocsparse_direction_1EdlidEEvT4_S2_T3_PKT5_S2_PS4_PKS3_PKS2_21rocsparse_index_base_, .Lfunc_end111-_ZN9rocsparseL23sddmm_csx_sample_kernelILi512ELi16EL20rocsparse_direction_1EdlidEEvT4_S2_T3_PKT5_S2_PS4_PKS3_PKS2_21rocsparse_index_base_
                                        ; -- End function
	.set _ZN9rocsparseL23sddmm_csx_sample_kernelILi512ELi16EL20rocsparse_direction_1EdlidEEvT4_S2_T3_PKT5_S2_PS4_PKS3_PKS2_21rocsparse_index_base_.num_vgpr, 12
	.set _ZN9rocsparseL23sddmm_csx_sample_kernelILi512ELi16EL20rocsparse_direction_1EdlidEEvT4_S2_T3_PKT5_S2_PS4_PKS3_PKS2_21rocsparse_index_base_.num_agpr, 0
	.set _ZN9rocsparseL23sddmm_csx_sample_kernelILi512ELi16EL20rocsparse_direction_1EdlidEEvT4_S2_T3_PKT5_S2_PS4_PKS3_PKS2_21rocsparse_index_base_.numbered_sgpr, 10
	.set _ZN9rocsparseL23sddmm_csx_sample_kernelILi512ELi16EL20rocsparse_direction_1EdlidEEvT4_S2_T3_PKT5_S2_PS4_PKS3_PKS2_21rocsparse_index_base_.num_named_barrier, 0
	.set _ZN9rocsparseL23sddmm_csx_sample_kernelILi512ELi16EL20rocsparse_direction_1EdlidEEvT4_S2_T3_PKT5_S2_PS4_PKS3_PKS2_21rocsparse_index_base_.private_seg_size, 0
	.set _ZN9rocsparseL23sddmm_csx_sample_kernelILi512ELi16EL20rocsparse_direction_1EdlidEEvT4_S2_T3_PKT5_S2_PS4_PKS3_PKS2_21rocsparse_index_base_.uses_vcc, 1
	.set _ZN9rocsparseL23sddmm_csx_sample_kernelILi512ELi16EL20rocsparse_direction_1EdlidEEvT4_S2_T3_PKT5_S2_PS4_PKS3_PKS2_21rocsparse_index_base_.uses_flat_scratch, 0
	.set _ZN9rocsparseL23sddmm_csx_sample_kernelILi512ELi16EL20rocsparse_direction_1EdlidEEvT4_S2_T3_PKT5_S2_PS4_PKS3_PKS2_21rocsparse_index_base_.has_dyn_sized_stack, 0
	.set _ZN9rocsparseL23sddmm_csx_sample_kernelILi512ELi16EL20rocsparse_direction_1EdlidEEvT4_S2_T3_PKT5_S2_PS4_PKS3_PKS2_21rocsparse_index_base_.has_recursion, 0
	.set _ZN9rocsparseL23sddmm_csx_sample_kernelILi512ELi16EL20rocsparse_direction_1EdlidEEvT4_S2_T3_PKT5_S2_PS4_PKS3_PKS2_21rocsparse_index_base_.has_indirect_call, 0
	.section	.AMDGPU.csdata,"",@progbits
; Kernel info:
; codeLenInByte = 300
; TotalNumSgprs: 16
; NumVgprs: 12
; NumAgprs: 0
; TotalNumVgprs: 12
; ScratchSize: 0
; MemoryBound: 0
; FloatMode: 240
; IeeeMode: 1
; LDSByteSize: 0 bytes/workgroup (compile time only)
; SGPRBlocks: 1
; VGPRBlocks: 1
; NumSGPRsForWavesPerEU: 16
; NumVGPRsForWavesPerEU: 12
; AccumOffset: 12
; Occupancy: 8
; WaveLimiterHint : 1
; COMPUTE_PGM_RSRC2:SCRATCH_EN: 0
; COMPUTE_PGM_RSRC2:USER_SGPR: 2
; COMPUTE_PGM_RSRC2:TRAP_HANDLER: 0
; COMPUTE_PGM_RSRC2:TGID_X_EN: 1
; COMPUTE_PGM_RSRC2:TGID_Y_EN: 0
; COMPUTE_PGM_RSRC2:TGID_Z_EN: 0
; COMPUTE_PGM_RSRC2:TIDIG_COMP_CNT: 0
; COMPUTE_PGM_RSRC3_GFX90A:ACCUM_OFFSET: 2
; COMPUTE_PGM_RSRC3_GFX90A:TG_SPLIT: 0
	.section	.text._ZN9rocsparseL23sddmm_csx_sample_kernelILi512ELi8EL20rocsparse_direction_1EdlidEEvT4_S2_T3_PKT5_S2_PS4_PKS3_PKS2_21rocsparse_index_base_,"axG",@progbits,_ZN9rocsparseL23sddmm_csx_sample_kernelILi512ELi8EL20rocsparse_direction_1EdlidEEvT4_S2_T3_PKT5_S2_PS4_PKS3_PKS2_21rocsparse_index_base_,comdat
	.globl	_ZN9rocsparseL23sddmm_csx_sample_kernelILi512ELi8EL20rocsparse_direction_1EdlidEEvT4_S2_T3_PKT5_S2_PS4_PKS3_PKS2_21rocsparse_index_base_ ; -- Begin function _ZN9rocsparseL23sddmm_csx_sample_kernelILi512ELi8EL20rocsparse_direction_1EdlidEEvT4_S2_T3_PKT5_S2_PS4_PKS3_PKS2_21rocsparse_index_base_
	.p2align	8
	.type	_ZN9rocsparseL23sddmm_csx_sample_kernelILi512ELi8EL20rocsparse_direction_1EdlidEEvT4_S2_T3_PKT5_S2_PS4_PKS3_PKS2_21rocsparse_index_base_,@function
_ZN9rocsparseL23sddmm_csx_sample_kernelILi512ELi8EL20rocsparse_direction_1EdlidEEvT4_S2_T3_PKT5_S2_PS4_PKS3_PKS2_21rocsparse_index_base_: ; @_ZN9rocsparseL23sddmm_csx_sample_kernelILi512ELi8EL20rocsparse_direction_1EdlidEEvT4_S2_T3_PKT5_S2_PS4_PKS3_PKS2_21rocsparse_index_base_
; %bb.0:
	s_load_dword s3, s[0:1], 0x4
	v_lshrrev_b32_e32 v1, 3, v0
	v_lshl_or_b32 v4, s2, 6, v1
	s_waitcnt lgkmcnt(0)
	v_cmp_gt_u32_e32 vcc, s3, v4
	s_and_saveexec_b64 s[2:3], vcc
	s_cbranch_execz .LBB112_4
; %bb.1:
	s_load_dwordx2 s[2:3], s[0:1], 0x28
	s_load_dword s4, s[0:1], 0x38
	v_mov_b32_e32 v5, 0
	v_and_b32_e32 v0, 7, v0
	s_waitcnt lgkmcnt(0)
	v_lshl_add_u64 v[2:3], v[4:5], 3, s[2:3]
	global_load_dwordx4 v[6:9], v[2:3], off
	v_subrev_co_u32_e32 v0, vcc, s4, v0
	s_nop 1
	v_subb_co_u32_e64 v1, s[2:3], 0, 0, vcc
	s_waitcnt vmcnt(0)
	v_subrev_co_u32_e32 v2, vcc, s4, v8
	v_lshl_add_u64 v[0:1], v[0:1], 0, v[6:7]
	s_nop 0
	v_subbrev_co_u32_e32 v3, vcc, 0, v9, vcc
	v_cmp_lt_i64_e32 vcc, v[0:1], v[2:3]
	s_and_b64 exec, exec, vcc
	s_cbranch_execz .LBB112_4
; %bb.2:
	s_load_dwordx2 s[6:7], s[0:1], 0x30
	s_load_dword s5, s[0:1], 0x18
	s_load_dwordx2 s[8:9], s[0:1], 0x20
	s_load_dwordx2 s[2:3], s[0:1], 0x10
	s_mov_b64 s[0:1], 0
	s_waitcnt lgkmcnt(0)
	v_mul_lo_u32 v6, s5, v4
	v_lshl_add_u64 v[4:5], v[0:1], 3, s[8:9]
	v_subrev_u32_e32 v8, s4, v6
	v_lshl_add_u64 v[6:7], v[0:1], 2, s[6:7]
.LBB112_3:                              ; =>This Inner Loop Header: Depth=1
	global_load_dword v9, v[6:7], off
	v_lshl_add_u64 v[0:1], v[0:1], 0, 8
	v_cmp_ge_i64_e32 vcc, v[0:1], v[2:3]
	v_lshl_add_u64 v[6:7], v[6:7], 0, 32
	s_or_b64 s[0:1], vcc, s[0:1]
	s_waitcnt vmcnt(0)
	v_add_u32_e32 v10, v8, v9
	v_ashrrev_i32_e32 v11, 31, v10
	v_lshl_add_u64 v[10:11], v[10:11], 3, s[2:3]
	global_load_dwordx2 v[10:11], v[10:11], off
	s_waitcnt vmcnt(0)
	global_store_dwordx2 v[4:5], v[10:11], off
	v_lshl_add_u64 v[4:5], v[4:5], 0, 64
	s_andn2_b64 exec, exec, s[0:1]
	s_cbranch_execnz .LBB112_3
.LBB112_4:
	s_endpgm
	.section	.rodata,"a",@progbits
	.p2align	6, 0x0
	.amdhsa_kernel _ZN9rocsparseL23sddmm_csx_sample_kernelILi512ELi8EL20rocsparse_direction_1EdlidEEvT4_S2_T3_PKT5_S2_PS4_PKS3_PKS2_21rocsparse_index_base_
		.amdhsa_group_segment_fixed_size 0
		.amdhsa_private_segment_fixed_size 0
		.amdhsa_kernarg_size 60
		.amdhsa_user_sgpr_count 2
		.amdhsa_user_sgpr_dispatch_ptr 0
		.amdhsa_user_sgpr_queue_ptr 0
		.amdhsa_user_sgpr_kernarg_segment_ptr 1
		.amdhsa_user_sgpr_dispatch_id 0
		.amdhsa_user_sgpr_kernarg_preload_length 0
		.amdhsa_user_sgpr_kernarg_preload_offset 0
		.amdhsa_user_sgpr_private_segment_size 0
		.amdhsa_uses_dynamic_stack 0
		.amdhsa_enable_private_segment 0
		.amdhsa_system_sgpr_workgroup_id_x 1
		.amdhsa_system_sgpr_workgroup_id_y 0
		.amdhsa_system_sgpr_workgroup_id_z 0
		.amdhsa_system_sgpr_workgroup_info 0
		.amdhsa_system_vgpr_workitem_id 0
		.amdhsa_next_free_vgpr 12
		.amdhsa_next_free_sgpr 10
		.amdhsa_accum_offset 12
		.amdhsa_reserve_vcc 1
		.amdhsa_float_round_mode_32 0
		.amdhsa_float_round_mode_16_64 0
		.amdhsa_float_denorm_mode_32 3
		.amdhsa_float_denorm_mode_16_64 3
		.amdhsa_dx10_clamp 1
		.amdhsa_ieee_mode 1
		.amdhsa_fp16_overflow 0
		.amdhsa_tg_split 0
		.amdhsa_exception_fp_ieee_invalid_op 0
		.amdhsa_exception_fp_denorm_src 0
		.amdhsa_exception_fp_ieee_div_zero 0
		.amdhsa_exception_fp_ieee_overflow 0
		.amdhsa_exception_fp_ieee_underflow 0
		.amdhsa_exception_fp_ieee_inexact 0
		.amdhsa_exception_int_div_zero 0
	.end_amdhsa_kernel
	.section	.text._ZN9rocsparseL23sddmm_csx_sample_kernelILi512ELi8EL20rocsparse_direction_1EdlidEEvT4_S2_T3_PKT5_S2_PS4_PKS3_PKS2_21rocsparse_index_base_,"axG",@progbits,_ZN9rocsparseL23sddmm_csx_sample_kernelILi512ELi8EL20rocsparse_direction_1EdlidEEvT4_S2_T3_PKT5_S2_PS4_PKS3_PKS2_21rocsparse_index_base_,comdat
.Lfunc_end112:
	.size	_ZN9rocsparseL23sddmm_csx_sample_kernelILi512ELi8EL20rocsparse_direction_1EdlidEEvT4_S2_T3_PKT5_S2_PS4_PKS3_PKS2_21rocsparse_index_base_, .Lfunc_end112-_ZN9rocsparseL23sddmm_csx_sample_kernelILi512ELi8EL20rocsparse_direction_1EdlidEEvT4_S2_T3_PKT5_S2_PS4_PKS3_PKS2_21rocsparse_index_base_
                                        ; -- End function
	.set _ZN9rocsparseL23sddmm_csx_sample_kernelILi512ELi8EL20rocsparse_direction_1EdlidEEvT4_S2_T3_PKT5_S2_PS4_PKS3_PKS2_21rocsparse_index_base_.num_vgpr, 12
	.set _ZN9rocsparseL23sddmm_csx_sample_kernelILi512ELi8EL20rocsparse_direction_1EdlidEEvT4_S2_T3_PKT5_S2_PS4_PKS3_PKS2_21rocsparse_index_base_.num_agpr, 0
	.set _ZN9rocsparseL23sddmm_csx_sample_kernelILi512ELi8EL20rocsparse_direction_1EdlidEEvT4_S2_T3_PKT5_S2_PS4_PKS3_PKS2_21rocsparse_index_base_.numbered_sgpr, 10
	.set _ZN9rocsparseL23sddmm_csx_sample_kernelILi512ELi8EL20rocsparse_direction_1EdlidEEvT4_S2_T3_PKT5_S2_PS4_PKS3_PKS2_21rocsparse_index_base_.num_named_barrier, 0
	.set _ZN9rocsparseL23sddmm_csx_sample_kernelILi512ELi8EL20rocsparse_direction_1EdlidEEvT4_S2_T3_PKT5_S2_PS4_PKS3_PKS2_21rocsparse_index_base_.private_seg_size, 0
	.set _ZN9rocsparseL23sddmm_csx_sample_kernelILi512ELi8EL20rocsparse_direction_1EdlidEEvT4_S2_T3_PKT5_S2_PS4_PKS3_PKS2_21rocsparse_index_base_.uses_vcc, 1
	.set _ZN9rocsparseL23sddmm_csx_sample_kernelILi512ELi8EL20rocsparse_direction_1EdlidEEvT4_S2_T3_PKT5_S2_PS4_PKS3_PKS2_21rocsparse_index_base_.uses_flat_scratch, 0
	.set _ZN9rocsparseL23sddmm_csx_sample_kernelILi512ELi8EL20rocsparse_direction_1EdlidEEvT4_S2_T3_PKT5_S2_PS4_PKS3_PKS2_21rocsparse_index_base_.has_dyn_sized_stack, 0
	.set _ZN9rocsparseL23sddmm_csx_sample_kernelILi512ELi8EL20rocsparse_direction_1EdlidEEvT4_S2_T3_PKT5_S2_PS4_PKS3_PKS2_21rocsparse_index_base_.has_recursion, 0
	.set _ZN9rocsparseL23sddmm_csx_sample_kernelILi512ELi8EL20rocsparse_direction_1EdlidEEvT4_S2_T3_PKT5_S2_PS4_PKS3_PKS2_21rocsparse_index_base_.has_indirect_call, 0
	.section	.AMDGPU.csdata,"",@progbits
; Kernel info:
; codeLenInByte = 292
; TotalNumSgprs: 16
; NumVgprs: 12
; NumAgprs: 0
; TotalNumVgprs: 12
; ScratchSize: 0
; MemoryBound: 0
; FloatMode: 240
; IeeeMode: 1
; LDSByteSize: 0 bytes/workgroup (compile time only)
; SGPRBlocks: 1
; VGPRBlocks: 1
; NumSGPRsForWavesPerEU: 16
; NumVGPRsForWavesPerEU: 12
; AccumOffset: 12
; Occupancy: 8
; WaveLimiterHint : 1
; COMPUTE_PGM_RSRC2:SCRATCH_EN: 0
; COMPUTE_PGM_RSRC2:USER_SGPR: 2
; COMPUTE_PGM_RSRC2:TRAP_HANDLER: 0
; COMPUTE_PGM_RSRC2:TGID_X_EN: 1
; COMPUTE_PGM_RSRC2:TGID_Y_EN: 0
; COMPUTE_PGM_RSRC2:TGID_Z_EN: 0
; COMPUTE_PGM_RSRC2:TIDIG_COMP_CNT: 0
; COMPUTE_PGM_RSRC3_GFX90A:ACCUM_OFFSET: 2
; COMPUTE_PGM_RSRC3_GFX90A:TG_SPLIT: 0
	.section	.text._ZN9rocsparseL23sddmm_csx_sample_kernelILi512ELi4EL20rocsparse_direction_1EdlidEEvT4_S2_T3_PKT5_S2_PS4_PKS3_PKS2_21rocsparse_index_base_,"axG",@progbits,_ZN9rocsparseL23sddmm_csx_sample_kernelILi512ELi4EL20rocsparse_direction_1EdlidEEvT4_S2_T3_PKT5_S2_PS4_PKS3_PKS2_21rocsparse_index_base_,comdat
	.globl	_ZN9rocsparseL23sddmm_csx_sample_kernelILi512ELi4EL20rocsparse_direction_1EdlidEEvT4_S2_T3_PKT5_S2_PS4_PKS3_PKS2_21rocsparse_index_base_ ; -- Begin function _ZN9rocsparseL23sddmm_csx_sample_kernelILi512ELi4EL20rocsparse_direction_1EdlidEEvT4_S2_T3_PKT5_S2_PS4_PKS3_PKS2_21rocsparse_index_base_
	.p2align	8
	.type	_ZN9rocsparseL23sddmm_csx_sample_kernelILi512ELi4EL20rocsparse_direction_1EdlidEEvT4_S2_T3_PKT5_S2_PS4_PKS3_PKS2_21rocsparse_index_base_,@function
_ZN9rocsparseL23sddmm_csx_sample_kernelILi512ELi4EL20rocsparse_direction_1EdlidEEvT4_S2_T3_PKT5_S2_PS4_PKS3_PKS2_21rocsparse_index_base_: ; @_ZN9rocsparseL23sddmm_csx_sample_kernelILi512ELi4EL20rocsparse_direction_1EdlidEEvT4_S2_T3_PKT5_S2_PS4_PKS3_PKS2_21rocsparse_index_base_
; %bb.0:
	s_load_dword s3, s[0:1], 0x4
	v_lshrrev_b32_e32 v1, 2, v0
	v_lshl_or_b32 v4, s2, 7, v1
	s_waitcnt lgkmcnt(0)
	v_cmp_gt_u32_e32 vcc, s3, v4
	s_and_saveexec_b64 s[2:3], vcc
	s_cbranch_execz .LBB113_4
; %bb.1:
	s_load_dwordx2 s[2:3], s[0:1], 0x28
	s_load_dword s4, s[0:1], 0x38
	v_mov_b32_e32 v5, 0
	v_and_b32_e32 v0, 3, v0
	s_waitcnt lgkmcnt(0)
	v_lshl_add_u64 v[2:3], v[4:5], 3, s[2:3]
	global_load_dwordx4 v[6:9], v[2:3], off
	v_subrev_co_u32_e32 v0, vcc, s4, v0
	s_nop 1
	v_subb_co_u32_e64 v1, s[2:3], 0, 0, vcc
	s_waitcnt vmcnt(0)
	v_subrev_co_u32_e32 v2, vcc, s4, v8
	v_lshl_add_u64 v[0:1], v[0:1], 0, v[6:7]
	s_nop 0
	v_subbrev_co_u32_e32 v3, vcc, 0, v9, vcc
	v_cmp_lt_i64_e32 vcc, v[0:1], v[2:3]
	s_and_b64 exec, exec, vcc
	s_cbranch_execz .LBB113_4
; %bb.2:
	s_load_dwordx2 s[6:7], s[0:1], 0x30
	s_load_dword s5, s[0:1], 0x18
	s_load_dwordx2 s[8:9], s[0:1], 0x20
	s_load_dwordx2 s[2:3], s[0:1], 0x10
	s_mov_b64 s[0:1], 0
	s_waitcnt lgkmcnt(0)
	v_mul_lo_u32 v6, s5, v4
	v_lshl_add_u64 v[4:5], v[0:1], 3, s[8:9]
	v_subrev_u32_e32 v8, s4, v6
	v_lshl_add_u64 v[6:7], v[0:1], 2, s[6:7]
.LBB113_3:                              ; =>This Inner Loop Header: Depth=1
	global_load_dword v9, v[6:7], off
	v_lshl_add_u64 v[0:1], v[0:1], 0, 4
	v_cmp_ge_i64_e32 vcc, v[0:1], v[2:3]
	v_lshl_add_u64 v[6:7], v[6:7], 0, 16
	s_or_b64 s[0:1], vcc, s[0:1]
	s_waitcnt vmcnt(0)
	v_add_u32_e32 v10, v8, v9
	v_ashrrev_i32_e32 v11, 31, v10
	v_lshl_add_u64 v[10:11], v[10:11], 3, s[2:3]
	global_load_dwordx2 v[10:11], v[10:11], off
	s_waitcnt vmcnt(0)
	global_store_dwordx2 v[4:5], v[10:11], off
	v_lshl_add_u64 v[4:5], v[4:5], 0, 32
	s_andn2_b64 exec, exec, s[0:1]
	s_cbranch_execnz .LBB113_3
.LBB113_4:
	s_endpgm
	.section	.rodata,"a",@progbits
	.p2align	6, 0x0
	.amdhsa_kernel _ZN9rocsparseL23sddmm_csx_sample_kernelILi512ELi4EL20rocsparse_direction_1EdlidEEvT4_S2_T3_PKT5_S2_PS4_PKS3_PKS2_21rocsparse_index_base_
		.amdhsa_group_segment_fixed_size 0
		.amdhsa_private_segment_fixed_size 0
		.amdhsa_kernarg_size 60
		.amdhsa_user_sgpr_count 2
		.amdhsa_user_sgpr_dispatch_ptr 0
		.amdhsa_user_sgpr_queue_ptr 0
		.amdhsa_user_sgpr_kernarg_segment_ptr 1
		.amdhsa_user_sgpr_dispatch_id 0
		.amdhsa_user_sgpr_kernarg_preload_length 0
		.amdhsa_user_sgpr_kernarg_preload_offset 0
		.amdhsa_user_sgpr_private_segment_size 0
		.amdhsa_uses_dynamic_stack 0
		.amdhsa_enable_private_segment 0
		.amdhsa_system_sgpr_workgroup_id_x 1
		.amdhsa_system_sgpr_workgroup_id_y 0
		.amdhsa_system_sgpr_workgroup_id_z 0
		.amdhsa_system_sgpr_workgroup_info 0
		.amdhsa_system_vgpr_workitem_id 0
		.amdhsa_next_free_vgpr 12
		.amdhsa_next_free_sgpr 10
		.amdhsa_accum_offset 12
		.amdhsa_reserve_vcc 1
		.amdhsa_float_round_mode_32 0
		.amdhsa_float_round_mode_16_64 0
		.amdhsa_float_denorm_mode_32 3
		.amdhsa_float_denorm_mode_16_64 3
		.amdhsa_dx10_clamp 1
		.amdhsa_ieee_mode 1
		.amdhsa_fp16_overflow 0
		.amdhsa_tg_split 0
		.amdhsa_exception_fp_ieee_invalid_op 0
		.amdhsa_exception_fp_denorm_src 0
		.amdhsa_exception_fp_ieee_div_zero 0
		.amdhsa_exception_fp_ieee_overflow 0
		.amdhsa_exception_fp_ieee_underflow 0
		.amdhsa_exception_fp_ieee_inexact 0
		.amdhsa_exception_int_div_zero 0
	.end_amdhsa_kernel
	.section	.text._ZN9rocsparseL23sddmm_csx_sample_kernelILi512ELi4EL20rocsparse_direction_1EdlidEEvT4_S2_T3_PKT5_S2_PS4_PKS3_PKS2_21rocsparse_index_base_,"axG",@progbits,_ZN9rocsparseL23sddmm_csx_sample_kernelILi512ELi4EL20rocsparse_direction_1EdlidEEvT4_S2_T3_PKT5_S2_PS4_PKS3_PKS2_21rocsparse_index_base_,comdat
.Lfunc_end113:
	.size	_ZN9rocsparseL23sddmm_csx_sample_kernelILi512ELi4EL20rocsparse_direction_1EdlidEEvT4_S2_T3_PKT5_S2_PS4_PKS3_PKS2_21rocsparse_index_base_, .Lfunc_end113-_ZN9rocsparseL23sddmm_csx_sample_kernelILi512ELi4EL20rocsparse_direction_1EdlidEEvT4_S2_T3_PKT5_S2_PS4_PKS3_PKS2_21rocsparse_index_base_
                                        ; -- End function
	.set _ZN9rocsparseL23sddmm_csx_sample_kernelILi512ELi4EL20rocsparse_direction_1EdlidEEvT4_S2_T3_PKT5_S2_PS4_PKS3_PKS2_21rocsparse_index_base_.num_vgpr, 12
	.set _ZN9rocsparseL23sddmm_csx_sample_kernelILi512ELi4EL20rocsparse_direction_1EdlidEEvT4_S2_T3_PKT5_S2_PS4_PKS3_PKS2_21rocsparse_index_base_.num_agpr, 0
	.set _ZN9rocsparseL23sddmm_csx_sample_kernelILi512ELi4EL20rocsparse_direction_1EdlidEEvT4_S2_T3_PKT5_S2_PS4_PKS3_PKS2_21rocsparse_index_base_.numbered_sgpr, 10
	.set _ZN9rocsparseL23sddmm_csx_sample_kernelILi512ELi4EL20rocsparse_direction_1EdlidEEvT4_S2_T3_PKT5_S2_PS4_PKS3_PKS2_21rocsparse_index_base_.num_named_barrier, 0
	.set _ZN9rocsparseL23sddmm_csx_sample_kernelILi512ELi4EL20rocsparse_direction_1EdlidEEvT4_S2_T3_PKT5_S2_PS4_PKS3_PKS2_21rocsparse_index_base_.private_seg_size, 0
	.set _ZN9rocsparseL23sddmm_csx_sample_kernelILi512ELi4EL20rocsparse_direction_1EdlidEEvT4_S2_T3_PKT5_S2_PS4_PKS3_PKS2_21rocsparse_index_base_.uses_vcc, 1
	.set _ZN9rocsparseL23sddmm_csx_sample_kernelILi512ELi4EL20rocsparse_direction_1EdlidEEvT4_S2_T3_PKT5_S2_PS4_PKS3_PKS2_21rocsparse_index_base_.uses_flat_scratch, 0
	.set _ZN9rocsparseL23sddmm_csx_sample_kernelILi512ELi4EL20rocsparse_direction_1EdlidEEvT4_S2_T3_PKT5_S2_PS4_PKS3_PKS2_21rocsparse_index_base_.has_dyn_sized_stack, 0
	.set _ZN9rocsparseL23sddmm_csx_sample_kernelILi512ELi4EL20rocsparse_direction_1EdlidEEvT4_S2_T3_PKT5_S2_PS4_PKS3_PKS2_21rocsparse_index_base_.has_recursion, 0
	.set _ZN9rocsparseL23sddmm_csx_sample_kernelILi512ELi4EL20rocsparse_direction_1EdlidEEvT4_S2_T3_PKT5_S2_PS4_PKS3_PKS2_21rocsparse_index_base_.has_indirect_call, 0
	.section	.AMDGPU.csdata,"",@progbits
; Kernel info:
; codeLenInByte = 292
; TotalNumSgprs: 16
; NumVgprs: 12
; NumAgprs: 0
; TotalNumVgprs: 12
; ScratchSize: 0
; MemoryBound: 0
; FloatMode: 240
; IeeeMode: 1
; LDSByteSize: 0 bytes/workgroup (compile time only)
; SGPRBlocks: 1
; VGPRBlocks: 1
; NumSGPRsForWavesPerEU: 16
; NumVGPRsForWavesPerEU: 12
; AccumOffset: 12
; Occupancy: 8
; WaveLimiterHint : 1
; COMPUTE_PGM_RSRC2:SCRATCH_EN: 0
; COMPUTE_PGM_RSRC2:USER_SGPR: 2
; COMPUTE_PGM_RSRC2:TRAP_HANDLER: 0
; COMPUTE_PGM_RSRC2:TGID_X_EN: 1
; COMPUTE_PGM_RSRC2:TGID_Y_EN: 0
; COMPUTE_PGM_RSRC2:TGID_Z_EN: 0
; COMPUTE_PGM_RSRC2:TIDIG_COMP_CNT: 0
; COMPUTE_PGM_RSRC3_GFX90A:ACCUM_OFFSET: 2
; COMPUTE_PGM_RSRC3_GFX90A:TG_SPLIT: 0
	.section	.text._ZN9rocsparseL23sddmm_csx_sample_kernelILi512ELi2EL20rocsparse_direction_1EdlidEEvT4_S2_T3_PKT5_S2_PS4_PKS3_PKS2_21rocsparse_index_base_,"axG",@progbits,_ZN9rocsparseL23sddmm_csx_sample_kernelILi512ELi2EL20rocsparse_direction_1EdlidEEvT4_S2_T3_PKT5_S2_PS4_PKS3_PKS2_21rocsparse_index_base_,comdat
	.globl	_ZN9rocsparseL23sddmm_csx_sample_kernelILi512ELi2EL20rocsparse_direction_1EdlidEEvT4_S2_T3_PKT5_S2_PS4_PKS3_PKS2_21rocsparse_index_base_ ; -- Begin function _ZN9rocsparseL23sddmm_csx_sample_kernelILi512ELi2EL20rocsparse_direction_1EdlidEEvT4_S2_T3_PKT5_S2_PS4_PKS3_PKS2_21rocsparse_index_base_
	.p2align	8
	.type	_ZN9rocsparseL23sddmm_csx_sample_kernelILi512ELi2EL20rocsparse_direction_1EdlidEEvT4_S2_T3_PKT5_S2_PS4_PKS3_PKS2_21rocsparse_index_base_,@function
_ZN9rocsparseL23sddmm_csx_sample_kernelILi512ELi2EL20rocsparse_direction_1EdlidEEvT4_S2_T3_PKT5_S2_PS4_PKS3_PKS2_21rocsparse_index_base_: ; @_ZN9rocsparseL23sddmm_csx_sample_kernelILi512ELi2EL20rocsparse_direction_1EdlidEEvT4_S2_T3_PKT5_S2_PS4_PKS3_PKS2_21rocsparse_index_base_
; %bb.0:
	s_load_dword s3, s[0:1], 0x4
	v_lshrrev_b32_e32 v1, 1, v0
	v_lshl_or_b32 v4, s2, 8, v1
	s_waitcnt lgkmcnt(0)
	v_cmp_gt_u32_e32 vcc, s3, v4
	s_and_saveexec_b64 s[2:3], vcc
	s_cbranch_execz .LBB114_4
; %bb.1:
	s_load_dwordx2 s[2:3], s[0:1], 0x28
	s_load_dword s4, s[0:1], 0x38
	v_mov_b32_e32 v5, 0
	v_and_b32_e32 v0, 1, v0
	s_waitcnt lgkmcnt(0)
	v_lshl_add_u64 v[2:3], v[4:5], 3, s[2:3]
	global_load_dwordx4 v[6:9], v[2:3], off
	v_subrev_co_u32_e32 v0, vcc, s4, v0
	s_nop 1
	v_subb_co_u32_e64 v1, s[2:3], 0, 0, vcc
	s_waitcnt vmcnt(0)
	v_subrev_co_u32_e32 v2, vcc, s4, v8
	v_lshl_add_u64 v[0:1], v[0:1], 0, v[6:7]
	s_nop 0
	v_subbrev_co_u32_e32 v3, vcc, 0, v9, vcc
	v_cmp_lt_i64_e32 vcc, v[0:1], v[2:3]
	s_and_b64 exec, exec, vcc
	s_cbranch_execz .LBB114_4
; %bb.2:
	s_load_dwordx2 s[6:7], s[0:1], 0x30
	s_load_dword s5, s[0:1], 0x18
	s_load_dwordx2 s[8:9], s[0:1], 0x20
	s_load_dwordx2 s[2:3], s[0:1], 0x10
	s_mov_b64 s[0:1], 0
	s_waitcnt lgkmcnt(0)
	v_mul_lo_u32 v6, s5, v4
	v_lshl_add_u64 v[4:5], v[0:1], 3, s[8:9]
	v_subrev_u32_e32 v8, s4, v6
	v_lshl_add_u64 v[6:7], v[0:1], 2, s[6:7]
.LBB114_3:                              ; =>This Inner Loop Header: Depth=1
	global_load_dword v9, v[6:7], off
	v_lshl_add_u64 v[0:1], v[0:1], 0, 2
	v_cmp_ge_i64_e32 vcc, v[0:1], v[2:3]
	v_lshl_add_u64 v[6:7], v[6:7], 0, 8
	s_or_b64 s[0:1], vcc, s[0:1]
	s_waitcnt vmcnt(0)
	v_add_u32_e32 v10, v8, v9
	v_ashrrev_i32_e32 v11, 31, v10
	v_lshl_add_u64 v[10:11], v[10:11], 3, s[2:3]
	global_load_dwordx2 v[10:11], v[10:11], off
	s_waitcnt vmcnt(0)
	global_store_dwordx2 v[4:5], v[10:11], off
	v_lshl_add_u64 v[4:5], v[4:5], 0, 16
	s_andn2_b64 exec, exec, s[0:1]
	s_cbranch_execnz .LBB114_3
.LBB114_4:
	s_endpgm
	.section	.rodata,"a",@progbits
	.p2align	6, 0x0
	.amdhsa_kernel _ZN9rocsparseL23sddmm_csx_sample_kernelILi512ELi2EL20rocsparse_direction_1EdlidEEvT4_S2_T3_PKT5_S2_PS4_PKS3_PKS2_21rocsparse_index_base_
		.amdhsa_group_segment_fixed_size 0
		.amdhsa_private_segment_fixed_size 0
		.amdhsa_kernarg_size 60
		.amdhsa_user_sgpr_count 2
		.amdhsa_user_sgpr_dispatch_ptr 0
		.amdhsa_user_sgpr_queue_ptr 0
		.amdhsa_user_sgpr_kernarg_segment_ptr 1
		.amdhsa_user_sgpr_dispatch_id 0
		.amdhsa_user_sgpr_kernarg_preload_length 0
		.amdhsa_user_sgpr_kernarg_preload_offset 0
		.amdhsa_user_sgpr_private_segment_size 0
		.amdhsa_uses_dynamic_stack 0
		.amdhsa_enable_private_segment 0
		.amdhsa_system_sgpr_workgroup_id_x 1
		.amdhsa_system_sgpr_workgroup_id_y 0
		.amdhsa_system_sgpr_workgroup_id_z 0
		.amdhsa_system_sgpr_workgroup_info 0
		.amdhsa_system_vgpr_workitem_id 0
		.amdhsa_next_free_vgpr 12
		.amdhsa_next_free_sgpr 10
		.amdhsa_accum_offset 12
		.amdhsa_reserve_vcc 1
		.amdhsa_float_round_mode_32 0
		.amdhsa_float_round_mode_16_64 0
		.amdhsa_float_denorm_mode_32 3
		.amdhsa_float_denorm_mode_16_64 3
		.amdhsa_dx10_clamp 1
		.amdhsa_ieee_mode 1
		.amdhsa_fp16_overflow 0
		.amdhsa_tg_split 0
		.amdhsa_exception_fp_ieee_invalid_op 0
		.amdhsa_exception_fp_denorm_src 0
		.amdhsa_exception_fp_ieee_div_zero 0
		.amdhsa_exception_fp_ieee_overflow 0
		.amdhsa_exception_fp_ieee_underflow 0
		.amdhsa_exception_fp_ieee_inexact 0
		.amdhsa_exception_int_div_zero 0
	.end_amdhsa_kernel
	.section	.text._ZN9rocsparseL23sddmm_csx_sample_kernelILi512ELi2EL20rocsparse_direction_1EdlidEEvT4_S2_T3_PKT5_S2_PS4_PKS3_PKS2_21rocsparse_index_base_,"axG",@progbits,_ZN9rocsparseL23sddmm_csx_sample_kernelILi512ELi2EL20rocsparse_direction_1EdlidEEvT4_S2_T3_PKT5_S2_PS4_PKS3_PKS2_21rocsparse_index_base_,comdat
.Lfunc_end114:
	.size	_ZN9rocsparseL23sddmm_csx_sample_kernelILi512ELi2EL20rocsparse_direction_1EdlidEEvT4_S2_T3_PKT5_S2_PS4_PKS3_PKS2_21rocsparse_index_base_, .Lfunc_end114-_ZN9rocsparseL23sddmm_csx_sample_kernelILi512ELi2EL20rocsparse_direction_1EdlidEEvT4_S2_T3_PKT5_S2_PS4_PKS3_PKS2_21rocsparse_index_base_
                                        ; -- End function
	.set _ZN9rocsparseL23sddmm_csx_sample_kernelILi512ELi2EL20rocsparse_direction_1EdlidEEvT4_S2_T3_PKT5_S2_PS4_PKS3_PKS2_21rocsparse_index_base_.num_vgpr, 12
	.set _ZN9rocsparseL23sddmm_csx_sample_kernelILi512ELi2EL20rocsparse_direction_1EdlidEEvT4_S2_T3_PKT5_S2_PS4_PKS3_PKS2_21rocsparse_index_base_.num_agpr, 0
	.set _ZN9rocsparseL23sddmm_csx_sample_kernelILi512ELi2EL20rocsparse_direction_1EdlidEEvT4_S2_T3_PKT5_S2_PS4_PKS3_PKS2_21rocsparse_index_base_.numbered_sgpr, 10
	.set _ZN9rocsparseL23sddmm_csx_sample_kernelILi512ELi2EL20rocsparse_direction_1EdlidEEvT4_S2_T3_PKT5_S2_PS4_PKS3_PKS2_21rocsparse_index_base_.num_named_barrier, 0
	.set _ZN9rocsparseL23sddmm_csx_sample_kernelILi512ELi2EL20rocsparse_direction_1EdlidEEvT4_S2_T3_PKT5_S2_PS4_PKS3_PKS2_21rocsparse_index_base_.private_seg_size, 0
	.set _ZN9rocsparseL23sddmm_csx_sample_kernelILi512ELi2EL20rocsparse_direction_1EdlidEEvT4_S2_T3_PKT5_S2_PS4_PKS3_PKS2_21rocsparse_index_base_.uses_vcc, 1
	.set _ZN9rocsparseL23sddmm_csx_sample_kernelILi512ELi2EL20rocsparse_direction_1EdlidEEvT4_S2_T3_PKT5_S2_PS4_PKS3_PKS2_21rocsparse_index_base_.uses_flat_scratch, 0
	.set _ZN9rocsparseL23sddmm_csx_sample_kernelILi512ELi2EL20rocsparse_direction_1EdlidEEvT4_S2_T3_PKT5_S2_PS4_PKS3_PKS2_21rocsparse_index_base_.has_dyn_sized_stack, 0
	.set _ZN9rocsparseL23sddmm_csx_sample_kernelILi512ELi2EL20rocsparse_direction_1EdlidEEvT4_S2_T3_PKT5_S2_PS4_PKS3_PKS2_21rocsparse_index_base_.has_recursion, 0
	.set _ZN9rocsparseL23sddmm_csx_sample_kernelILi512ELi2EL20rocsparse_direction_1EdlidEEvT4_S2_T3_PKT5_S2_PS4_PKS3_PKS2_21rocsparse_index_base_.has_indirect_call, 0
	.section	.AMDGPU.csdata,"",@progbits
; Kernel info:
; codeLenInByte = 292
; TotalNumSgprs: 16
; NumVgprs: 12
; NumAgprs: 0
; TotalNumVgprs: 12
; ScratchSize: 0
; MemoryBound: 0
; FloatMode: 240
; IeeeMode: 1
; LDSByteSize: 0 bytes/workgroup (compile time only)
; SGPRBlocks: 1
; VGPRBlocks: 1
; NumSGPRsForWavesPerEU: 16
; NumVGPRsForWavesPerEU: 12
; AccumOffset: 12
; Occupancy: 8
; WaveLimiterHint : 1
; COMPUTE_PGM_RSRC2:SCRATCH_EN: 0
; COMPUTE_PGM_RSRC2:USER_SGPR: 2
; COMPUTE_PGM_RSRC2:TRAP_HANDLER: 0
; COMPUTE_PGM_RSRC2:TGID_X_EN: 1
; COMPUTE_PGM_RSRC2:TGID_Y_EN: 0
; COMPUTE_PGM_RSRC2:TGID_Z_EN: 0
; COMPUTE_PGM_RSRC2:TIDIG_COMP_CNT: 0
; COMPUTE_PGM_RSRC3_GFX90A:ACCUM_OFFSET: 2
; COMPUTE_PGM_RSRC3_GFX90A:TG_SPLIT: 0
	.section	.text._ZN9rocsparseL23sddmm_csx_sample_kernelILi512ELi1EL20rocsparse_direction_1EdlidEEvT4_S2_T3_PKT5_S2_PS4_PKS3_PKS2_21rocsparse_index_base_,"axG",@progbits,_ZN9rocsparseL23sddmm_csx_sample_kernelILi512ELi1EL20rocsparse_direction_1EdlidEEvT4_S2_T3_PKT5_S2_PS4_PKS3_PKS2_21rocsparse_index_base_,comdat
	.globl	_ZN9rocsparseL23sddmm_csx_sample_kernelILi512ELi1EL20rocsparse_direction_1EdlidEEvT4_S2_T3_PKT5_S2_PS4_PKS3_PKS2_21rocsparse_index_base_ ; -- Begin function _ZN9rocsparseL23sddmm_csx_sample_kernelILi512ELi1EL20rocsparse_direction_1EdlidEEvT4_S2_T3_PKT5_S2_PS4_PKS3_PKS2_21rocsparse_index_base_
	.p2align	8
	.type	_ZN9rocsparseL23sddmm_csx_sample_kernelILi512ELi1EL20rocsparse_direction_1EdlidEEvT4_S2_T3_PKT5_S2_PS4_PKS3_PKS2_21rocsparse_index_base_,@function
_ZN9rocsparseL23sddmm_csx_sample_kernelILi512ELi1EL20rocsparse_direction_1EdlidEEvT4_S2_T3_PKT5_S2_PS4_PKS3_PKS2_21rocsparse_index_base_: ; @_ZN9rocsparseL23sddmm_csx_sample_kernelILi512ELi1EL20rocsparse_direction_1EdlidEEvT4_S2_T3_PKT5_S2_PS4_PKS3_PKS2_21rocsparse_index_base_
; %bb.0:
	s_load_dword s3, s[0:1], 0x4
	v_lshl_or_b32 v6, s2, 9, v0
	s_waitcnt lgkmcnt(0)
	v_cmp_gt_u32_e32 vcc, s3, v6
	s_and_saveexec_b64 s[2:3], vcc
	s_cbranch_execz .LBB115_4
; %bb.1:
	s_load_dwordx2 s[2:3], s[0:1], 0x28
	v_mov_b32_e32 v7, 0
	s_waitcnt lgkmcnt(0)
	v_lshl_add_u64 v[0:1], v[6:7], 3, s[2:3]
	global_load_dwordx4 v[0:3], v[0:1], off
	s_waitcnt vmcnt(0)
	v_cmp_lt_i64_e32 vcc, v[0:1], v[2:3]
	s_and_b64 exec, exec, vcc
	s_cbranch_execz .LBB115_4
; %bb.2:
	s_load_dword s4, s[0:1], 0x38
	s_load_dwordx2 s[2:3], s[0:1], 0x10
	s_load_dwordx2 s[6:7], s[0:1], 0x20
	;; [unrolled: 1-line block ×3, first 2 shown]
	s_load_dword s10, s[0:1], 0x18
	s_waitcnt lgkmcnt(0)
	v_subrev_co_u32_e32 v2, vcc, s4, v2
	s_mov_b32 s5, 0
	s_nop 0
	v_subbrev_co_u32_e32 v3, vcc, 0, v3, vcc
	v_subrev_co_u32_e32 v4, vcc, s4, v0
	v_mul_lo_u32 v6, s10, v6
	s_nop 0
	v_subbrev_co_u32_e32 v5, vcc, 0, v1, vcc
	v_subrev_u32_e32 v8, s4, v6
	v_lshlrev_b64 v[6:7], 3, v[0:1]
	s_lshl_b64 s[0:1], s[4:5], 3
	v_mov_b32_e32 v9, s1
	v_subrev_co_u32_e32 v6, vcc, s0, v6
	v_lshlrev_b64 v[0:1], 2, v[0:1]
	s_nop 0
	v_subb_co_u32_e32 v7, vcc, v7, v9, vcc
	s_lshl_b64 s[0:1], s[4:5], 2
	v_mov_b32_e32 v9, s1
	v_subrev_co_u32_e32 v0, vcc, s0, v0
	v_lshl_add_u64 v[6:7], s[6:7], 0, v[6:7]
	s_nop 0
	v_subb_co_u32_e32 v1, vcc, v1, v9, vcc
	v_lshl_add_u64 v[0:1], s[8:9], 0, v[0:1]
	s_mov_b64 s[0:1], 0
.LBB115_3:                              ; =>This Inner Loop Header: Depth=1
	global_load_dword v9, v[0:1], off
	v_lshl_add_u64 v[4:5], v[4:5], 0, 1
	v_cmp_ge_i64_e32 vcc, v[4:5], v[2:3]
	v_lshl_add_u64 v[0:1], v[0:1], 0, 4
	s_or_b64 s[0:1], vcc, s[0:1]
	s_waitcnt vmcnt(0)
	v_add_u32_e32 v10, v8, v9
	v_ashrrev_i32_e32 v11, 31, v10
	v_lshl_add_u64 v[10:11], v[10:11], 3, s[2:3]
	global_load_dwordx2 v[10:11], v[10:11], off
	s_waitcnt vmcnt(0)
	global_store_dwordx2 v[6:7], v[10:11], off
	v_lshl_add_u64 v[6:7], v[6:7], 0, 8
	s_andn2_b64 exec, exec, s[0:1]
	s_cbranch_execnz .LBB115_3
.LBB115_4:
	s_endpgm
	.section	.rodata,"a",@progbits
	.p2align	6, 0x0
	.amdhsa_kernel _ZN9rocsparseL23sddmm_csx_sample_kernelILi512ELi1EL20rocsparse_direction_1EdlidEEvT4_S2_T3_PKT5_S2_PS4_PKS3_PKS2_21rocsparse_index_base_
		.amdhsa_group_segment_fixed_size 0
		.amdhsa_private_segment_fixed_size 0
		.amdhsa_kernarg_size 60
		.amdhsa_user_sgpr_count 2
		.amdhsa_user_sgpr_dispatch_ptr 0
		.amdhsa_user_sgpr_queue_ptr 0
		.amdhsa_user_sgpr_kernarg_segment_ptr 1
		.amdhsa_user_sgpr_dispatch_id 0
		.amdhsa_user_sgpr_kernarg_preload_length 0
		.amdhsa_user_sgpr_kernarg_preload_offset 0
		.amdhsa_user_sgpr_private_segment_size 0
		.amdhsa_uses_dynamic_stack 0
		.amdhsa_enable_private_segment 0
		.amdhsa_system_sgpr_workgroup_id_x 1
		.amdhsa_system_sgpr_workgroup_id_y 0
		.amdhsa_system_sgpr_workgroup_id_z 0
		.amdhsa_system_sgpr_workgroup_info 0
		.amdhsa_system_vgpr_workitem_id 0
		.amdhsa_next_free_vgpr 12
		.amdhsa_next_free_sgpr 11
		.amdhsa_accum_offset 12
		.amdhsa_reserve_vcc 1
		.amdhsa_float_round_mode_32 0
		.amdhsa_float_round_mode_16_64 0
		.amdhsa_float_denorm_mode_32 3
		.amdhsa_float_denorm_mode_16_64 3
		.amdhsa_dx10_clamp 1
		.amdhsa_ieee_mode 1
		.amdhsa_fp16_overflow 0
		.amdhsa_tg_split 0
		.amdhsa_exception_fp_ieee_invalid_op 0
		.amdhsa_exception_fp_denorm_src 0
		.amdhsa_exception_fp_ieee_div_zero 0
		.amdhsa_exception_fp_ieee_overflow 0
		.amdhsa_exception_fp_ieee_underflow 0
		.amdhsa_exception_fp_ieee_inexact 0
		.amdhsa_exception_int_div_zero 0
	.end_amdhsa_kernel
	.section	.text._ZN9rocsparseL23sddmm_csx_sample_kernelILi512ELi1EL20rocsparse_direction_1EdlidEEvT4_S2_T3_PKT5_S2_PS4_PKS3_PKS2_21rocsparse_index_base_,"axG",@progbits,_ZN9rocsparseL23sddmm_csx_sample_kernelILi512ELi1EL20rocsparse_direction_1EdlidEEvT4_S2_T3_PKT5_S2_PS4_PKS3_PKS2_21rocsparse_index_base_,comdat
.Lfunc_end115:
	.size	_ZN9rocsparseL23sddmm_csx_sample_kernelILi512ELi1EL20rocsparse_direction_1EdlidEEvT4_S2_T3_PKT5_S2_PS4_PKS3_PKS2_21rocsparse_index_base_, .Lfunc_end115-_ZN9rocsparseL23sddmm_csx_sample_kernelILi512ELi1EL20rocsparse_direction_1EdlidEEvT4_S2_T3_PKT5_S2_PS4_PKS3_PKS2_21rocsparse_index_base_
                                        ; -- End function
	.set _ZN9rocsparseL23sddmm_csx_sample_kernelILi512ELi1EL20rocsparse_direction_1EdlidEEvT4_S2_T3_PKT5_S2_PS4_PKS3_PKS2_21rocsparse_index_base_.num_vgpr, 12
	.set _ZN9rocsparseL23sddmm_csx_sample_kernelILi512ELi1EL20rocsparse_direction_1EdlidEEvT4_S2_T3_PKT5_S2_PS4_PKS3_PKS2_21rocsparse_index_base_.num_agpr, 0
	.set _ZN9rocsparseL23sddmm_csx_sample_kernelILi512ELi1EL20rocsparse_direction_1EdlidEEvT4_S2_T3_PKT5_S2_PS4_PKS3_PKS2_21rocsparse_index_base_.numbered_sgpr, 11
	.set _ZN9rocsparseL23sddmm_csx_sample_kernelILi512ELi1EL20rocsparse_direction_1EdlidEEvT4_S2_T3_PKT5_S2_PS4_PKS3_PKS2_21rocsparse_index_base_.num_named_barrier, 0
	.set _ZN9rocsparseL23sddmm_csx_sample_kernelILi512ELi1EL20rocsparse_direction_1EdlidEEvT4_S2_T3_PKT5_S2_PS4_PKS3_PKS2_21rocsparse_index_base_.private_seg_size, 0
	.set _ZN9rocsparseL23sddmm_csx_sample_kernelILi512ELi1EL20rocsparse_direction_1EdlidEEvT4_S2_T3_PKT5_S2_PS4_PKS3_PKS2_21rocsparse_index_base_.uses_vcc, 1
	.set _ZN9rocsparseL23sddmm_csx_sample_kernelILi512ELi1EL20rocsparse_direction_1EdlidEEvT4_S2_T3_PKT5_S2_PS4_PKS3_PKS2_21rocsparse_index_base_.uses_flat_scratch, 0
	.set _ZN9rocsparseL23sddmm_csx_sample_kernelILi512ELi1EL20rocsparse_direction_1EdlidEEvT4_S2_T3_PKT5_S2_PS4_PKS3_PKS2_21rocsparse_index_base_.has_dyn_sized_stack, 0
	.set _ZN9rocsparseL23sddmm_csx_sample_kernelILi512ELi1EL20rocsparse_direction_1EdlidEEvT4_S2_T3_PKT5_S2_PS4_PKS3_PKS2_21rocsparse_index_base_.has_recursion, 0
	.set _ZN9rocsparseL23sddmm_csx_sample_kernelILi512ELi1EL20rocsparse_direction_1EdlidEEvT4_S2_T3_PKT5_S2_PS4_PKS3_PKS2_21rocsparse_index_base_.has_indirect_call, 0
	.section	.AMDGPU.csdata,"",@progbits
; Kernel info:
; codeLenInByte = 332
; TotalNumSgprs: 17
; NumVgprs: 12
; NumAgprs: 0
; TotalNumVgprs: 12
; ScratchSize: 0
; MemoryBound: 0
; FloatMode: 240
; IeeeMode: 1
; LDSByteSize: 0 bytes/workgroup (compile time only)
; SGPRBlocks: 2
; VGPRBlocks: 1
; NumSGPRsForWavesPerEU: 17
; NumVGPRsForWavesPerEU: 12
; AccumOffset: 12
; Occupancy: 8
; WaveLimiterHint : 1
; COMPUTE_PGM_RSRC2:SCRATCH_EN: 0
; COMPUTE_PGM_RSRC2:USER_SGPR: 2
; COMPUTE_PGM_RSRC2:TRAP_HANDLER: 0
; COMPUTE_PGM_RSRC2:TGID_X_EN: 1
; COMPUTE_PGM_RSRC2:TGID_Y_EN: 0
; COMPUTE_PGM_RSRC2:TGID_Z_EN: 0
; COMPUTE_PGM_RSRC2:TIDIG_COMP_CNT: 0
; COMPUTE_PGM_RSRC3_GFX90A:ACCUM_OFFSET: 2
; COMPUTE_PGM_RSRC3_GFX90A:TG_SPLIT: 0
	.section	.text._ZN9rocsparseL16sddmm_csx_kernelILi512ELi8EL20rocsparse_direction_0EdlidddEEv20rocsparse_operation_S2_16rocsparse_order_S3_T4_S4_S4_T3_NS_24const_host_device_scalarIT2_EEPKT5_lPKT6_lS8_PT7_PKS5_PKS4_21rocsparse_index_base_b,"axG",@progbits,_ZN9rocsparseL16sddmm_csx_kernelILi512ELi8EL20rocsparse_direction_0EdlidddEEv20rocsparse_operation_S2_16rocsparse_order_S3_T4_S4_S4_T3_NS_24const_host_device_scalarIT2_EEPKT5_lPKT6_lS8_PT7_PKS5_PKS4_21rocsparse_index_base_b,comdat
	.globl	_ZN9rocsparseL16sddmm_csx_kernelILi512ELi8EL20rocsparse_direction_0EdlidddEEv20rocsparse_operation_S2_16rocsparse_order_S3_T4_S4_S4_T3_NS_24const_host_device_scalarIT2_EEPKT5_lPKT6_lS8_PT7_PKS5_PKS4_21rocsparse_index_base_b ; -- Begin function _ZN9rocsparseL16sddmm_csx_kernelILi512ELi8EL20rocsparse_direction_0EdlidddEEv20rocsparse_operation_S2_16rocsparse_order_S3_T4_S4_S4_T3_NS_24const_host_device_scalarIT2_EEPKT5_lPKT6_lS8_PT7_PKS5_PKS4_21rocsparse_index_base_b
	.p2align	8
	.type	_ZN9rocsparseL16sddmm_csx_kernelILi512ELi8EL20rocsparse_direction_0EdlidddEEv20rocsparse_operation_S2_16rocsparse_order_S3_T4_S4_S4_T3_NS_24const_host_device_scalarIT2_EEPKT5_lPKT6_lS8_PT7_PKS5_PKS4_21rocsparse_index_base_b,@function
_ZN9rocsparseL16sddmm_csx_kernelILi512ELi8EL20rocsparse_direction_0EdlidddEEv20rocsparse_operation_S2_16rocsparse_order_S3_T4_S4_S4_T3_NS_24const_host_device_scalarIT2_EEPKT5_lPKT6_lS8_PT7_PKS5_PKS4_21rocsparse_index_base_b: ; @_ZN9rocsparseL16sddmm_csx_kernelILi512ELi8EL20rocsparse_direction_0EdlidddEEv20rocsparse_operation_S2_16rocsparse_order_S3_T4_S4_S4_T3_NS_24const_host_device_scalarIT2_EEPKT5_lPKT6_lS8_PT7_PKS5_PKS4_21rocsparse_index_base_b
; %bb.0:
	s_load_dwordx2 s[16:17], s[0:1], 0x70
	s_load_dwordx2 s[6:7], s[0:1], 0x28
	s_load_dwordx4 s[12:15], s[0:1], 0x48
	s_waitcnt lgkmcnt(0)
	s_bitcmp1_b32 s17, 0
	s_cselect_b64 s[8:9], -1, 0
	s_xor_b64 s[4:5], s[8:9], -1
	s_and_b64 vcc, exec, s[8:9]
	v_mov_b64_e32 v[6:7], s[6:7]
	s_cbranch_vccnz .LBB116_2
; %bb.1:
	v_mov_b64_e32 v[2:3], s[6:7]
	flat_load_dwordx2 v[6:7], v[2:3]
.LBB116_2:
	s_andn2_b64 vcc, exec, s[4:5]
	v_mov_b64_e32 v[8:9], s[14:15]
	s_cbranch_vccnz .LBB116_4
; %bb.3:
	v_mov_b64_e32 v[2:3], s[14:15]
	flat_load_dwordx2 v[8:9], v[2:3]
.LBB116_4:
	s_waitcnt vmcnt(0) lgkmcnt(0)
	v_cmp_neq_f64_e32 vcc, 0, v[6:7]
	v_cmp_neq_f64_e64 s[4:5], 1.0, v[8:9]
	s_or_b64 s[4:5], vcc, s[4:5]
	s_and_saveexec_b64 s[6:7], s[4:5]
	s_cbranch_execz .LBB116_36
; %bb.5:
	s_load_dword s4, s[0:1], 0x10
	v_lshrrev_b32_e32 v12, 3, v0
	v_lshl_or_b32 v2, s2, 6, v12
	v_mov_b32_e32 v3, 0
	s_waitcnt lgkmcnt(0)
	s_ashr_i32 s5, s4, 31
	v_cmp_gt_i64_e32 vcc, s[4:5], v[2:3]
	s_and_b64 exec, exec, vcc
	s_cbranch_execz .LBB116_36
; %bb.6:
	s_load_dwordx4 s[4:7], s[0:1], 0x0
	s_load_dwordx2 s[14:15], s[0:1], 0x60
	s_load_dwordx2 s[2:3], s[0:1], 0x38
	s_waitcnt lgkmcnt(0)
	s_cmp_eq_u32 s6, 1
	s_cselect_b64 s[8:9], -1, 0
	s_cmpk_eq_i32 s4, 0x6f
	s_cselect_b64 s[10:11], -1, 0
	s_cmpk_lg_i32 s4, 0x6f
	s_cselect_b64 s[18:19], -1, 0
	s_cmp_lg_u32 s6, 1
	s_cbranch_scc0 .LBB116_10
; %bb.7:
	s_andn2_b64 vcc, exec, s[10:11]
	v_mov_b64_e32 v[10:11], v[2:3]
	s_cbranch_vccnz .LBB116_9
; %bb.8:
	v_mad_u64_u32 v[10:11], s[20:21], s2, v2, 0
	v_mov_b32_e32 v4, v11
	v_mad_u64_u32 v[4:5], s[20:21], s3, v2, v[4:5]
	v_mov_b32_e32 v11, v4
.LBB116_9:
	s_cbranch_execz .LBB116_11
	s_branch .LBB116_13
.LBB116_10:
                                        ; implicit-def: $vgpr10_vgpr11
.LBB116_11:
	s_andn2_b64 vcc, exec, s[18:19]
	v_mov_b64_e32 v[10:11], v[2:3]
	s_cbranch_vccnz .LBB116_13
; %bb.12:
	v_mad_u64_u32 v[10:11], s[18:19], s2, v2, 0
	v_mov_b32_e32 v4, v11
	v_mad_u64_u32 v[4:5], s[18:19], s3, v2, v[4:5]
	v_mov_b32_e32 v11, v4
.LBB116_13:
	v_lshl_add_u64 v[2:3], v[2:3], 3, s[14:15]
	global_load_dwordx4 v[2:5], v[2:3], off
	s_waitcnt vmcnt(0)
	v_cmp_lt_i64_e32 vcc, v[2:3], v[4:5]
	s_and_b64 exec, exec, vcc
	s_cbranch_execz .LBB116_36
; %bb.14:
	s_xor_b64 s[8:9], s[10:11], s[8:9]
	s_and_b64 s[8:9], s[8:9], exec
	v_and_b32_e32 v18, 7, v0
	v_subrev_co_u32_e32 v0, vcc, s16, v2
	s_cselect_b32 s9, 0, s3
	s_cselect_b32 s8, 1, s2
	s_cmp_lg_u32 s7, 1
	v_subbrev_co_u32_e32 v1, vcc, 0, v3, vcc
	s_cselect_b64 s[18:19], -1, 0
	s_cmp_eq_u32 s7, 1
	v_subrev_co_u32_e32 v2, vcc, s16, v4
	s_cselect_b64 s[2:3], -1, 0
	s_cmpk_eq_i32 s5, 0x6f
	v_subbrev_co_u32_e32 v3, vcc, 0, v5, vcc
	v_mad_u64_u32 v[4:5], s[28:29], s8, v18, 0
	s_cselect_b64 s[6:7], -1, 0
	s_cmpk_lg_i32 s5, 0x6f
	s_load_dwordx2 s[26:27], s[0:1], 0x40
	s_load_dwordx2 s[20:21], s[0:1], 0x58
	s_load_dwordx2 s[22:23], s[0:1], 0x30
	s_load_dword s17, s[0:1], 0x18
	v_lshlrev_b32_e32 v19, 6, v12
	v_mov_b32_e32 v12, v5
	s_cselect_b64 s[10:11], -1, 0
	s_xor_b64 s[2:3], s[6:7], s[2:3]
	v_mad_u64_u32 v[12:13], s[28:29], s9, v18, v[12:13]
	s_and_b64 s[2:3], s[2:3], exec
	v_mov_b32_e32 v5, v12
	v_lshlrev_b64 v[10:11], 3, v[10:11]
	s_cselect_b32 s24, s12, 1
	v_lshl_add_u64 v[4:5], v[4:5], 3, v[10:11]
	s_load_dwordx2 s[14:15], s[0:1], 0x68
	s_cselect_b32 s25, s13, 0
	s_waitcnt lgkmcnt(0)
	v_lshl_add_u64 v[4:5], s[22:23], 0, v[4:5]
	s_lshl_b64 s[22:23], s[8:9], 6
	v_mad_u64_u32 v[10:11], s[8:9], s24, v18, 0
	v_mov_b32_e32 v12, v11
	v_mad_u64_u32 v[12:13], s[8:9], s25, v18, v[12:13]
	v_cndmask_b32_e64 v14, 0, 1, s[6:7]
	v_mov_b32_e32 v11, v12
	v_cndmask_b32_e64 v12, 0, 1, s[10:11]
	v_cmp_gt_i32_e64 s[0:1], s17, v18
	v_lshl_or_b32 v20, v18, 3, v19
	v_cmp_eq_u32_e64 s[2:3], 0, v18
	v_cmp_gt_u32_e64 s[4:5], 4, v18
	v_cmp_gt_u32_e64 s[6:7], 2, v18
	v_lshl_add_u64 v[10:11], v[10:11], 3, s[26:27]
	s_lshl_b64 s[24:25], s[24:25], 6
	s_mov_b64 s[26:27], 0
	v_cmp_ne_u32_e64 s[8:9], 1, v12
	v_cmp_ne_u32_e64 s[10:11], 1, v14
	s_branch .LBB116_16
.LBB116_15:                             ;   in Loop: Header=BB116_16 Depth=1
	s_or_b64 exec, exec, s[28:29]
	v_lshl_add_u64 v[0:1], v[0:1], 0, 1
	v_cmp_ge_i64_e32 vcc, v[0:1], v[2:3]
	s_or_b64 s[26:27], vcc, s[26:27]
	s_andn2_b64 exec, exec, s[26:27]
	s_cbranch_execz .LBB116_36
.LBB116_16:                             ; =>This Loop Header: Depth=1
                                        ;     Child Loop BB116_26 Depth 2
	v_lshl_add_u64 v[12:13], v[0:1], 2, s[14:15]
	global_load_dword v12, v[12:13], off
	s_mov_b64 s[28:29], -1
	s_and_b64 vcc, exec, s[18:19]
                                        ; implicit-def: $vgpr14_vgpr15
	s_waitcnt vmcnt(0)
	v_subrev_u32_e32 v12, s16, v12
	v_ashrrev_i32_e32 v13, 31, v12
	s_cbranch_vccnz .LBB116_19
; %bb.17:                               ;   in Loop: Header=BB116_16 Depth=1
	s_andn2_b64 vcc, exec, s[28:29]
	s_cbranch_vccz .LBB116_22
.LBB116_18:                             ;   in Loop: Header=BB116_16 Depth=1
	v_mov_b64_e32 v[12:13], 0
	s_and_saveexec_b64 s[28:29], s[0:1]
	s_cbranch_execnz .LBB116_25
	s_branch .LBB116_28
.LBB116_19:                             ;   in Loop: Header=BB116_16 Depth=1
	s_and_b64 vcc, exec, s[8:9]
	v_mov_b64_e32 v[14:15], v[12:13]
	s_cbranch_vccnz .LBB116_21
; %bb.20:                               ;   in Loop: Header=BB116_16 Depth=1
	v_mul_lo_u32 v16, s13, v12
	v_mul_lo_u32 v17, s12, v13
	v_mad_u64_u32 v[14:15], s[28:29], s12, v12, 0
	v_add3_u32 v15, v15, v17, v16
.LBB116_21:                             ;   in Loop: Header=BB116_16 Depth=1
	s_cbranch_execnz .LBB116_18
.LBB116_22:                             ;   in Loop: Header=BB116_16 Depth=1
	s_and_b64 vcc, exec, s[10:11]
	s_cbranch_vccnz .LBB116_24
; %bb.23:                               ;   in Loop: Header=BB116_16 Depth=1
	v_mul_lo_u32 v14, s13, v12
	v_mul_lo_u32 v15, s12, v13
	v_mad_u64_u32 v[12:13], s[28:29], s12, v12, 0
	v_add3_u32 v13, v13, v15, v14
.LBB116_24:                             ;   in Loop: Header=BB116_16 Depth=1
	v_mov_b64_e32 v[14:15], v[12:13]
	v_mov_b64_e32 v[12:13], 0
	s_and_saveexec_b64 s[28:29], s[0:1]
	s_cbranch_execz .LBB116_28
.LBB116_25:                             ;   in Loop: Header=BB116_16 Depth=1
	v_lshl_add_u64 v[14:15], v[14:15], 3, v[10:11]
	v_mov_b64_e32 v[12:13], 0
	s_mov_b64 s[30:31], 0
	v_mov_b64_e32 v[16:17], v[4:5]
	v_mov_b32_e32 v21, v18
.LBB116_26:                             ;   Parent Loop BB116_16 Depth=1
                                        ; =>  This Inner Loop Header: Depth=2
	global_load_dwordx2 v[22:23], v[16:17], off
	global_load_dwordx2 v[24:25], v[14:15], off
	v_add_u32_e32 v21, 8, v21
	v_cmp_le_i32_e32 vcc, s17, v21
	v_lshl_add_u64 v[16:17], v[16:17], 0, s[22:23]
	v_lshl_add_u64 v[14:15], v[14:15], 0, s[24:25]
	s_or_b64 s[30:31], vcc, s[30:31]
	s_waitcnt vmcnt(0)
	v_fmac_f64_e32 v[12:13], v[22:23], v[24:25]
	s_andn2_b64 exec, exec, s[30:31]
	s_cbranch_execnz .LBB116_26
; %bb.27:                               ;   in Loop: Header=BB116_16 Depth=1
	s_or_b64 exec, exec, s[30:31]
.LBB116_28:                             ;   in Loop: Header=BB116_16 Depth=1
	s_or_b64 exec, exec, s[28:29]
	ds_write_b64 v20, v[12:13]
	s_waitcnt lgkmcnt(0)
	s_barrier
	s_and_saveexec_b64 s[28:29], s[4:5]
	s_cbranch_execz .LBB116_30
; %bb.29:                               ;   in Loop: Header=BB116_16 Depth=1
	ds_read2_b64 v[12:15], v20 offset1:4
	s_waitcnt lgkmcnt(0)
	v_add_f64 v[12:13], v[14:15], v[12:13]
	ds_write_b64 v20, v[12:13]
.LBB116_30:                             ;   in Loop: Header=BB116_16 Depth=1
	s_or_b64 exec, exec, s[28:29]
	s_waitcnt lgkmcnt(0)
	s_barrier
	s_and_saveexec_b64 s[28:29], s[6:7]
	s_cbranch_execz .LBB116_32
; %bb.31:                               ;   in Loop: Header=BB116_16 Depth=1
	ds_read2_b64 v[12:15], v20 offset1:2
	s_waitcnt lgkmcnt(0)
	v_add_f64 v[12:13], v[14:15], v[12:13]
	ds_write_b64 v20, v[12:13]
.LBB116_32:                             ;   in Loop: Header=BB116_16 Depth=1
	s_or_b64 exec, exec, s[28:29]
	;; [unrolled: 11-line block ×3, first 2 shown]
	s_waitcnt lgkmcnt(0)
	s_barrier
	s_and_saveexec_b64 s[28:29], s[2:3]
	s_cbranch_execz .LBB116_15
; %bb.35:                               ;   in Loop: Header=BB116_16 Depth=1
	v_lshl_add_u64 v[12:13], v[0:1], 3, s[20:21]
	global_load_dwordx2 v[14:15], v[12:13], off
	ds_read_b64 v[16:17], v19
	s_waitcnt lgkmcnt(0)
	v_mul_f64 v[16:17], v[6:7], v[16:17]
	s_waitcnt vmcnt(0)
	v_fmac_f64_e32 v[16:17], v[8:9], v[14:15]
	global_store_dwordx2 v[12:13], v[16:17], off
	s_branch .LBB116_15
.LBB116_36:
	s_endpgm
	.section	.rodata,"a",@progbits
	.p2align	6, 0x0
	.amdhsa_kernel _ZN9rocsparseL16sddmm_csx_kernelILi512ELi8EL20rocsparse_direction_0EdlidddEEv20rocsparse_operation_S2_16rocsparse_order_S3_T4_S4_S4_T3_NS_24const_host_device_scalarIT2_EEPKT5_lPKT6_lS8_PT7_PKS5_PKS4_21rocsparse_index_base_b
		.amdhsa_group_segment_fixed_size 4096
		.amdhsa_private_segment_fixed_size 0
		.amdhsa_kernarg_size 120
		.amdhsa_user_sgpr_count 2
		.amdhsa_user_sgpr_dispatch_ptr 0
		.amdhsa_user_sgpr_queue_ptr 0
		.amdhsa_user_sgpr_kernarg_segment_ptr 1
		.amdhsa_user_sgpr_dispatch_id 0
		.amdhsa_user_sgpr_kernarg_preload_length 0
		.amdhsa_user_sgpr_kernarg_preload_offset 0
		.amdhsa_user_sgpr_private_segment_size 0
		.amdhsa_uses_dynamic_stack 0
		.amdhsa_enable_private_segment 0
		.amdhsa_system_sgpr_workgroup_id_x 1
		.amdhsa_system_sgpr_workgroup_id_y 0
		.amdhsa_system_sgpr_workgroup_id_z 0
		.amdhsa_system_sgpr_workgroup_info 0
		.amdhsa_system_vgpr_workitem_id 0
		.amdhsa_next_free_vgpr 26
		.amdhsa_next_free_sgpr 32
		.amdhsa_accum_offset 28
		.amdhsa_reserve_vcc 1
		.amdhsa_float_round_mode_32 0
		.amdhsa_float_round_mode_16_64 0
		.amdhsa_float_denorm_mode_32 3
		.amdhsa_float_denorm_mode_16_64 3
		.amdhsa_dx10_clamp 1
		.amdhsa_ieee_mode 1
		.amdhsa_fp16_overflow 0
		.amdhsa_tg_split 0
		.amdhsa_exception_fp_ieee_invalid_op 0
		.amdhsa_exception_fp_denorm_src 0
		.amdhsa_exception_fp_ieee_div_zero 0
		.amdhsa_exception_fp_ieee_overflow 0
		.amdhsa_exception_fp_ieee_underflow 0
		.amdhsa_exception_fp_ieee_inexact 0
		.amdhsa_exception_int_div_zero 0
	.end_amdhsa_kernel
	.section	.text._ZN9rocsparseL16sddmm_csx_kernelILi512ELi8EL20rocsparse_direction_0EdlidddEEv20rocsparse_operation_S2_16rocsparse_order_S3_T4_S4_S4_T3_NS_24const_host_device_scalarIT2_EEPKT5_lPKT6_lS8_PT7_PKS5_PKS4_21rocsparse_index_base_b,"axG",@progbits,_ZN9rocsparseL16sddmm_csx_kernelILi512ELi8EL20rocsparse_direction_0EdlidddEEv20rocsparse_operation_S2_16rocsparse_order_S3_T4_S4_S4_T3_NS_24const_host_device_scalarIT2_EEPKT5_lPKT6_lS8_PT7_PKS5_PKS4_21rocsparse_index_base_b,comdat
.Lfunc_end116:
	.size	_ZN9rocsparseL16sddmm_csx_kernelILi512ELi8EL20rocsparse_direction_0EdlidddEEv20rocsparse_operation_S2_16rocsparse_order_S3_T4_S4_S4_T3_NS_24const_host_device_scalarIT2_EEPKT5_lPKT6_lS8_PT7_PKS5_PKS4_21rocsparse_index_base_b, .Lfunc_end116-_ZN9rocsparseL16sddmm_csx_kernelILi512ELi8EL20rocsparse_direction_0EdlidddEEv20rocsparse_operation_S2_16rocsparse_order_S3_T4_S4_S4_T3_NS_24const_host_device_scalarIT2_EEPKT5_lPKT6_lS8_PT7_PKS5_PKS4_21rocsparse_index_base_b
                                        ; -- End function
	.set _ZN9rocsparseL16sddmm_csx_kernelILi512ELi8EL20rocsparse_direction_0EdlidddEEv20rocsparse_operation_S2_16rocsparse_order_S3_T4_S4_S4_T3_NS_24const_host_device_scalarIT2_EEPKT5_lPKT6_lS8_PT7_PKS5_PKS4_21rocsparse_index_base_b.num_vgpr, 26
	.set _ZN9rocsparseL16sddmm_csx_kernelILi512ELi8EL20rocsparse_direction_0EdlidddEEv20rocsparse_operation_S2_16rocsparse_order_S3_T4_S4_S4_T3_NS_24const_host_device_scalarIT2_EEPKT5_lPKT6_lS8_PT7_PKS5_PKS4_21rocsparse_index_base_b.num_agpr, 0
	.set _ZN9rocsparseL16sddmm_csx_kernelILi512ELi8EL20rocsparse_direction_0EdlidddEEv20rocsparse_operation_S2_16rocsparse_order_S3_T4_S4_S4_T3_NS_24const_host_device_scalarIT2_EEPKT5_lPKT6_lS8_PT7_PKS5_PKS4_21rocsparse_index_base_b.numbered_sgpr, 32
	.set _ZN9rocsparseL16sddmm_csx_kernelILi512ELi8EL20rocsparse_direction_0EdlidddEEv20rocsparse_operation_S2_16rocsparse_order_S3_T4_S4_S4_T3_NS_24const_host_device_scalarIT2_EEPKT5_lPKT6_lS8_PT7_PKS5_PKS4_21rocsparse_index_base_b.num_named_barrier, 0
	.set _ZN9rocsparseL16sddmm_csx_kernelILi512ELi8EL20rocsparse_direction_0EdlidddEEv20rocsparse_operation_S2_16rocsparse_order_S3_T4_S4_S4_T3_NS_24const_host_device_scalarIT2_EEPKT5_lPKT6_lS8_PT7_PKS5_PKS4_21rocsparse_index_base_b.private_seg_size, 0
	.set _ZN9rocsparseL16sddmm_csx_kernelILi512ELi8EL20rocsparse_direction_0EdlidddEEv20rocsparse_operation_S2_16rocsparse_order_S3_T4_S4_S4_T3_NS_24const_host_device_scalarIT2_EEPKT5_lPKT6_lS8_PT7_PKS5_PKS4_21rocsparse_index_base_b.uses_vcc, 1
	.set _ZN9rocsparseL16sddmm_csx_kernelILi512ELi8EL20rocsparse_direction_0EdlidddEEv20rocsparse_operation_S2_16rocsparse_order_S3_T4_S4_S4_T3_NS_24const_host_device_scalarIT2_EEPKT5_lPKT6_lS8_PT7_PKS5_PKS4_21rocsparse_index_base_b.uses_flat_scratch, 0
	.set _ZN9rocsparseL16sddmm_csx_kernelILi512ELi8EL20rocsparse_direction_0EdlidddEEv20rocsparse_operation_S2_16rocsparse_order_S3_T4_S4_S4_T3_NS_24const_host_device_scalarIT2_EEPKT5_lPKT6_lS8_PT7_PKS5_PKS4_21rocsparse_index_base_b.has_dyn_sized_stack, 0
	.set _ZN9rocsparseL16sddmm_csx_kernelILi512ELi8EL20rocsparse_direction_0EdlidddEEv20rocsparse_operation_S2_16rocsparse_order_S3_T4_S4_S4_T3_NS_24const_host_device_scalarIT2_EEPKT5_lPKT6_lS8_PT7_PKS5_PKS4_21rocsparse_index_base_b.has_recursion, 0
	.set _ZN9rocsparseL16sddmm_csx_kernelILi512ELi8EL20rocsparse_direction_0EdlidddEEv20rocsparse_operation_S2_16rocsparse_order_S3_T4_S4_S4_T3_NS_24const_host_device_scalarIT2_EEPKT5_lPKT6_lS8_PT7_PKS5_PKS4_21rocsparse_index_base_b.has_indirect_call, 0
	.section	.AMDGPU.csdata,"",@progbits
; Kernel info:
; codeLenInByte = 1148
; TotalNumSgprs: 38
; NumVgprs: 26
; NumAgprs: 0
; TotalNumVgprs: 26
; ScratchSize: 0
; MemoryBound: 0
; FloatMode: 240
; IeeeMode: 1
; LDSByteSize: 4096 bytes/workgroup (compile time only)
; SGPRBlocks: 4
; VGPRBlocks: 3
; NumSGPRsForWavesPerEU: 38
; NumVGPRsForWavesPerEU: 26
; AccumOffset: 28
; Occupancy: 8
; WaveLimiterHint : 1
; COMPUTE_PGM_RSRC2:SCRATCH_EN: 0
; COMPUTE_PGM_RSRC2:USER_SGPR: 2
; COMPUTE_PGM_RSRC2:TRAP_HANDLER: 0
; COMPUTE_PGM_RSRC2:TGID_X_EN: 1
; COMPUTE_PGM_RSRC2:TGID_Y_EN: 0
; COMPUTE_PGM_RSRC2:TGID_Z_EN: 0
; COMPUTE_PGM_RSRC2:TIDIG_COMP_CNT: 0
; COMPUTE_PGM_RSRC3_GFX90A:ACCUM_OFFSET: 6
; COMPUTE_PGM_RSRC3_GFX90A:TG_SPLIT: 0
	.section	.text._ZN9rocsparseL16sddmm_csx_kernelILi512ELi4EL20rocsparse_direction_0EdlidddEEv20rocsparse_operation_S2_16rocsparse_order_S3_T4_S4_S4_T3_NS_24const_host_device_scalarIT2_EEPKT5_lPKT6_lS8_PT7_PKS5_PKS4_21rocsparse_index_base_b,"axG",@progbits,_ZN9rocsparseL16sddmm_csx_kernelILi512ELi4EL20rocsparse_direction_0EdlidddEEv20rocsparse_operation_S2_16rocsparse_order_S3_T4_S4_S4_T3_NS_24const_host_device_scalarIT2_EEPKT5_lPKT6_lS8_PT7_PKS5_PKS4_21rocsparse_index_base_b,comdat
	.globl	_ZN9rocsparseL16sddmm_csx_kernelILi512ELi4EL20rocsparse_direction_0EdlidddEEv20rocsparse_operation_S2_16rocsparse_order_S3_T4_S4_S4_T3_NS_24const_host_device_scalarIT2_EEPKT5_lPKT6_lS8_PT7_PKS5_PKS4_21rocsparse_index_base_b ; -- Begin function _ZN9rocsparseL16sddmm_csx_kernelILi512ELi4EL20rocsparse_direction_0EdlidddEEv20rocsparse_operation_S2_16rocsparse_order_S3_T4_S4_S4_T3_NS_24const_host_device_scalarIT2_EEPKT5_lPKT6_lS8_PT7_PKS5_PKS4_21rocsparse_index_base_b
	.p2align	8
	.type	_ZN9rocsparseL16sddmm_csx_kernelILi512ELi4EL20rocsparse_direction_0EdlidddEEv20rocsparse_operation_S2_16rocsparse_order_S3_T4_S4_S4_T3_NS_24const_host_device_scalarIT2_EEPKT5_lPKT6_lS8_PT7_PKS5_PKS4_21rocsparse_index_base_b,@function
_ZN9rocsparseL16sddmm_csx_kernelILi512ELi4EL20rocsparse_direction_0EdlidddEEv20rocsparse_operation_S2_16rocsparse_order_S3_T4_S4_S4_T3_NS_24const_host_device_scalarIT2_EEPKT5_lPKT6_lS8_PT7_PKS5_PKS4_21rocsparse_index_base_b: ; @_ZN9rocsparseL16sddmm_csx_kernelILi512ELi4EL20rocsparse_direction_0EdlidddEEv20rocsparse_operation_S2_16rocsparse_order_S3_T4_S4_S4_T3_NS_24const_host_device_scalarIT2_EEPKT5_lPKT6_lS8_PT7_PKS5_PKS4_21rocsparse_index_base_b
; %bb.0:
	s_load_dwordx2 s[10:11], s[0:1], 0x70
	s_load_dwordx2 s[6:7], s[0:1], 0x28
	s_load_dwordx4 s[12:15], s[0:1], 0x48
	s_waitcnt lgkmcnt(0)
	s_bitcmp1_b32 s11, 0
	s_cselect_b64 s[8:9], -1, 0
	s_xor_b64 s[4:5], s[8:9], -1
	s_and_b64 vcc, exec, s[8:9]
	v_mov_b64_e32 v[6:7], s[6:7]
	s_cbranch_vccnz .LBB117_2
; %bb.1:
	v_mov_b64_e32 v[2:3], s[6:7]
	flat_load_dwordx2 v[6:7], v[2:3]
.LBB117_2:
	s_andn2_b64 vcc, exec, s[4:5]
	v_mov_b64_e32 v[8:9], s[14:15]
	s_cbranch_vccnz .LBB117_4
; %bb.3:
	v_mov_b64_e32 v[2:3], s[14:15]
	flat_load_dwordx2 v[8:9], v[2:3]
.LBB117_4:
	s_waitcnt vmcnt(0) lgkmcnt(0)
	v_cmp_neq_f64_e32 vcc, 0, v[6:7]
	v_cmp_neq_f64_e64 s[4:5], 1.0, v[8:9]
	s_or_b64 s[4:5], vcc, s[4:5]
	s_and_saveexec_b64 s[6:7], s[4:5]
	s_cbranch_execz .LBB117_34
; %bb.5:
	s_load_dword s4, s[0:1], 0x10
	v_lshrrev_b32_e32 v12, 2, v0
	v_lshl_or_b32 v2, s2, 7, v12
	v_mov_b32_e32 v3, 0
	s_waitcnt lgkmcnt(0)
	s_ashr_i32 s5, s4, 31
	v_cmp_gt_i64_e32 vcc, s[4:5], v[2:3]
	s_and_b64 exec, exec, vcc
	s_cbranch_execz .LBB117_34
; %bb.6:
	s_load_dwordx4 s[4:7], s[0:1], 0x0
	s_load_dwordx2 s[14:15], s[0:1], 0x60
	s_load_dwordx2 s[2:3], s[0:1], 0x38
	s_waitcnt lgkmcnt(0)
	s_cmp_eq_u32 s6, 1
	s_cselect_b64 s[8:9], -1, 0
	s_cmpk_eq_i32 s4, 0x6f
	s_cselect_b64 s[16:17], -1, 0
	s_cmpk_lg_i32 s4, 0x6f
	s_cselect_b64 s[18:19], -1, 0
	s_cmp_lg_u32 s6, 1
	s_cbranch_scc0 .LBB117_10
; %bb.7:
	s_andn2_b64 vcc, exec, s[16:17]
	v_mov_b64_e32 v[10:11], v[2:3]
	s_cbranch_vccnz .LBB117_9
; %bb.8:
	v_mad_u64_u32 v[10:11], s[20:21], s2, v2, 0
	v_mov_b32_e32 v4, v11
	v_mad_u64_u32 v[4:5], s[20:21], s3, v2, v[4:5]
	v_mov_b32_e32 v11, v4
.LBB117_9:
	s_cbranch_execz .LBB117_11
	s_branch .LBB117_13
.LBB117_10:
                                        ; implicit-def: $vgpr10_vgpr11
.LBB117_11:
	s_andn2_b64 vcc, exec, s[18:19]
	v_mov_b64_e32 v[10:11], v[2:3]
	s_cbranch_vccnz .LBB117_13
; %bb.12:
	v_mad_u64_u32 v[10:11], s[18:19], s2, v2, 0
	v_mov_b32_e32 v4, v11
	v_mad_u64_u32 v[4:5], s[18:19], s3, v2, v[4:5]
	v_mov_b32_e32 v11, v4
.LBB117_13:
	v_lshl_add_u64 v[2:3], v[2:3], 3, s[14:15]
	global_load_dwordx4 v[2:5], v[2:3], off
	s_waitcnt vmcnt(0)
	v_cmp_lt_i64_e32 vcc, v[2:3], v[4:5]
	s_and_b64 exec, exec, vcc
	s_cbranch_execz .LBB117_34
; %bb.14:
	s_xor_b64 s[8:9], s[16:17], s[8:9]
	s_and_b64 s[8:9], s[8:9], exec
	v_and_b32_e32 v18, 3, v0
	v_subrev_co_u32_e32 v0, vcc, s10, v2
	s_cselect_b32 s9, 0, s3
	s_cselect_b32 s8, 1, s2
	s_cmp_lg_u32 s7, 1
	v_subbrev_co_u32_e32 v1, vcc, 0, v3, vcc
	s_cselect_b64 s[16:17], -1, 0
	s_cmp_eq_u32 s7, 1
	v_subrev_co_u32_e32 v2, vcc, s10, v4
	s_cselect_b64 s[2:3], -1, 0
	s_cmpk_eq_i32 s5, 0x6f
	v_subbrev_co_u32_e32 v3, vcc, 0, v5, vcc
	v_mad_u64_u32 v[4:5], s[24:25], s8, v18, 0
	s_cselect_b64 s[6:7], -1, 0
	s_cmpk_lg_i32 s5, 0x6f
	s_load_dwordx2 s[22:23], s[0:1], 0x40
	s_load_dwordx2 s[18:19], s[0:1], 0x58
	;; [unrolled: 1-line block ×3, first 2 shown]
	s_load_dword s11, s[0:1], 0x18
	v_lshlrev_b32_e32 v19, 5, v12
	v_mov_b32_e32 v12, v5
	s_cselect_b64 s[26:27], -1, 0
	s_xor_b64 s[2:3], s[6:7], s[2:3]
	v_mad_u64_u32 v[12:13], s[24:25], s9, v18, v[12:13]
	s_and_b64 s[2:3], s[2:3], exec
	v_mov_b32_e32 v5, v12
	v_lshlrev_b64 v[10:11], 3, v[10:11]
	v_cndmask_b32_e64 v14, 0, 1, s[6:7]
	s_cselect_b32 s6, s12, 1
	v_lshl_add_u64 v[4:5], v[4:5], 3, v[10:11]
	s_load_dwordx2 s[14:15], s[0:1], 0x68
	s_cselect_b32 s7, s13, 0
	s_waitcnt lgkmcnt(0)
	v_lshl_add_u64 v[4:5], s[20:21], 0, v[4:5]
	s_lshl_b64 s[20:21], s[8:9], 5
	v_mad_u64_u32 v[10:11], s[8:9], s6, v18, 0
	v_mov_b32_e32 v12, v11
	v_mad_u64_u32 v[12:13], s[8:9], s7, v18, v[12:13]
	v_mov_b32_e32 v11, v12
	v_cndmask_b32_e64 v12, 0, 1, s[26:27]
	v_cmp_gt_i32_e64 s[0:1], s11, v18
	v_lshl_or_b32 v20, v18, 3, v19
	v_cmp_eq_u32_e64 s[2:3], 0, v18
	v_cmp_gt_u32_e64 s[4:5], 2, v18
	v_lshl_add_u64 v[10:11], v[10:11], 3, s[22:23]
	s_lshl_b64 s[22:23], s[6:7], 5
	s_mov_b64 s[24:25], 0
	v_cmp_ne_u32_e64 s[6:7], 1, v12
	v_cmp_ne_u32_e64 s[8:9], 1, v14
	s_branch .LBB117_16
.LBB117_15:                             ;   in Loop: Header=BB117_16 Depth=1
	s_or_b64 exec, exec, s[26:27]
	v_lshl_add_u64 v[0:1], v[0:1], 0, 1
	v_cmp_ge_i64_e32 vcc, v[0:1], v[2:3]
	s_or_b64 s[24:25], vcc, s[24:25]
	s_andn2_b64 exec, exec, s[24:25]
	s_cbranch_execz .LBB117_34
.LBB117_16:                             ; =>This Loop Header: Depth=1
                                        ;     Child Loop BB117_26 Depth 2
	v_lshl_add_u64 v[12:13], v[0:1], 2, s[14:15]
	global_load_dword v12, v[12:13], off
	s_mov_b64 s[26:27], -1
	s_and_b64 vcc, exec, s[16:17]
                                        ; implicit-def: $vgpr14_vgpr15
	s_waitcnt vmcnt(0)
	v_subrev_u32_e32 v12, s10, v12
	v_ashrrev_i32_e32 v13, 31, v12
	s_cbranch_vccnz .LBB117_19
; %bb.17:                               ;   in Loop: Header=BB117_16 Depth=1
	s_andn2_b64 vcc, exec, s[26:27]
	s_cbranch_vccz .LBB117_22
.LBB117_18:                             ;   in Loop: Header=BB117_16 Depth=1
	v_mov_b64_e32 v[12:13], 0
	s_and_saveexec_b64 s[26:27], s[0:1]
	s_cbranch_execnz .LBB117_25
	s_branch .LBB117_28
.LBB117_19:                             ;   in Loop: Header=BB117_16 Depth=1
	s_and_b64 vcc, exec, s[6:7]
	v_mov_b64_e32 v[14:15], v[12:13]
	s_cbranch_vccnz .LBB117_21
; %bb.20:                               ;   in Loop: Header=BB117_16 Depth=1
	v_mul_lo_u32 v16, s13, v12
	v_mul_lo_u32 v17, s12, v13
	v_mad_u64_u32 v[14:15], s[26:27], s12, v12, 0
	v_add3_u32 v15, v15, v17, v16
.LBB117_21:                             ;   in Loop: Header=BB117_16 Depth=1
	s_cbranch_execnz .LBB117_18
.LBB117_22:                             ;   in Loop: Header=BB117_16 Depth=1
	s_and_b64 vcc, exec, s[8:9]
	s_cbranch_vccnz .LBB117_24
; %bb.23:                               ;   in Loop: Header=BB117_16 Depth=1
	v_mul_lo_u32 v14, s13, v12
	v_mul_lo_u32 v15, s12, v13
	v_mad_u64_u32 v[12:13], s[26:27], s12, v12, 0
	v_add3_u32 v13, v13, v15, v14
.LBB117_24:                             ;   in Loop: Header=BB117_16 Depth=1
	v_mov_b64_e32 v[14:15], v[12:13]
	v_mov_b64_e32 v[12:13], 0
	s_and_saveexec_b64 s[26:27], s[0:1]
	s_cbranch_execz .LBB117_28
.LBB117_25:                             ;   in Loop: Header=BB117_16 Depth=1
	v_lshl_add_u64 v[14:15], v[14:15], 3, v[10:11]
	v_mov_b64_e32 v[12:13], 0
	s_mov_b64 s[28:29], 0
	v_mov_b64_e32 v[16:17], v[4:5]
	v_mov_b32_e32 v21, v18
.LBB117_26:                             ;   Parent Loop BB117_16 Depth=1
                                        ; =>  This Inner Loop Header: Depth=2
	global_load_dwordx2 v[22:23], v[16:17], off
	global_load_dwordx2 v[24:25], v[14:15], off
	v_add_u32_e32 v21, 4, v21
	v_cmp_le_i32_e32 vcc, s11, v21
	v_lshl_add_u64 v[16:17], v[16:17], 0, s[20:21]
	v_lshl_add_u64 v[14:15], v[14:15], 0, s[22:23]
	s_or_b64 s[28:29], vcc, s[28:29]
	s_waitcnt vmcnt(0)
	v_fmac_f64_e32 v[12:13], v[22:23], v[24:25]
	s_andn2_b64 exec, exec, s[28:29]
	s_cbranch_execnz .LBB117_26
; %bb.27:                               ;   in Loop: Header=BB117_16 Depth=1
	s_or_b64 exec, exec, s[28:29]
.LBB117_28:                             ;   in Loop: Header=BB117_16 Depth=1
	s_or_b64 exec, exec, s[26:27]
	ds_write_b64 v20, v[12:13]
	s_waitcnt lgkmcnt(0)
	s_barrier
	s_and_saveexec_b64 s[26:27], s[4:5]
	s_cbranch_execz .LBB117_30
; %bb.29:                               ;   in Loop: Header=BB117_16 Depth=1
	ds_read2_b64 v[12:15], v20 offset1:2
	s_waitcnt lgkmcnt(0)
	v_add_f64 v[12:13], v[14:15], v[12:13]
	ds_write_b64 v20, v[12:13]
.LBB117_30:                             ;   in Loop: Header=BB117_16 Depth=1
	s_or_b64 exec, exec, s[26:27]
	s_waitcnt lgkmcnt(0)
	s_barrier
	s_and_saveexec_b64 s[26:27], s[2:3]
	s_cbranch_execz .LBB117_32
; %bb.31:                               ;   in Loop: Header=BB117_16 Depth=1
	ds_read2_b64 v[12:15], v20 offset1:1
	s_waitcnt lgkmcnt(0)
	v_add_f64 v[12:13], v[14:15], v[12:13]
	ds_write_b64 v20, v[12:13]
.LBB117_32:                             ;   in Loop: Header=BB117_16 Depth=1
	s_or_b64 exec, exec, s[26:27]
	s_waitcnt lgkmcnt(0)
	s_barrier
	s_and_saveexec_b64 s[26:27], s[2:3]
	s_cbranch_execz .LBB117_15
; %bb.33:                               ;   in Loop: Header=BB117_16 Depth=1
	v_lshl_add_u64 v[12:13], v[0:1], 3, s[18:19]
	global_load_dwordx2 v[14:15], v[12:13], off
	ds_read_b64 v[16:17], v19
	s_waitcnt lgkmcnt(0)
	v_mul_f64 v[16:17], v[6:7], v[16:17]
	s_waitcnt vmcnt(0)
	v_fmac_f64_e32 v[16:17], v[8:9], v[14:15]
	global_store_dwordx2 v[12:13], v[16:17], off
	s_branch .LBB117_15
.LBB117_34:
	s_endpgm
	.section	.rodata,"a",@progbits
	.p2align	6, 0x0
	.amdhsa_kernel _ZN9rocsparseL16sddmm_csx_kernelILi512ELi4EL20rocsparse_direction_0EdlidddEEv20rocsparse_operation_S2_16rocsparse_order_S3_T4_S4_S4_T3_NS_24const_host_device_scalarIT2_EEPKT5_lPKT6_lS8_PT7_PKS5_PKS4_21rocsparse_index_base_b
		.amdhsa_group_segment_fixed_size 4096
		.amdhsa_private_segment_fixed_size 0
		.amdhsa_kernarg_size 120
		.amdhsa_user_sgpr_count 2
		.amdhsa_user_sgpr_dispatch_ptr 0
		.amdhsa_user_sgpr_queue_ptr 0
		.amdhsa_user_sgpr_kernarg_segment_ptr 1
		.amdhsa_user_sgpr_dispatch_id 0
		.amdhsa_user_sgpr_kernarg_preload_length 0
		.amdhsa_user_sgpr_kernarg_preload_offset 0
		.amdhsa_user_sgpr_private_segment_size 0
		.amdhsa_uses_dynamic_stack 0
		.amdhsa_enable_private_segment 0
		.amdhsa_system_sgpr_workgroup_id_x 1
		.amdhsa_system_sgpr_workgroup_id_y 0
		.amdhsa_system_sgpr_workgroup_id_z 0
		.amdhsa_system_sgpr_workgroup_info 0
		.amdhsa_system_vgpr_workitem_id 0
		.amdhsa_next_free_vgpr 26
		.amdhsa_next_free_sgpr 30
		.amdhsa_accum_offset 28
		.amdhsa_reserve_vcc 1
		.amdhsa_float_round_mode_32 0
		.amdhsa_float_round_mode_16_64 0
		.amdhsa_float_denorm_mode_32 3
		.amdhsa_float_denorm_mode_16_64 3
		.amdhsa_dx10_clamp 1
		.amdhsa_ieee_mode 1
		.amdhsa_fp16_overflow 0
		.amdhsa_tg_split 0
		.amdhsa_exception_fp_ieee_invalid_op 0
		.amdhsa_exception_fp_denorm_src 0
		.amdhsa_exception_fp_ieee_div_zero 0
		.amdhsa_exception_fp_ieee_overflow 0
		.amdhsa_exception_fp_ieee_underflow 0
		.amdhsa_exception_fp_ieee_inexact 0
		.amdhsa_exception_int_div_zero 0
	.end_amdhsa_kernel
	.section	.text._ZN9rocsparseL16sddmm_csx_kernelILi512ELi4EL20rocsparse_direction_0EdlidddEEv20rocsparse_operation_S2_16rocsparse_order_S3_T4_S4_S4_T3_NS_24const_host_device_scalarIT2_EEPKT5_lPKT6_lS8_PT7_PKS5_PKS4_21rocsparse_index_base_b,"axG",@progbits,_ZN9rocsparseL16sddmm_csx_kernelILi512ELi4EL20rocsparse_direction_0EdlidddEEv20rocsparse_operation_S2_16rocsparse_order_S3_T4_S4_S4_T3_NS_24const_host_device_scalarIT2_EEPKT5_lPKT6_lS8_PT7_PKS5_PKS4_21rocsparse_index_base_b,comdat
.Lfunc_end117:
	.size	_ZN9rocsparseL16sddmm_csx_kernelILi512ELi4EL20rocsparse_direction_0EdlidddEEv20rocsparse_operation_S2_16rocsparse_order_S3_T4_S4_S4_T3_NS_24const_host_device_scalarIT2_EEPKT5_lPKT6_lS8_PT7_PKS5_PKS4_21rocsparse_index_base_b, .Lfunc_end117-_ZN9rocsparseL16sddmm_csx_kernelILi512ELi4EL20rocsparse_direction_0EdlidddEEv20rocsparse_operation_S2_16rocsparse_order_S3_T4_S4_S4_T3_NS_24const_host_device_scalarIT2_EEPKT5_lPKT6_lS8_PT7_PKS5_PKS4_21rocsparse_index_base_b
                                        ; -- End function
	.set _ZN9rocsparseL16sddmm_csx_kernelILi512ELi4EL20rocsparse_direction_0EdlidddEEv20rocsparse_operation_S2_16rocsparse_order_S3_T4_S4_S4_T3_NS_24const_host_device_scalarIT2_EEPKT5_lPKT6_lS8_PT7_PKS5_PKS4_21rocsparse_index_base_b.num_vgpr, 26
	.set _ZN9rocsparseL16sddmm_csx_kernelILi512ELi4EL20rocsparse_direction_0EdlidddEEv20rocsparse_operation_S2_16rocsparse_order_S3_T4_S4_S4_T3_NS_24const_host_device_scalarIT2_EEPKT5_lPKT6_lS8_PT7_PKS5_PKS4_21rocsparse_index_base_b.num_agpr, 0
	.set _ZN9rocsparseL16sddmm_csx_kernelILi512ELi4EL20rocsparse_direction_0EdlidddEEv20rocsparse_operation_S2_16rocsparse_order_S3_T4_S4_S4_T3_NS_24const_host_device_scalarIT2_EEPKT5_lPKT6_lS8_PT7_PKS5_PKS4_21rocsparse_index_base_b.numbered_sgpr, 30
	.set _ZN9rocsparseL16sddmm_csx_kernelILi512ELi4EL20rocsparse_direction_0EdlidddEEv20rocsparse_operation_S2_16rocsparse_order_S3_T4_S4_S4_T3_NS_24const_host_device_scalarIT2_EEPKT5_lPKT6_lS8_PT7_PKS5_PKS4_21rocsparse_index_base_b.num_named_barrier, 0
	.set _ZN9rocsparseL16sddmm_csx_kernelILi512ELi4EL20rocsparse_direction_0EdlidddEEv20rocsparse_operation_S2_16rocsparse_order_S3_T4_S4_S4_T3_NS_24const_host_device_scalarIT2_EEPKT5_lPKT6_lS8_PT7_PKS5_PKS4_21rocsparse_index_base_b.private_seg_size, 0
	.set _ZN9rocsparseL16sddmm_csx_kernelILi512ELi4EL20rocsparse_direction_0EdlidddEEv20rocsparse_operation_S2_16rocsparse_order_S3_T4_S4_S4_T3_NS_24const_host_device_scalarIT2_EEPKT5_lPKT6_lS8_PT7_PKS5_PKS4_21rocsparse_index_base_b.uses_vcc, 1
	.set _ZN9rocsparseL16sddmm_csx_kernelILi512ELi4EL20rocsparse_direction_0EdlidddEEv20rocsparse_operation_S2_16rocsparse_order_S3_T4_S4_S4_T3_NS_24const_host_device_scalarIT2_EEPKT5_lPKT6_lS8_PT7_PKS5_PKS4_21rocsparse_index_base_b.uses_flat_scratch, 0
	.set _ZN9rocsparseL16sddmm_csx_kernelILi512ELi4EL20rocsparse_direction_0EdlidddEEv20rocsparse_operation_S2_16rocsparse_order_S3_T4_S4_S4_T3_NS_24const_host_device_scalarIT2_EEPKT5_lPKT6_lS8_PT7_PKS5_PKS4_21rocsparse_index_base_b.has_dyn_sized_stack, 0
	.set _ZN9rocsparseL16sddmm_csx_kernelILi512ELi4EL20rocsparse_direction_0EdlidddEEv20rocsparse_operation_S2_16rocsparse_order_S3_T4_S4_S4_T3_NS_24const_host_device_scalarIT2_EEPKT5_lPKT6_lS8_PT7_PKS5_PKS4_21rocsparse_index_base_b.has_recursion, 0
	.set _ZN9rocsparseL16sddmm_csx_kernelILi512ELi4EL20rocsparse_direction_0EdlidddEEv20rocsparse_operation_S2_16rocsparse_order_S3_T4_S4_S4_T3_NS_24const_host_device_scalarIT2_EEPKT5_lPKT6_lS8_PT7_PKS5_PKS4_21rocsparse_index_base_b.has_indirect_call, 0
	.section	.AMDGPU.csdata,"",@progbits
; Kernel info:
; codeLenInByte = 1092
; TotalNumSgprs: 36
; NumVgprs: 26
; NumAgprs: 0
; TotalNumVgprs: 26
; ScratchSize: 0
; MemoryBound: 0
; FloatMode: 240
; IeeeMode: 1
; LDSByteSize: 4096 bytes/workgroup (compile time only)
; SGPRBlocks: 4
; VGPRBlocks: 3
; NumSGPRsForWavesPerEU: 36
; NumVGPRsForWavesPerEU: 26
; AccumOffset: 28
; Occupancy: 8
; WaveLimiterHint : 1
; COMPUTE_PGM_RSRC2:SCRATCH_EN: 0
; COMPUTE_PGM_RSRC2:USER_SGPR: 2
; COMPUTE_PGM_RSRC2:TRAP_HANDLER: 0
; COMPUTE_PGM_RSRC2:TGID_X_EN: 1
; COMPUTE_PGM_RSRC2:TGID_Y_EN: 0
; COMPUTE_PGM_RSRC2:TGID_Z_EN: 0
; COMPUTE_PGM_RSRC2:TIDIG_COMP_CNT: 0
; COMPUTE_PGM_RSRC3_GFX90A:ACCUM_OFFSET: 6
; COMPUTE_PGM_RSRC3_GFX90A:TG_SPLIT: 0
	.section	.text._ZN9rocsparseL16sddmm_csx_kernelILi512ELi2EL20rocsparse_direction_0EdlidddEEv20rocsparse_operation_S2_16rocsparse_order_S3_T4_S4_S4_T3_NS_24const_host_device_scalarIT2_EEPKT5_lPKT6_lS8_PT7_PKS5_PKS4_21rocsparse_index_base_b,"axG",@progbits,_ZN9rocsparseL16sddmm_csx_kernelILi512ELi2EL20rocsparse_direction_0EdlidddEEv20rocsparse_operation_S2_16rocsparse_order_S3_T4_S4_S4_T3_NS_24const_host_device_scalarIT2_EEPKT5_lPKT6_lS8_PT7_PKS5_PKS4_21rocsparse_index_base_b,comdat
	.globl	_ZN9rocsparseL16sddmm_csx_kernelILi512ELi2EL20rocsparse_direction_0EdlidddEEv20rocsparse_operation_S2_16rocsparse_order_S3_T4_S4_S4_T3_NS_24const_host_device_scalarIT2_EEPKT5_lPKT6_lS8_PT7_PKS5_PKS4_21rocsparse_index_base_b ; -- Begin function _ZN9rocsparseL16sddmm_csx_kernelILi512ELi2EL20rocsparse_direction_0EdlidddEEv20rocsparse_operation_S2_16rocsparse_order_S3_T4_S4_S4_T3_NS_24const_host_device_scalarIT2_EEPKT5_lPKT6_lS8_PT7_PKS5_PKS4_21rocsparse_index_base_b
	.p2align	8
	.type	_ZN9rocsparseL16sddmm_csx_kernelILi512ELi2EL20rocsparse_direction_0EdlidddEEv20rocsparse_operation_S2_16rocsparse_order_S3_T4_S4_S4_T3_NS_24const_host_device_scalarIT2_EEPKT5_lPKT6_lS8_PT7_PKS5_PKS4_21rocsparse_index_base_b,@function
_ZN9rocsparseL16sddmm_csx_kernelILi512ELi2EL20rocsparse_direction_0EdlidddEEv20rocsparse_operation_S2_16rocsparse_order_S3_T4_S4_S4_T3_NS_24const_host_device_scalarIT2_EEPKT5_lPKT6_lS8_PT7_PKS5_PKS4_21rocsparse_index_base_b: ; @_ZN9rocsparseL16sddmm_csx_kernelILi512ELi2EL20rocsparse_direction_0EdlidddEEv20rocsparse_operation_S2_16rocsparse_order_S3_T4_S4_S4_T3_NS_24const_host_device_scalarIT2_EEPKT5_lPKT6_lS8_PT7_PKS5_PKS4_21rocsparse_index_base_b
; %bb.0:
	s_load_dwordx2 s[12:13], s[0:1], 0x70
	s_load_dwordx2 s[6:7], s[0:1], 0x28
	s_load_dwordx4 s[8:11], s[0:1], 0x48
	s_waitcnt lgkmcnt(0)
	s_bitcmp1_b32 s13, 0
	s_cselect_b64 s[14:15], -1, 0
	s_xor_b64 s[4:5], s[14:15], -1
	s_and_b64 vcc, exec, s[14:15]
	v_mov_b64_e32 v[6:7], s[6:7]
	s_cbranch_vccnz .LBB118_2
; %bb.1:
	v_mov_b64_e32 v[2:3], s[6:7]
	flat_load_dwordx2 v[6:7], v[2:3]
.LBB118_2:
	s_andn2_b64 vcc, exec, s[4:5]
	v_mov_b64_e32 v[8:9], s[10:11]
	s_cbranch_vccnz .LBB118_4
; %bb.3:
	v_mov_b64_e32 v[2:3], s[10:11]
	flat_load_dwordx2 v[8:9], v[2:3]
.LBB118_4:
	s_waitcnt vmcnt(0) lgkmcnt(0)
	v_cmp_neq_f64_e32 vcc, 0, v[6:7]
	v_cmp_neq_f64_e64 s[4:5], 1.0, v[8:9]
	s_or_b64 s[4:5], vcc, s[4:5]
	s_and_saveexec_b64 s[6:7], s[4:5]
	s_cbranch_execz .LBB118_32
; %bb.5:
	s_load_dword s4, s[0:1], 0x10
	v_lshrrev_b32_e32 v12, 1, v0
	v_lshl_or_b32 v2, s2, 8, v12
	v_mov_b32_e32 v3, 0
	s_waitcnt lgkmcnt(0)
	s_ashr_i32 s5, s4, 31
	v_cmp_gt_i64_e32 vcc, s[4:5], v[2:3]
	s_and_b64 exec, exec, vcc
	s_cbranch_execz .LBB118_32
; %bb.6:
	s_load_dwordx4 s[4:7], s[0:1], 0x0
	s_load_dwordx2 s[10:11], s[0:1], 0x60
	s_load_dwordx2 s[2:3], s[0:1], 0x38
	s_waitcnt lgkmcnt(0)
	s_cmp_eq_u32 s6, 1
	s_cselect_b64 s[14:15], -1, 0
	s_cmpk_eq_i32 s4, 0x6f
	s_cselect_b64 s[16:17], -1, 0
	s_cmpk_lg_i32 s4, 0x6f
	s_cselect_b64 s[18:19], -1, 0
	s_cmp_lg_u32 s6, 1
	s_cbranch_scc0 .LBB118_10
; %bb.7:
	s_andn2_b64 vcc, exec, s[16:17]
	v_mov_b64_e32 v[10:11], v[2:3]
	s_cbranch_vccnz .LBB118_9
; %bb.8:
	v_mad_u64_u32 v[10:11], s[20:21], s2, v2, 0
	v_mov_b32_e32 v4, v11
	v_mad_u64_u32 v[4:5], s[20:21], s3, v2, v[4:5]
	v_mov_b32_e32 v11, v4
.LBB118_9:
	s_cbranch_execz .LBB118_11
	s_branch .LBB118_13
.LBB118_10:
                                        ; implicit-def: $vgpr10_vgpr11
.LBB118_11:
	s_andn2_b64 vcc, exec, s[18:19]
	v_mov_b64_e32 v[10:11], v[2:3]
	s_cbranch_vccnz .LBB118_13
; %bb.12:
	v_mad_u64_u32 v[10:11], s[18:19], s2, v2, 0
	v_mov_b32_e32 v4, v11
	v_mad_u64_u32 v[4:5], s[18:19], s3, v2, v[4:5]
	v_mov_b32_e32 v11, v4
.LBB118_13:
	v_lshl_add_u64 v[2:3], v[2:3], 3, s[10:11]
	global_load_dwordx4 v[2:5], v[2:3], off
	s_waitcnt vmcnt(0)
	v_cmp_lt_i64_e32 vcc, v[2:3], v[4:5]
	s_and_b64 exec, exec, vcc
	s_cbranch_execz .LBB118_32
; %bb.14:
	s_xor_b64 s[14:15], s[16:17], s[14:15]
	s_and_b64 s[14:15], s[14:15], exec
	s_cselect_b32 s19, 0, s3
	s_cselect_b32 s18, 1, s2
	s_cmp_lg_u32 s7, 1
	s_cselect_b64 s[14:15], -1, 0
	s_cmp_eq_u32 s7, 1
	s_cselect_b64 s[2:3], -1, 0
	s_cmpk_eq_i32 s5, 0x6f
	s_cselect_b64 s[6:7], -1, 0
	s_cmpk_lg_i32 s5, 0x6f
	v_and_b32_e32 v18, 1, v0
	s_load_dwordx2 s[20:21], s[0:1], 0x40
	s_load_dwordx2 s[16:17], s[0:1], 0x58
	;; [unrolled: 1-line block ×3, first 2 shown]
	s_load_dword s13, s[0:1], 0x18
	v_subrev_co_u32_e32 v0, vcc, s12, v2
	s_load_dwordx2 s[10:11], s[0:1], 0x68
	s_cselect_b64 s[4:5], -1, 0
	s_xor_b64 s[2:3], s[6:7], s[2:3]
	v_subbrev_co_u32_e32 v1, vcc, 0, v3, vcc
	s_and_b64 s[2:3], s[2:3], exec
	v_subrev_co_u32_e32 v2, vcc, s12, v4
	v_cndmask_b32_e64 v13, 0, 1, s[6:7]
	s_cselect_b32 s7, s9, 0
	s_cselect_b32 s6, s8, 1
	v_subbrev_co_u32_e32 v3, vcc, 0, v5, vcc
	v_mul_lo_u32 v5, s19, v18
	v_mul_lo_u32 v4, s18, v18
	v_lshlrev_b64 v[10:11], 3, v[10:11]
	v_lshlrev_b32_e32 v19, 4, v12
	v_lshl_add_u64 v[4:5], v[4:5], 3, v[10:11]
	v_mul_lo_u32 v11, s7, v18
	v_mul_lo_u32 v10, s6, v18
	v_cndmask_b32_e64 v12, 0, 1, s[4:5]
	s_waitcnt lgkmcnt(0)
	v_cmp_gt_i32_e64 s[0:1], s13, v18
	v_lshl_or_b32 v20, v18, 3, v19
	v_cmp_eq_u32_e64 s[2:3], 0, v18
	v_lshl_add_u64 v[4:5], s[22:23], 0, v[4:5]
	s_lshl_b64 s[18:19], s[18:19], 4
	v_lshl_add_u64 v[10:11], v[10:11], 3, s[20:21]
	s_lshl_b64 s[20:21], s[6:7], 4
	s_mov_b64 s[22:23], 0
	v_cmp_ne_u32_e64 s[4:5], 1, v12
	v_cmp_ne_u32_e64 s[6:7], 1, v13
	s_branch .LBB118_16
.LBB118_15:                             ;   in Loop: Header=BB118_16 Depth=1
	s_or_b64 exec, exec, s[24:25]
	v_lshl_add_u64 v[0:1], v[0:1], 0, 1
	v_cmp_ge_i64_e32 vcc, v[0:1], v[2:3]
	s_or_b64 s[22:23], vcc, s[22:23]
	s_andn2_b64 exec, exec, s[22:23]
	s_cbranch_execz .LBB118_32
.LBB118_16:                             ; =>This Loop Header: Depth=1
                                        ;     Child Loop BB118_26 Depth 2
	v_lshl_add_u64 v[12:13], v[0:1], 2, s[10:11]
	global_load_dword v12, v[12:13], off
	s_mov_b64 s[24:25], -1
	s_and_b64 vcc, exec, s[14:15]
                                        ; implicit-def: $vgpr14_vgpr15
	s_waitcnt vmcnt(0)
	v_subrev_u32_e32 v12, s12, v12
	v_ashrrev_i32_e32 v13, 31, v12
	s_cbranch_vccnz .LBB118_19
; %bb.17:                               ;   in Loop: Header=BB118_16 Depth=1
	s_andn2_b64 vcc, exec, s[24:25]
	s_cbranch_vccz .LBB118_22
.LBB118_18:                             ;   in Loop: Header=BB118_16 Depth=1
	v_mov_b64_e32 v[12:13], 0
	s_and_saveexec_b64 s[24:25], s[0:1]
	s_cbranch_execnz .LBB118_25
	s_branch .LBB118_28
.LBB118_19:                             ;   in Loop: Header=BB118_16 Depth=1
	s_and_b64 vcc, exec, s[4:5]
	v_mov_b64_e32 v[14:15], v[12:13]
	s_cbranch_vccnz .LBB118_21
; %bb.20:                               ;   in Loop: Header=BB118_16 Depth=1
	v_mul_lo_u32 v16, s9, v12
	v_mul_lo_u32 v17, s8, v13
	v_mad_u64_u32 v[14:15], s[24:25], s8, v12, 0
	v_add3_u32 v15, v15, v17, v16
.LBB118_21:                             ;   in Loop: Header=BB118_16 Depth=1
	s_cbranch_execnz .LBB118_18
.LBB118_22:                             ;   in Loop: Header=BB118_16 Depth=1
	s_and_b64 vcc, exec, s[6:7]
	s_cbranch_vccnz .LBB118_24
; %bb.23:                               ;   in Loop: Header=BB118_16 Depth=1
	v_mul_lo_u32 v14, s9, v12
	v_mul_lo_u32 v15, s8, v13
	v_mad_u64_u32 v[12:13], s[24:25], s8, v12, 0
	v_add3_u32 v13, v13, v15, v14
.LBB118_24:                             ;   in Loop: Header=BB118_16 Depth=1
	v_mov_b64_e32 v[14:15], v[12:13]
	v_mov_b64_e32 v[12:13], 0
	s_and_saveexec_b64 s[24:25], s[0:1]
	s_cbranch_execz .LBB118_28
.LBB118_25:                             ;   in Loop: Header=BB118_16 Depth=1
	v_lshl_add_u64 v[14:15], v[14:15], 3, v[10:11]
	v_mov_b64_e32 v[12:13], 0
	s_mov_b64 s[26:27], 0
	v_mov_b64_e32 v[16:17], v[4:5]
	v_mov_b32_e32 v21, v18
.LBB118_26:                             ;   Parent Loop BB118_16 Depth=1
                                        ; =>  This Inner Loop Header: Depth=2
	global_load_dwordx2 v[22:23], v[16:17], off
	global_load_dwordx2 v[24:25], v[14:15], off
	v_add_u32_e32 v21, 2, v21
	v_cmp_le_i32_e32 vcc, s13, v21
	v_lshl_add_u64 v[16:17], v[16:17], 0, s[18:19]
	v_lshl_add_u64 v[14:15], v[14:15], 0, s[20:21]
	s_or_b64 s[26:27], vcc, s[26:27]
	s_waitcnt vmcnt(0)
	v_fmac_f64_e32 v[12:13], v[22:23], v[24:25]
	s_andn2_b64 exec, exec, s[26:27]
	s_cbranch_execnz .LBB118_26
; %bb.27:                               ;   in Loop: Header=BB118_16 Depth=1
	s_or_b64 exec, exec, s[26:27]
.LBB118_28:                             ;   in Loop: Header=BB118_16 Depth=1
	s_or_b64 exec, exec, s[24:25]
	ds_write_b64 v20, v[12:13]
	s_waitcnt lgkmcnt(0)
	s_barrier
	s_and_saveexec_b64 s[24:25], s[2:3]
	s_cbranch_execz .LBB118_30
; %bb.29:                               ;   in Loop: Header=BB118_16 Depth=1
	ds_read_b64 v[12:13], v19 offset:8
	ds_read_b64 v[14:15], v20
	s_waitcnt lgkmcnt(0)
	v_add_f64 v[12:13], v[12:13], v[14:15]
	ds_write_b64 v20, v[12:13]
.LBB118_30:                             ;   in Loop: Header=BB118_16 Depth=1
	s_or_b64 exec, exec, s[24:25]
	s_waitcnt lgkmcnt(0)
	s_barrier
	s_and_saveexec_b64 s[24:25], s[2:3]
	s_cbranch_execz .LBB118_15
; %bb.31:                               ;   in Loop: Header=BB118_16 Depth=1
	v_lshl_add_u64 v[12:13], v[0:1], 3, s[16:17]
	global_load_dwordx2 v[14:15], v[12:13], off
	ds_read_b64 v[16:17], v19
	s_waitcnt lgkmcnt(0)
	v_mul_f64 v[16:17], v[6:7], v[16:17]
	s_waitcnt vmcnt(0)
	v_fmac_f64_e32 v[16:17], v[8:9], v[14:15]
	global_store_dwordx2 v[12:13], v[16:17], off
	s_branch .LBB118_15
.LBB118_32:
	s_endpgm
	.section	.rodata,"a",@progbits
	.p2align	6, 0x0
	.amdhsa_kernel _ZN9rocsparseL16sddmm_csx_kernelILi512ELi2EL20rocsparse_direction_0EdlidddEEv20rocsparse_operation_S2_16rocsparse_order_S3_T4_S4_S4_T3_NS_24const_host_device_scalarIT2_EEPKT5_lPKT6_lS8_PT7_PKS5_PKS4_21rocsparse_index_base_b
		.amdhsa_group_segment_fixed_size 4096
		.amdhsa_private_segment_fixed_size 0
		.amdhsa_kernarg_size 120
		.amdhsa_user_sgpr_count 2
		.amdhsa_user_sgpr_dispatch_ptr 0
		.amdhsa_user_sgpr_queue_ptr 0
		.amdhsa_user_sgpr_kernarg_segment_ptr 1
		.amdhsa_user_sgpr_dispatch_id 0
		.amdhsa_user_sgpr_kernarg_preload_length 0
		.amdhsa_user_sgpr_kernarg_preload_offset 0
		.amdhsa_user_sgpr_private_segment_size 0
		.amdhsa_uses_dynamic_stack 0
		.amdhsa_enable_private_segment 0
		.amdhsa_system_sgpr_workgroup_id_x 1
		.amdhsa_system_sgpr_workgroup_id_y 0
		.amdhsa_system_sgpr_workgroup_id_z 0
		.amdhsa_system_sgpr_workgroup_info 0
		.amdhsa_system_vgpr_workitem_id 0
		.amdhsa_next_free_vgpr 26
		.amdhsa_next_free_sgpr 28
		.amdhsa_accum_offset 28
		.amdhsa_reserve_vcc 1
		.amdhsa_float_round_mode_32 0
		.amdhsa_float_round_mode_16_64 0
		.amdhsa_float_denorm_mode_32 3
		.amdhsa_float_denorm_mode_16_64 3
		.amdhsa_dx10_clamp 1
		.amdhsa_ieee_mode 1
		.amdhsa_fp16_overflow 0
		.amdhsa_tg_split 0
		.amdhsa_exception_fp_ieee_invalid_op 0
		.amdhsa_exception_fp_denorm_src 0
		.amdhsa_exception_fp_ieee_div_zero 0
		.amdhsa_exception_fp_ieee_overflow 0
		.amdhsa_exception_fp_ieee_underflow 0
		.amdhsa_exception_fp_ieee_inexact 0
		.amdhsa_exception_int_div_zero 0
	.end_amdhsa_kernel
	.section	.text._ZN9rocsparseL16sddmm_csx_kernelILi512ELi2EL20rocsparse_direction_0EdlidddEEv20rocsparse_operation_S2_16rocsparse_order_S3_T4_S4_S4_T3_NS_24const_host_device_scalarIT2_EEPKT5_lPKT6_lS8_PT7_PKS5_PKS4_21rocsparse_index_base_b,"axG",@progbits,_ZN9rocsparseL16sddmm_csx_kernelILi512ELi2EL20rocsparse_direction_0EdlidddEEv20rocsparse_operation_S2_16rocsparse_order_S3_T4_S4_S4_T3_NS_24const_host_device_scalarIT2_EEPKT5_lPKT6_lS8_PT7_PKS5_PKS4_21rocsparse_index_base_b,comdat
.Lfunc_end118:
	.size	_ZN9rocsparseL16sddmm_csx_kernelILi512ELi2EL20rocsparse_direction_0EdlidddEEv20rocsparse_operation_S2_16rocsparse_order_S3_T4_S4_S4_T3_NS_24const_host_device_scalarIT2_EEPKT5_lPKT6_lS8_PT7_PKS5_PKS4_21rocsparse_index_base_b, .Lfunc_end118-_ZN9rocsparseL16sddmm_csx_kernelILi512ELi2EL20rocsparse_direction_0EdlidddEEv20rocsparse_operation_S2_16rocsparse_order_S3_T4_S4_S4_T3_NS_24const_host_device_scalarIT2_EEPKT5_lPKT6_lS8_PT7_PKS5_PKS4_21rocsparse_index_base_b
                                        ; -- End function
	.set _ZN9rocsparseL16sddmm_csx_kernelILi512ELi2EL20rocsparse_direction_0EdlidddEEv20rocsparse_operation_S2_16rocsparse_order_S3_T4_S4_S4_T3_NS_24const_host_device_scalarIT2_EEPKT5_lPKT6_lS8_PT7_PKS5_PKS4_21rocsparse_index_base_b.num_vgpr, 26
	.set _ZN9rocsparseL16sddmm_csx_kernelILi512ELi2EL20rocsparse_direction_0EdlidddEEv20rocsparse_operation_S2_16rocsparse_order_S3_T4_S4_S4_T3_NS_24const_host_device_scalarIT2_EEPKT5_lPKT6_lS8_PT7_PKS5_PKS4_21rocsparse_index_base_b.num_agpr, 0
	.set _ZN9rocsparseL16sddmm_csx_kernelILi512ELi2EL20rocsparse_direction_0EdlidddEEv20rocsparse_operation_S2_16rocsparse_order_S3_T4_S4_S4_T3_NS_24const_host_device_scalarIT2_EEPKT5_lPKT6_lS8_PT7_PKS5_PKS4_21rocsparse_index_base_b.numbered_sgpr, 28
	.set _ZN9rocsparseL16sddmm_csx_kernelILi512ELi2EL20rocsparse_direction_0EdlidddEEv20rocsparse_operation_S2_16rocsparse_order_S3_T4_S4_S4_T3_NS_24const_host_device_scalarIT2_EEPKT5_lPKT6_lS8_PT7_PKS5_PKS4_21rocsparse_index_base_b.num_named_barrier, 0
	.set _ZN9rocsparseL16sddmm_csx_kernelILi512ELi2EL20rocsparse_direction_0EdlidddEEv20rocsparse_operation_S2_16rocsparse_order_S3_T4_S4_S4_T3_NS_24const_host_device_scalarIT2_EEPKT5_lPKT6_lS8_PT7_PKS5_PKS4_21rocsparse_index_base_b.private_seg_size, 0
	.set _ZN9rocsparseL16sddmm_csx_kernelILi512ELi2EL20rocsparse_direction_0EdlidddEEv20rocsparse_operation_S2_16rocsparse_order_S3_T4_S4_S4_T3_NS_24const_host_device_scalarIT2_EEPKT5_lPKT6_lS8_PT7_PKS5_PKS4_21rocsparse_index_base_b.uses_vcc, 1
	.set _ZN9rocsparseL16sddmm_csx_kernelILi512ELi2EL20rocsparse_direction_0EdlidddEEv20rocsparse_operation_S2_16rocsparse_order_S3_T4_S4_S4_T3_NS_24const_host_device_scalarIT2_EEPKT5_lPKT6_lS8_PT7_PKS5_PKS4_21rocsparse_index_base_b.uses_flat_scratch, 0
	.set _ZN9rocsparseL16sddmm_csx_kernelILi512ELi2EL20rocsparse_direction_0EdlidddEEv20rocsparse_operation_S2_16rocsparse_order_S3_T4_S4_S4_T3_NS_24const_host_device_scalarIT2_EEPKT5_lPKT6_lS8_PT7_PKS5_PKS4_21rocsparse_index_base_b.has_dyn_sized_stack, 0
	.set _ZN9rocsparseL16sddmm_csx_kernelILi512ELi2EL20rocsparse_direction_0EdlidddEEv20rocsparse_operation_S2_16rocsparse_order_S3_T4_S4_S4_T3_NS_24const_host_device_scalarIT2_EEPKT5_lPKT6_lS8_PT7_PKS5_PKS4_21rocsparse_index_base_b.has_recursion, 0
	.set _ZN9rocsparseL16sddmm_csx_kernelILi512ELi2EL20rocsparse_direction_0EdlidddEEv20rocsparse_operation_S2_16rocsparse_order_S3_T4_S4_S4_T3_NS_24const_host_device_scalarIT2_EEPKT5_lPKT6_lS8_PT7_PKS5_PKS4_21rocsparse_index_base_b.has_indirect_call, 0
	.section	.AMDGPU.csdata,"",@progbits
; Kernel info:
; codeLenInByte = 1028
; TotalNumSgprs: 34
; NumVgprs: 26
; NumAgprs: 0
; TotalNumVgprs: 26
; ScratchSize: 0
; MemoryBound: 0
; FloatMode: 240
; IeeeMode: 1
; LDSByteSize: 4096 bytes/workgroup (compile time only)
; SGPRBlocks: 4
; VGPRBlocks: 3
; NumSGPRsForWavesPerEU: 34
; NumVGPRsForWavesPerEU: 26
; AccumOffset: 28
; Occupancy: 8
; WaveLimiterHint : 1
; COMPUTE_PGM_RSRC2:SCRATCH_EN: 0
; COMPUTE_PGM_RSRC2:USER_SGPR: 2
; COMPUTE_PGM_RSRC2:TRAP_HANDLER: 0
; COMPUTE_PGM_RSRC2:TGID_X_EN: 1
; COMPUTE_PGM_RSRC2:TGID_Y_EN: 0
; COMPUTE_PGM_RSRC2:TGID_Z_EN: 0
; COMPUTE_PGM_RSRC2:TIDIG_COMP_CNT: 0
; COMPUTE_PGM_RSRC3_GFX90A:ACCUM_OFFSET: 6
; COMPUTE_PGM_RSRC3_GFX90A:TG_SPLIT: 0
	.section	.text._ZN9rocsparseL16sddmm_csx_kernelILi512ELi1EL20rocsparse_direction_0EdlidddEEv20rocsparse_operation_S2_16rocsparse_order_S3_T4_S4_S4_T3_NS_24const_host_device_scalarIT2_EEPKT5_lPKT6_lS8_PT7_PKS5_PKS4_21rocsparse_index_base_b,"axG",@progbits,_ZN9rocsparseL16sddmm_csx_kernelILi512ELi1EL20rocsparse_direction_0EdlidddEEv20rocsparse_operation_S2_16rocsparse_order_S3_T4_S4_S4_T3_NS_24const_host_device_scalarIT2_EEPKT5_lPKT6_lS8_PT7_PKS5_PKS4_21rocsparse_index_base_b,comdat
	.globl	_ZN9rocsparseL16sddmm_csx_kernelILi512ELi1EL20rocsparse_direction_0EdlidddEEv20rocsparse_operation_S2_16rocsparse_order_S3_T4_S4_S4_T3_NS_24const_host_device_scalarIT2_EEPKT5_lPKT6_lS8_PT7_PKS5_PKS4_21rocsparse_index_base_b ; -- Begin function _ZN9rocsparseL16sddmm_csx_kernelILi512ELi1EL20rocsparse_direction_0EdlidddEEv20rocsparse_operation_S2_16rocsparse_order_S3_T4_S4_S4_T3_NS_24const_host_device_scalarIT2_EEPKT5_lPKT6_lS8_PT7_PKS5_PKS4_21rocsparse_index_base_b
	.p2align	8
	.type	_ZN9rocsparseL16sddmm_csx_kernelILi512ELi1EL20rocsparse_direction_0EdlidddEEv20rocsparse_operation_S2_16rocsparse_order_S3_T4_S4_S4_T3_NS_24const_host_device_scalarIT2_EEPKT5_lPKT6_lS8_PT7_PKS5_PKS4_21rocsparse_index_base_b,@function
_ZN9rocsparseL16sddmm_csx_kernelILi512ELi1EL20rocsparse_direction_0EdlidddEEv20rocsparse_operation_S2_16rocsparse_order_S3_T4_S4_S4_T3_NS_24const_host_device_scalarIT2_EEPKT5_lPKT6_lS8_PT7_PKS5_PKS4_21rocsparse_index_base_b: ; @_ZN9rocsparseL16sddmm_csx_kernelILi512ELi1EL20rocsparse_direction_0EdlidddEEv20rocsparse_operation_S2_16rocsparse_order_S3_T4_S4_S4_T3_NS_24const_host_device_scalarIT2_EEPKT5_lPKT6_lS8_PT7_PKS5_PKS4_21rocsparse_index_base_b
; %bb.0:
	s_load_dwordx2 s[12:13], s[0:1], 0x70
	s_load_dwordx2 s[6:7], s[0:1], 0x28
	s_load_dwordx4 s[8:11], s[0:1], 0x48
	s_waitcnt lgkmcnt(0)
	s_bitcmp1_b32 s13, 0
	s_cselect_b64 s[14:15], -1, 0
	s_xor_b64 s[4:5], s[14:15], -1
	s_and_b64 vcc, exec, s[14:15]
	v_mov_b64_e32 v[6:7], s[6:7]
	s_cbranch_vccnz .LBB119_2
; %bb.1:
	v_mov_b64_e32 v[2:3], s[6:7]
	flat_load_dwordx2 v[6:7], v[2:3]
.LBB119_2:
	s_andn2_b64 vcc, exec, s[4:5]
	v_mov_b64_e32 v[8:9], s[10:11]
	s_cbranch_vccnz .LBB119_4
; %bb.3:
	v_mov_b64_e32 v[2:3], s[10:11]
	flat_load_dwordx2 v[8:9], v[2:3]
.LBB119_4:
	s_waitcnt vmcnt(0) lgkmcnt(0)
	v_cmp_neq_f64_e32 vcc, 0, v[6:7]
	v_cmp_neq_f64_e64 s[4:5], 1.0, v[8:9]
	s_or_b64 s[4:5], vcc, s[4:5]
	s_and_saveexec_b64 s[6:7], s[4:5]
	s_cbranch_execz .LBB119_28
; %bb.5:
	s_load_dword s4, s[0:1], 0x10
	v_lshl_or_b32 v2, s2, 9, v0
	v_mov_b32_e32 v3, 0
	s_waitcnt lgkmcnt(0)
	s_ashr_i32 s5, s4, 31
	v_cmp_gt_i64_e32 vcc, s[4:5], v[2:3]
	s_and_b64 exec, exec, vcc
	s_cbranch_execz .LBB119_28
; %bb.6:
	s_load_dwordx4 s[4:7], s[0:1], 0x0
	s_load_dwordx2 s[10:11], s[0:1], 0x60
	s_load_dwordx2 s[2:3], s[0:1], 0x38
	s_waitcnt lgkmcnt(0)
	s_cmp_eq_u32 s6, 1
	s_cselect_b64 s[18:19], -1, 0
	s_cmpk_eq_i32 s4, 0x6f
	s_cselect_b64 s[20:21], -1, 0
	s_cmpk_lg_i32 s4, 0x6f
	s_cselect_b64 s[14:15], -1, 0
	s_cmp_lg_u32 s6, 1
	s_cbranch_scc0 .LBB119_10
; %bb.7:
	s_andn2_b64 vcc, exec, s[20:21]
	v_mov_b64_e32 v[10:11], v[2:3]
	s_cbranch_vccnz .LBB119_9
; %bb.8:
	v_mad_u64_u32 v[10:11], s[16:17], s2, v2, 0
	v_mov_b32_e32 v4, v11
	v_mad_u64_u32 v[4:5], s[16:17], s3, v2, v[4:5]
	v_mov_b32_e32 v11, v4
.LBB119_9:
	s_cbranch_execz .LBB119_11
	s_branch .LBB119_13
.LBB119_10:
                                        ; implicit-def: $vgpr10_vgpr11
.LBB119_11:
	s_andn2_b64 vcc, exec, s[14:15]
	v_mov_b64_e32 v[10:11], v[2:3]
	s_cbranch_vccnz .LBB119_13
; %bb.12:
	v_mad_u64_u32 v[10:11], s[14:15], s2, v2, 0
	v_mov_b32_e32 v4, v11
	v_mad_u64_u32 v[4:5], s[14:15], s3, v2, v[4:5]
	v_mov_b32_e32 v11, v4
.LBB119_13:
	v_lshl_add_u64 v[2:3], v[2:3], 3, s[10:11]
	global_load_dwordx4 v[2:5], v[2:3], off
	s_waitcnt vmcnt(0)
	v_cmp_lt_i64_e32 vcc, v[2:3], v[4:5]
	s_and_b64 exec, exec, vcc
	s_cbranch_execz .LBB119_28
; %bb.14:
	s_load_dwordx2 s[22:23], s[0:1], 0x30
	s_load_dwordx2 s[10:11], s[0:1], 0x68
	;; [unrolled: 1-line block ×4, first 2 shown]
	s_load_dword s13, s[0:1], 0x18
	s_xor_b64 s[0:1], s[20:21], s[18:19]
	s_and_b64 s[0:1], s[0:1], exec
	s_cselect_b32 s1, 0, s3
	s_cselect_b32 s0, 1, s2
	s_cmp_lg_u32 s7, 1
	s_cselect_b64 s[18:19], -1, 0
	s_cmp_eq_u32 s7, 1
	s_cselect_b64 s[2:3], -1, 0
	s_cmpk_eq_i32 s5, 0x6f
	s_cselect_b64 s[6:7], -1, 0
	s_cmpk_lg_i32 s5, 0x6f
	s_cselect_b64 s[4:5], -1, 0
	s_xor_b64 s[2:3], s[6:7], s[2:3]
	s_and_b64 s[2:3], s[2:3], exec
	v_subrev_co_u32_e32 v2, vcc, s12, v2
	s_cselect_b32 s3, s9, 0
	s_cselect_b32 s2, s8, 1
	v_subbrev_co_u32_e32 v3, vcc, 0, v3, vcc
	s_waitcnt lgkmcnt(0)
	s_cmp_gt_i32 s13, 0
	s_cselect_b64 s[24:25], -1, 0
	v_lshlrev_b32_e32 v16, 3, v0
	v_subrev_co_u32_e32 v0, vcc, s12, v4
	v_cndmask_b32_e64 v4, 0, 1, s[4:5]
	v_cndmask_b32_e64 v12, 0, 1, s[6:7]
	s_lshl_b64 s[6:7], s[0:1], 3
	v_cmp_ne_u32_e64 s[0:1], 1, v4
	v_cndmask_b32_e64 v4, 0, 1, s[24:25]
	v_lshl_add_u64 v[10:11], v[10:11], 3, s[22:23]
	v_subbrev_co_u32_e32 v1, vcc, 0, v5, vcc
	s_lshl_b64 s[20:21], s[2:3], 3
	s_mov_b64 s[22:23], 0
	v_cmp_ne_u32_e64 s[2:3], 1, v12
	v_cmp_ne_u32_e64 s[4:5], 1, v4
	s_branch .LBB119_17
.LBB119_15:                             ;   in Loop: Header=BB119_17 Depth=1
	v_mov_b64_e32 v[4:5], 0
.LBB119_16:                             ;   in Loop: Header=BB119_17 Depth=1
	ds_write_b64 v16, v[4:5]
	v_lshl_add_u64 v[4:5], v[2:3], 3, s[16:17]
	s_waitcnt lgkmcnt(0)
	s_barrier
	global_load_dwordx2 v[12:13], v[4:5], off
	ds_read_b64 v[14:15], v16
	v_lshl_add_u64 v[2:3], v[2:3], 0, 1
	v_cmp_ge_i64_e32 vcc, v[2:3], v[0:1]
	s_or_b64 s[22:23], vcc, s[22:23]
	s_waitcnt lgkmcnt(0)
	v_mul_f64 v[14:15], v[6:7], v[14:15]
	s_waitcnt vmcnt(0)
	v_fmac_f64_e32 v[14:15], v[8:9], v[12:13]
	global_store_dwordx2 v[4:5], v[14:15], off
	s_andn2_b64 exec, exec, s[22:23]
	s_cbranch_execz .LBB119_28
.LBB119_17:                             ; =>This Loop Header: Depth=1
                                        ;     Child Loop BB119_27 Depth 2
	v_lshl_add_u64 v[4:5], v[2:3], 2, s[10:11]
	global_load_dword v4, v[4:5], off
	s_mov_b64 s[24:25], -1
	s_and_b64 vcc, exec, s[18:19]
                                        ; implicit-def: $vgpr12_vgpr13
	s_waitcnt vmcnt(0)
	v_subrev_u32_e32 v4, s12, v4
	v_ashrrev_i32_e32 v5, 31, v4
	s_cbranch_vccnz .LBB119_20
; %bb.18:                               ;   in Loop: Header=BB119_17 Depth=1
	s_andn2_b64 vcc, exec, s[24:25]
	s_cbranch_vccz .LBB119_23
.LBB119_19:                             ;   in Loop: Header=BB119_17 Depth=1
	s_and_b64 vcc, exec, s[4:5]
	s_cbranch_vccz .LBB119_26
	s_branch .LBB119_15
.LBB119_20:                             ;   in Loop: Header=BB119_17 Depth=1
	s_and_b64 vcc, exec, s[0:1]
	v_mov_b64_e32 v[12:13], v[4:5]
	s_cbranch_vccnz .LBB119_22
; %bb.21:                               ;   in Loop: Header=BB119_17 Depth=1
	v_mul_lo_u32 v14, s9, v4
	v_mul_lo_u32 v15, s8, v5
	v_mad_u64_u32 v[12:13], s[24:25], s8, v4, 0
	v_add3_u32 v13, v13, v15, v14
.LBB119_22:                             ;   in Loop: Header=BB119_17 Depth=1
	s_cbranch_execnz .LBB119_19
.LBB119_23:                             ;   in Loop: Header=BB119_17 Depth=1
	s_and_b64 vcc, exec, s[2:3]
	s_cbranch_vccnz .LBB119_25
; %bb.24:                               ;   in Loop: Header=BB119_17 Depth=1
	v_mul_lo_u32 v12, s9, v4
	v_mul_lo_u32 v13, s8, v5
	v_mad_u64_u32 v[4:5], s[24:25], s8, v4, 0
	v_add3_u32 v5, v5, v13, v12
.LBB119_25:                             ;   in Loop: Header=BB119_17 Depth=1
	v_mov_b64_e32 v[12:13], v[4:5]
	s_and_b64 vcc, exec, s[4:5]
	s_cbranch_vccnz .LBB119_15
.LBB119_26:                             ;   in Loop: Header=BB119_17 Depth=1
	v_lshl_add_u64 v[12:13], v[12:13], 3, s[14:15]
	v_mov_b64_e32 v[4:5], 0
	v_mov_b64_e32 v[14:15], v[10:11]
	s_mov_b32 s24, s13
.LBB119_27:                             ;   Parent Loop BB119_17 Depth=1
                                        ; =>  This Inner Loop Header: Depth=2
	global_load_dwordx2 v[18:19], v[14:15], off
	global_load_dwordx2 v[20:21], v[12:13], off
	s_add_i32 s24, s24, -1
	v_lshl_add_u64 v[14:15], v[14:15], 0, s[6:7]
	v_lshl_add_u64 v[12:13], v[12:13], 0, s[20:21]
	s_cmp_eq_u32 s24, 0
	s_waitcnt vmcnt(0)
	v_fmac_f64_e32 v[4:5], v[18:19], v[20:21]
	s_cbranch_scc0 .LBB119_27
	s_branch .LBB119_16
.LBB119_28:
	s_endpgm
	.section	.rodata,"a",@progbits
	.p2align	6, 0x0
	.amdhsa_kernel _ZN9rocsparseL16sddmm_csx_kernelILi512ELi1EL20rocsparse_direction_0EdlidddEEv20rocsparse_operation_S2_16rocsparse_order_S3_T4_S4_S4_T3_NS_24const_host_device_scalarIT2_EEPKT5_lPKT6_lS8_PT7_PKS5_PKS4_21rocsparse_index_base_b
		.amdhsa_group_segment_fixed_size 4096
		.amdhsa_private_segment_fixed_size 0
		.amdhsa_kernarg_size 120
		.amdhsa_user_sgpr_count 2
		.amdhsa_user_sgpr_dispatch_ptr 0
		.amdhsa_user_sgpr_queue_ptr 0
		.amdhsa_user_sgpr_kernarg_segment_ptr 1
		.amdhsa_user_sgpr_dispatch_id 0
		.amdhsa_user_sgpr_kernarg_preload_length 0
		.amdhsa_user_sgpr_kernarg_preload_offset 0
		.amdhsa_user_sgpr_private_segment_size 0
		.amdhsa_uses_dynamic_stack 0
		.amdhsa_enable_private_segment 0
		.amdhsa_system_sgpr_workgroup_id_x 1
		.amdhsa_system_sgpr_workgroup_id_y 0
		.amdhsa_system_sgpr_workgroup_id_z 0
		.amdhsa_system_sgpr_workgroup_info 0
		.amdhsa_system_vgpr_workitem_id 0
		.amdhsa_next_free_vgpr 22
		.amdhsa_next_free_sgpr 26
		.amdhsa_accum_offset 24
		.amdhsa_reserve_vcc 1
		.amdhsa_float_round_mode_32 0
		.amdhsa_float_round_mode_16_64 0
		.amdhsa_float_denorm_mode_32 3
		.amdhsa_float_denorm_mode_16_64 3
		.amdhsa_dx10_clamp 1
		.amdhsa_ieee_mode 1
		.amdhsa_fp16_overflow 0
		.amdhsa_tg_split 0
		.amdhsa_exception_fp_ieee_invalid_op 0
		.amdhsa_exception_fp_denorm_src 0
		.amdhsa_exception_fp_ieee_div_zero 0
		.amdhsa_exception_fp_ieee_overflow 0
		.amdhsa_exception_fp_ieee_underflow 0
		.amdhsa_exception_fp_ieee_inexact 0
		.amdhsa_exception_int_div_zero 0
	.end_amdhsa_kernel
	.section	.text._ZN9rocsparseL16sddmm_csx_kernelILi512ELi1EL20rocsparse_direction_0EdlidddEEv20rocsparse_operation_S2_16rocsparse_order_S3_T4_S4_S4_T3_NS_24const_host_device_scalarIT2_EEPKT5_lPKT6_lS8_PT7_PKS5_PKS4_21rocsparse_index_base_b,"axG",@progbits,_ZN9rocsparseL16sddmm_csx_kernelILi512ELi1EL20rocsparse_direction_0EdlidddEEv20rocsparse_operation_S2_16rocsparse_order_S3_T4_S4_S4_T3_NS_24const_host_device_scalarIT2_EEPKT5_lPKT6_lS8_PT7_PKS5_PKS4_21rocsparse_index_base_b,comdat
.Lfunc_end119:
	.size	_ZN9rocsparseL16sddmm_csx_kernelILi512ELi1EL20rocsparse_direction_0EdlidddEEv20rocsparse_operation_S2_16rocsparse_order_S3_T4_S4_S4_T3_NS_24const_host_device_scalarIT2_EEPKT5_lPKT6_lS8_PT7_PKS5_PKS4_21rocsparse_index_base_b, .Lfunc_end119-_ZN9rocsparseL16sddmm_csx_kernelILi512ELi1EL20rocsparse_direction_0EdlidddEEv20rocsparse_operation_S2_16rocsparse_order_S3_T4_S4_S4_T3_NS_24const_host_device_scalarIT2_EEPKT5_lPKT6_lS8_PT7_PKS5_PKS4_21rocsparse_index_base_b
                                        ; -- End function
	.set _ZN9rocsparseL16sddmm_csx_kernelILi512ELi1EL20rocsparse_direction_0EdlidddEEv20rocsparse_operation_S2_16rocsparse_order_S3_T4_S4_S4_T3_NS_24const_host_device_scalarIT2_EEPKT5_lPKT6_lS8_PT7_PKS5_PKS4_21rocsparse_index_base_b.num_vgpr, 22
	.set _ZN9rocsparseL16sddmm_csx_kernelILi512ELi1EL20rocsparse_direction_0EdlidddEEv20rocsparse_operation_S2_16rocsparse_order_S3_T4_S4_S4_T3_NS_24const_host_device_scalarIT2_EEPKT5_lPKT6_lS8_PT7_PKS5_PKS4_21rocsparse_index_base_b.num_agpr, 0
	.set _ZN9rocsparseL16sddmm_csx_kernelILi512ELi1EL20rocsparse_direction_0EdlidddEEv20rocsparse_operation_S2_16rocsparse_order_S3_T4_S4_S4_T3_NS_24const_host_device_scalarIT2_EEPKT5_lPKT6_lS8_PT7_PKS5_PKS4_21rocsparse_index_base_b.numbered_sgpr, 26
	.set _ZN9rocsparseL16sddmm_csx_kernelILi512ELi1EL20rocsparse_direction_0EdlidddEEv20rocsparse_operation_S2_16rocsparse_order_S3_T4_S4_S4_T3_NS_24const_host_device_scalarIT2_EEPKT5_lPKT6_lS8_PT7_PKS5_PKS4_21rocsparse_index_base_b.num_named_barrier, 0
	.set _ZN9rocsparseL16sddmm_csx_kernelILi512ELi1EL20rocsparse_direction_0EdlidddEEv20rocsparse_operation_S2_16rocsparse_order_S3_T4_S4_S4_T3_NS_24const_host_device_scalarIT2_EEPKT5_lPKT6_lS8_PT7_PKS5_PKS4_21rocsparse_index_base_b.private_seg_size, 0
	.set _ZN9rocsparseL16sddmm_csx_kernelILi512ELi1EL20rocsparse_direction_0EdlidddEEv20rocsparse_operation_S2_16rocsparse_order_S3_T4_S4_S4_T3_NS_24const_host_device_scalarIT2_EEPKT5_lPKT6_lS8_PT7_PKS5_PKS4_21rocsparse_index_base_b.uses_vcc, 1
	.set _ZN9rocsparseL16sddmm_csx_kernelILi512ELi1EL20rocsparse_direction_0EdlidddEEv20rocsparse_operation_S2_16rocsparse_order_S3_T4_S4_S4_T3_NS_24const_host_device_scalarIT2_EEPKT5_lPKT6_lS8_PT7_PKS5_PKS4_21rocsparse_index_base_b.uses_flat_scratch, 0
	.set _ZN9rocsparseL16sddmm_csx_kernelILi512ELi1EL20rocsparse_direction_0EdlidddEEv20rocsparse_operation_S2_16rocsparse_order_S3_T4_S4_S4_T3_NS_24const_host_device_scalarIT2_EEPKT5_lPKT6_lS8_PT7_PKS5_PKS4_21rocsparse_index_base_b.has_dyn_sized_stack, 0
	.set _ZN9rocsparseL16sddmm_csx_kernelILi512ELi1EL20rocsparse_direction_0EdlidddEEv20rocsparse_operation_S2_16rocsparse_order_S3_T4_S4_S4_T3_NS_24const_host_device_scalarIT2_EEPKT5_lPKT6_lS8_PT7_PKS5_PKS4_21rocsparse_index_base_b.has_recursion, 0
	.set _ZN9rocsparseL16sddmm_csx_kernelILi512ELi1EL20rocsparse_direction_0EdlidddEEv20rocsparse_operation_S2_16rocsparse_order_S3_T4_S4_S4_T3_NS_24const_host_device_scalarIT2_EEPKT5_lPKT6_lS8_PT7_PKS5_PKS4_21rocsparse_index_base_b.has_indirect_call, 0
	.section	.AMDGPU.csdata,"",@progbits
; Kernel info:
; codeLenInByte = 872
; TotalNumSgprs: 32
; NumVgprs: 22
; NumAgprs: 0
; TotalNumVgprs: 22
; ScratchSize: 0
; MemoryBound: 0
; FloatMode: 240
; IeeeMode: 1
; LDSByteSize: 4096 bytes/workgroup (compile time only)
; SGPRBlocks: 3
; VGPRBlocks: 2
; NumSGPRsForWavesPerEU: 32
; NumVGPRsForWavesPerEU: 22
; AccumOffset: 24
; Occupancy: 8
; WaveLimiterHint : 1
; COMPUTE_PGM_RSRC2:SCRATCH_EN: 0
; COMPUTE_PGM_RSRC2:USER_SGPR: 2
; COMPUTE_PGM_RSRC2:TRAP_HANDLER: 0
; COMPUTE_PGM_RSRC2:TGID_X_EN: 1
; COMPUTE_PGM_RSRC2:TGID_Y_EN: 0
; COMPUTE_PGM_RSRC2:TGID_Z_EN: 0
; COMPUTE_PGM_RSRC2:TIDIG_COMP_CNT: 0
; COMPUTE_PGM_RSRC3_GFX90A:ACCUM_OFFSET: 5
; COMPUTE_PGM_RSRC3_GFX90A:TG_SPLIT: 0
	.section	.text._ZN9rocsparseL16csr2dense_kernelILi16ELi32Eli21rocsparse_complex_numIfEEEviT2_S3_PKT3_PKT1_PKS3_PS4_l16rocsparse_order_,"axG",@progbits,_ZN9rocsparseL16csr2dense_kernelILi16ELi32Eli21rocsparse_complex_numIfEEEviT2_S3_PKT3_PKT1_PKS3_PS4_l16rocsparse_order_,comdat
	.globl	_ZN9rocsparseL16csr2dense_kernelILi16ELi32Eli21rocsparse_complex_numIfEEEviT2_S3_PKT3_PKT1_PKS3_PS4_l16rocsparse_order_ ; -- Begin function _ZN9rocsparseL16csr2dense_kernelILi16ELi32Eli21rocsparse_complex_numIfEEEviT2_S3_PKT3_PKT1_PKS3_PS4_l16rocsparse_order_
	.p2align	8
	.type	_ZN9rocsparseL16csr2dense_kernelILi16ELi32Eli21rocsparse_complex_numIfEEEviT2_S3_PKT3_PKT1_PKS3_PS4_l16rocsparse_order_,@function
_ZN9rocsparseL16csr2dense_kernelILi16ELi32Eli21rocsparse_complex_numIfEEEviT2_S3_PKT3_PKT1_PKS3_PS4_l16rocsparse_order_: ; @_ZN9rocsparseL16csr2dense_kernelILi16ELi32Eli21rocsparse_complex_numIfEEEviT2_S3_PKT3_PKT1_PKS3_PS4_l16rocsparse_order_
; %bb.0:
	s_load_dwordx2 s[4:5], s[0:1], 0x0
	v_lshrrev_b32_e32 v1, 5, v0
	v_lshl_or_b32 v8, s2, 4, v1
	s_waitcnt lgkmcnt(0)
	v_cmp_gt_i32_e32 vcc, s5, v8
	s_and_saveexec_b64 s[2:3], vcc
	s_cbranch_execz .LBB120_8
; %bb.1:
	s_load_dwordx2 s[2:3], s[0:1], 0x18
	v_ashrrev_i32_e32 v9, 31, v8
	v_and_b32_e32 v0, 31, v0
	v_mov_b32_e32 v1, 0
	s_waitcnt lgkmcnt(0)
	v_lshl_add_u64 v[2:3], v[8:9], 3, s[2:3]
	global_load_dwordx4 v[2:5], v[2:3], off
	s_waitcnt vmcnt(0)
	v_sub_co_u32_e32 v4, vcc, v4, v2
	s_nop 1
	v_subb_co_u32_e32 v5, vcc, v5, v3, vcc
	v_cmp_gt_i64_e32 vcc, v[4:5], v[0:1]
	s_and_b64 exec, exec, vcc
	s_cbranch_execz .LBB120_8
; %bb.2:
	s_load_dwordx4 s[8:11], s[0:1], 0x20
	s_load_dword s5, s[0:1], 0x38
	s_load_dwordx2 s[6:7], s[0:1], 0x10
	s_load_dwordx2 s[2:3], s[0:1], 0x30
	s_ashr_i32 s14, s4, 31
	s_waitcnt lgkmcnt(0)
	v_lshl_add_u64 v[6:7], v[8:9], 3, s[10:11]
	v_lshl_add_u64 v[2:3], v[2:3], 0, v[0:1]
	s_cmp_lg_u32 s5, 1
	v_mul_lo_u32 v10, s3, v8
	v_mul_lo_u32 v11, s2, v9
	v_mad_u64_u32 v[8:9], s[12:13], s2, v8, 0
	v_add3_u32 v9, v9, v11, v10
	v_mov_b32_e32 v11, s14
	v_subrev_co_u32_e32 v10, vcc, s4, v2
	s_cselect_b64 s[0:1], -1, 0
	s_nop 0
	v_subb_co_u32_e32 v11, vcc, v3, v11, vcc
	v_lshl_add_u64 v[8:9], v[8:9], 3, s[10:11]
	v_lshl_add_u64 v[2:3], v[10:11], 2, s[8:9]
	;; [unrolled: 1-line block ×3, first 2 shown]
	s_mov_b64 s[6:7], 0
	s_mov_b64 s[8:9], 0x80
	;; [unrolled: 1-line block ×3, first 2 shown]
	s_branch .LBB120_4
.LBB120_3:                              ;   in Loop: Header=BB120_4 Depth=1
	v_lshl_add_u64 v[0:1], v[0:1], 0, 32
	v_cmp_ge_i64_e32 vcc, v[0:1], v[4:5]
	v_lshl_add_u64 v[2:3], v[2:3], 0, s[8:9]
	s_or_b64 s[6:7], vcc, s[6:7]
	v_lshl_add_u64 v[10:11], v[10:11], 0, s[10:11]
	s_andn2_b64 exec, exec, s[6:7]
	s_cbranch_execz .LBB120_8
.LBB120_4:                              ; =>This Inner Loop Header: Depth=1
	s_barrier
	global_load_dword v12, v[2:3], off
	s_mov_b64 s[12:13], -1
	s_and_b64 vcc, exec, s[0:1]
	s_waitcnt vmcnt(0)
	v_subrev_u32_e32 v12, s4, v12
	v_ashrrev_i32_e32 v13, 31, v12
	s_cbranch_vccz .LBB120_6
; %bb.5:                                ;   in Loop: Header=BB120_4 Depth=1
	global_load_dwordx2 v[14:15], v[10:11], off
	v_lshl_add_u64 v[16:17], v[12:13], 3, v[8:9]
	s_mov_b64 s[12:13], 0
	s_waitcnt vmcnt(0)
	global_store_dwordx2 v[16:17], v[14:15], off
.LBB120_6:                              ;   in Loop: Header=BB120_4 Depth=1
	s_andn2_b64 vcc, exec, s[12:13]
	s_cbranch_vccnz .LBB120_3
; %bb.7:                                ;   in Loop: Header=BB120_4 Depth=1
	global_load_dwordx2 v[14:15], v[10:11], off
	v_mul_lo_u32 v16, s3, v12
	v_mul_lo_u32 v17, s2, v13
	v_mad_u64_u32 v[12:13], s[12:13], s2, v12, 0
	v_add3_u32 v13, v13, v17, v16
	v_lshl_add_u64 v[12:13], v[12:13], 3, v[6:7]
	s_waitcnt vmcnt(0)
	global_store_dwordx2 v[12:13], v[14:15], off
	s_branch .LBB120_3
.LBB120_8:
	s_endpgm
	.section	.rodata,"a",@progbits
	.p2align	6, 0x0
	.amdhsa_kernel _ZN9rocsparseL16csr2dense_kernelILi16ELi32Eli21rocsparse_complex_numIfEEEviT2_S3_PKT3_PKT1_PKS3_PS4_l16rocsparse_order_
		.amdhsa_group_segment_fixed_size 0
		.amdhsa_private_segment_fixed_size 0
		.amdhsa_kernarg_size 60
		.amdhsa_user_sgpr_count 2
		.amdhsa_user_sgpr_dispatch_ptr 0
		.amdhsa_user_sgpr_queue_ptr 0
		.amdhsa_user_sgpr_kernarg_segment_ptr 1
		.amdhsa_user_sgpr_dispatch_id 0
		.amdhsa_user_sgpr_kernarg_preload_length 0
		.amdhsa_user_sgpr_kernarg_preload_offset 0
		.amdhsa_user_sgpr_private_segment_size 0
		.amdhsa_uses_dynamic_stack 0
		.amdhsa_enable_private_segment 0
		.amdhsa_system_sgpr_workgroup_id_x 1
		.amdhsa_system_sgpr_workgroup_id_y 0
		.amdhsa_system_sgpr_workgroup_id_z 0
		.amdhsa_system_sgpr_workgroup_info 0
		.amdhsa_system_vgpr_workitem_id 0
		.amdhsa_next_free_vgpr 18
		.amdhsa_next_free_sgpr 15
		.amdhsa_accum_offset 20
		.amdhsa_reserve_vcc 1
		.amdhsa_float_round_mode_32 0
		.amdhsa_float_round_mode_16_64 0
		.amdhsa_float_denorm_mode_32 3
		.amdhsa_float_denorm_mode_16_64 3
		.amdhsa_dx10_clamp 1
		.amdhsa_ieee_mode 1
		.amdhsa_fp16_overflow 0
		.amdhsa_tg_split 0
		.amdhsa_exception_fp_ieee_invalid_op 0
		.amdhsa_exception_fp_denorm_src 0
		.amdhsa_exception_fp_ieee_div_zero 0
		.amdhsa_exception_fp_ieee_overflow 0
		.amdhsa_exception_fp_ieee_underflow 0
		.amdhsa_exception_fp_ieee_inexact 0
		.amdhsa_exception_int_div_zero 0
	.end_amdhsa_kernel
	.section	.text._ZN9rocsparseL16csr2dense_kernelILi16ELi32Eli21rocsparse_complex_numIfEEEviT2_S3_PKT3_PKT1_PKS3_PS4_l16rocsparse_order_,"axG",@progbits,_ZN9rocsparseL16csr2dense_kernelILi16ELi32Eli21rocsparse_complex_numIfEEEviT2_S3_PKT3_PKT1_PKS3_PS4_l16rocsparse_order_,comdat
.Lfunc_end120:
	.size	_ZN9rocsparseL16csr2dense_kernelILi16ELi32Eli21rocsparse_complex_numIfEEEviT2_S3_PKT3_PKT1_PKS3_PS4_l16rocsparse_order_, .Lfunc_end120-_ZN9rocsparseL16csr2dense_kernelILi16ELi32Eli21rocsparse_complex_numIfEEEviT2_S3_PKT3_PKT1_PKS3_PS4_l16rocsparse_order_
                                        ; -- End function
	.set _ZN9rocsparseL16csr2dense_kernelILi16ELi32Eli21rocsparse_complex_numIfEEEviT2_S3_PKT3_PKT1_PKS3_PS4_l16rocsparse_order_.num_vgpr, 18
	.set _ZN9rocsparseL16csr2dense_kernelILi16ELi32Eli21rocsparse_complex_numIfEEEviT2_S3_PKT3_PKT1_PKS3_PS4_l16rocsparse_order_.num_agpr, 0
	.set _ZN9rocsparseL16csr2dense_kernelILi16ELi32Eli21rocsparse_complex_numIfEEEviT2_S3_PKT3_PKT1_PKS3_PS4_l16rocsparse_order_.numbered_sgpr, 15
	.set _ZN9rocsparseL16csr2dense_kernelILi16ELi32Eli21rocsparse_complex_numIfEEEviT2_S3_PKT3_PKT1_PKS3_PS4_l16rocsparse_order_.num_named_barrier, 0
	.set _ZN9rocsparseL16csr2dense_kernelILi16ELi32Eli21rocsparse_complex_numIfEEEviT2_S3_PKT3_PKT1_PKS3_PS4_l16rocsparse_order_.private_seg_size, 0
	.set _ZN9rocsparseL16csr2dense_kernelILi16ELi32Eli21rocsparse_complex_numIfEEEviT2_S3_PKT3_PKT1_PKS3_PS4_l16rocsparse_order_.uses_vcc, 1
	.set _ZN9rocsparseL16csr2dense_kernelILi16ELi32Eli21rocsparse_complex_numIfEEEviT2_S3_PKT3_PKT1_PKS3_PS4_l16rocsparse_order_.uses_flat_scratch, 0
	.set _ZN9rocsparseL16csr2dense_kernelILi16ELi32Eli21rocsparse_complex_numIfEEEviT2_S3_PKT3_PKT1_PKS3_PS4_l16rocsparse_order_.has_dyn_sized_stack, 0
	.set _ZN9rocsparseL16csr2dense_kernelILi16ELi32Eli21rocsparse_complex_numIfEEEviT2_S3_PKT3_PKT1_PKS3_PS4_l16rocsparse_order_.has_recursion, 0
	.set _ZN9rocsparseL16csr2dense_kernelILi16ELi32Eli21rocsparse_complex_numIfEEEviT2_S3_PKT3_PKT1_PKS3_PS4_l16rocsparse_order_.has_indirect_call, 0
	.section	.AMDGPU.csdata,"",@progbits
; Kernel info:
; codeLenInByte = 448
; TotalNumSgprs: 21
; NumVgprs: 18
; NumAgprs: 0
; TotalNumVgprs: 18
; ScratchSize: 0
; MemoryBound: 0
; FloatMode: 240
; IeeeMode: 1
; LDSByteSize: 0 bytes/workgroup (compile time only)
; SGPRBlocks: 2
; VGPRBlocks: 2
; NumSGPRsForWavesPerEU: 21
; NumVGPRsForWavesPerEU: 18
; AccumOffset: 20
; Occupancy: 8
; WaveLimiterHint : 1
; COMPUTE_PGM_RSRC2:SCRATCH_EN: 0
; COMPUTE_PGM_RSRC2:USER_SGPR: 2
; COMPUTE_PGM_RSRC2:TRAP_HANDLER: 0
; COMPUTE_PGM_RSRC2:TGID_X_EN: 1
; COMPUTE_PGM_RSRC2:TGID_Y_EN: 0
; COMPUTE_PGM_RSRC2:TGID_Z_EN: 0
; COMPUTE_PGM_RSRC2:TIDIG_COMP_CNT: 0
; COMPUTE_PGM_RSRC3_GFX90A:ACCUM_OFFSET: 4
; COMPUTE_PGM_RSRC3_GFX90A:TG_SPLIT: 0
	.section	.text._ZN9rocsparseL16csr2dense_kernelILi16ELi64Eli21rocsparse_complex_numIfEEEviT2_S3_PKT3_PKT1_PKS3_PS4_l16rocsparse_order_,"axG",@progbits,_ZN9rocsparseL16csr2dense_kernelILi16ELi64Eli21rocsparse_complex_numIfEEEviT2_S3_PKT3_PKT1_PKS3_PS4_l16rocsparse_order_,comdat
	.globl	_ZN9rocsparseL16csr2dense_kernelILi16ELi64Eli21rocsparse_complex_numIfEEEviT2_S3_PKT3_PKT1_PKS3_PS4_l16rocsparse_order_ ; -- Begin function _ZN9rocsparseL16csr2dense_kernelILi16ELi64Eli21rocsparse_complex_numIfEEEviT2_S3_PKT3_PKT1_PKS3_PS4_l16rocsparse_order_
	.p2align	8
	.type	_ZN9rocsparseL16csr2dense_kernelILi16ELi64Eli21rocsparse_complex_numIfEEEviT2_S3_PKT3_PKT1_PKS3_PS4_l16rocsparse_order_,@function
_ZN9rocsparseL16csr2dense_kernelILi16ELi64Eli21rocsparse_complex_numIfEEEviT2_S3_PKT3_PKT1_PKS3_PS4_l16rocsparse_order_: ; @_ZN9rocsparseL16csr2dense_kernelILi16ELi64Eli21rocsparse_complex_numIfEEEviT2_S3_PKT3_PKT1_PKS3_PS4_l16rocsparse_order_
; %bb.0:
	s_load_dwordx2 s[4:5], s[0:1], 0x0
	v_lshrrev_b32_e32 v1, 6, v0
	v_lshl_or_b32 v8, s2, 4, v1
	s_waitcnt lgkmcnt(0)
	v_cmp_gt_i32_e32 vcc, s5, v8
	s_and_saveexec_b64 s[2:3], vcc
	s_cbranch_execz .LBB121_8
; %bb.1:
	s_load_dwordx2 s[2:3], s[0:1], 0x18
	v_ashrrev_i32_e32 v9, 31, v8
	v_and_b32_e32 v0, 63, v0
	v_mov_b32_e32 v1, 0
	s_waitcnt lgkmcnt(0)
	v_lshl_add_u64 v[2:3], v[8:9], 3, s[2:3]
	global_load_dwordx4 v[2:5], v[2:3], off
	s_waitcnt vmcnt(0)
	v_sub_co_u32_e32 v4, vcc, v4, v2
	s_nop 1
	v_subb_co_u32_e32 v5, vcc, v5, v3, vcc
	v_cmp_gt_i64_e32 vcc, v[4:5], v[0:1]
	s_and_b64 exec, exec, vcc
	s_cbranch_execz .LBB121_8
; %bb.2:
	s_load_dwordx4 s[8:11], s[0:1], 0x20
	s_load_dword s5, s[0:1], 0x38
	s_load_dwordx2 s[6:7], s[0:1], 0x10
	s_load_dwordx2 s[2:3], s[0:1], 0x30
	s_ashr_i32 s14, s4, 31
	s_waitcnt lgkmcnt(0)
	v_lshl_add_u64 v[6:7], v[8:9], 3, s[10:11]
	v_lshl_add_u64 v[2:3], v[2:3], 0, v[0:1]
	s_cmp_lg_u32 s5, 1
	v_mul_lo_u32 v10, s3, v8
	v_mul_lo_u32 v11, s2, v9
	v_mad_u64_u32 v[8:9], s[12:13], s2, v8, 0
	v_add3_u32 v9, v9, v11, v10
	v_mov_b32_e32 v11, s14
	v_subrev_co_u32_e32 v10, vcc, s4, v2
	s_cselect_b64 s[0:1], -1, 0
	s_nop 0
	v_subb_co_u32_e32 v11, vcc, v3, v11, vcc
	v_lshl_add_u64 v[8:9], v[8:9], 3, s[10:11]
	v_lshl_add_u64 v[2:3], v[10:11], 2, s[8:9]
	;; [unrolled: 1-line block ×3, first 2 shown]
	s_mov_b64 s[6:7], 0
	s_mov_b64 s[8:9], 0x100
	;; [unrolled: 1-line block ×3, first 2 shown]
	s_branch .LBB121_4
.LBB121_3:                              ;   in Loop: Header=BB121_4 Depth=1
	v_lshl_add_u64 v[0:1], v[0:1], 0, 64
	v_cmp_ge_i64_e32 vcc, v[0:1], v[4:5]
	v_lshl_add_u64 v[2:3], v[2:3], 0, s[8:9]
	s_or_b64 s[6:7], vcc, s[6:7]
	v_lshl_add_u64 v[10:11], v[10:11], 0, s[10:11]
	s_andn2_b64 exec, exec, s[6:7]
	s_cbranch_execz .LBB121_8
.LBB121_4:                              ; =>This Inner Loop Header: Depth=1
	s_barrier
	global_load_dword v12, v[2:3], off
	s_mov_b64 s[12:13], -1
	s_and_b64 vcc, exec, s[0:1]
	s_waitcnt vmcnt(0)
	v_subrev_u32_e32 v12, s4, v12
	v_ashrrev_i32_e32 v13, 31, v12
	s_cbranch_vccz .LBB121_6
; %bb.5:                                ;   in Loop: Header=BB121_4 Depth=1
	global_load_dwordx2 v[14:15], v[10:11], off
	v_lshl_add_u64 v[16:17], v[12:13], 3, v[8:9]
	s_mov_b64 s[12:13], 0
	s_waitcnt vmcnt(0)
	global_store_dwordx2 v[16:17], v[14:15], off
.LBB121_6:                              ;   in Loop: Header=BB121_4 Depth=1
	s_andn2_b64 vcc, exec, s[12:13]
	s_cbranch_vccnz .LBB121_3
; %bb.7:                                ;   in Loop: Header=BB121_4 Depth=1
	global_load_dwordx2 v[14:15], v[10:11], off
	v_mul_lo_u32 v16, s3, v12
	v_mul_lo_u32 v17, s2, v13
	v_mad_u64_u32 v[12:13], s[12:13], s2, v12, 0
	v_add3_u32 v13, v13, v17, v16
	v_lshl_add_u64 v[12:13], v[12:13], 3, v[6:7]
	s_waitcnt vmcnt(0)
	global_store_dwordx2 v[12:13], v[14:15], off
	s_branch .LBB121_3
.LBB121_8:
	s_endpgm
	.section	.rodata,"a",@progbits
	.p2align	6, 0x0
	.amdhsa_kernel _ZN9rocsparseL16csr2dense_kernelILi16ELi64Eli21rocsparse_complex_numIfEEEviT2_S3_PKT3_PKT1_PKS3_PS4_l16rocsparse_order_
		.amdhsa_group_segment_fixed_size 0
		.amdhsa_private_segment_fixed_size 0
		.amdhsa_kernarg_size 60
		.amdhsa_user_sgpr_count 2
		.amdhsa_user_sgpr_dispatch_ptr 0
		.amdhsa_user_sgpr_queue_ptr 0
		.amdhsa_user_sgpr_kernarg_segment_ptr 1
		.amdhsa_user_sgpr_dispatch_id 0
		.amdhsa_user_sgpr_kernarg_preload_length 0
		.amdhsa_user_sgpr_kernarg_preload_offset 0
		.amdhsa_user_sgpr_private_segment_size 0
		.amdhsa_uses_dynamic_stack 0
		.amdhsa_enable_private_segment 0
		.amdhsa_system_sgpr_workgroup_id_x 1
		.amdhsa_system_sgpr_workgroup_id_y 0
		.amdhsa_system_sgpr_workgroup_id_z 0
		.amdhsa_system_sgpr_workgroup_info 0
		.amdhsa_system_vgpr_workitem_id 0
		.amdhsa_next_free_vgpr 18
		.amdhsa_next_free_sgpr 15
		.amdhsa_accum_offset 20
		.amdhsa_reserve_vcc 1
		.amdhsa_float_round_mode_32 0
		.amdhsa_float_round_mode_16_64 0
		.amdhsa_float_denorm_mode_32 3
		.amdhsa_float_denorm_mode_16_64 3
		.amdhsa_dx10_clamp 1
		.amdhsa_ieee_mode 1
		.amdhsa_fp16_overflow 0
		.amdhsa_tg_split 0
		.amdhsa_exception_fp_ieee_invalid_op 0
		.amdhsa_exception_fp_denorm_src 0
		.amdhsa_exception_fp_ieee_div_zero 0
		.amdhsa_exception_fp_ieee_overflow 0
		.amdhsa_exception_fp_ieee_underflow 0
		.amdhsa_exception_fp_ieee_inexact 0
		.amdhsa_exception_int_div_zero 0
	.end_amdhsa_kernel
	.section	.text._ZN9rocsparseL16csr2dense_kernelILi16ELi64Eli21rocsparse_complex_numIfEEEviT2_S3_PKT3_PKT1_PKS3_PS4_l16rocsparse_order_,"axG",@progbits,_ZN9rocsparseL16csr2dense_kernelILi16ELi64Eli21rocsparse_complex_numIfEEEviT2_S3_PKT3_PKT1_PKS3_PS4_l16rocsparse_order_,comdat
.Lfunc_end121:
	.size	_ZN9rocsparseL16csr2dense_kernelILi16ELi64Eli21rocsparse_complex_numIfEEEviT2_S3_PKT3_PKT1_PKS3_PS4_l16rocsparse_order_, .Lfunc_end121-_ZN9rocsparseL16csr2dense_kernelILi16ELi64Eli21rocsparse_complex_numIfEEEviT2_S3_PKT3_PKT1_PKS3_PS4_l16rocsparse_order_
                                        ; -- End function
	.set _ZN9rocsparseL16csr2dense_kernelILi16ELi64Eli21rocsparse_complex_numIfEEEviT2_S3_PKT3_PKT1_PKS3_PS4_l16rocsparse_order_.num_vgpr, 18
	.set _ZN9rocsparseL16csr2dense_kernelILi16ELi64Eli21rocsparse_complex_numIfEEEviT2_S3_PKT3_PKT1_PKS3_PS4_l16rocsparse_order_.num_agpr, 0
	.set _ZN9rocsparseL16csr2dense_kernelILi16ELi64Eli21rocsparse_complex_numIfEEEviT2_S3_PKT3_PKT1_PKS3_PS4_l16rocsparse_order_.numbered_sgpr, 15
	.set _ZN9rocsparseL16csr2dense_kernelILi16ELi64Eli21rocsparse_complex_numIfEEEviT2_S3_PKT3_PKT1_PKS3_PS4_l16rocsparse_order_.num_named_barrier, 0
	.set _ZN9rocsparseL16csr2dense_kernelILi16ELi64Eli21rocsparse_complex_numIfEEEviT2_S3_PKT3_PKT1_PKS3_PS4_l16rocsparse_order_.private_seg_size, 0
	.set _ZN9rocsparseL16csr2dense_kernelILi16ELi64Eli21rocsparse_complex_numIfEEEviT2_S3_PKT3_PKT1_PKS3_PS4_l16rocsparse_order_.uses_vcc, 1
	.set _ZN9rocsparseL16csr2dense_kernelILi16ELi64Eli21rocsparse_complex_numIfEEEviT2_S3_PKT3_PKT1_PKS3_PS4_l16rocsparse_order_.uses_flat_scratch, 0
	.set _ZN9rocsparseL16csr2dense_kernelILi16ELi64Eli21rocsparse_complex_numIfEEEviT2_S3_PKT3_PKT1_PKS3_PS4_l16rocsparse_order_.has_dyn_sized_stack, 0
	.set _ZN9rocsparseL16csr2dense_kernelILi16ELi64Eli21rocsparse_complex_numIfEEEviT2_S3_PKT3_PKT1_PKS3_PS4_l16rocsparse_order_.has_recursion, 0
	.set _ZN9rocsparseL16csr2dense_kernelILi16ELi64Eli21rocsparse_complex_numIfEEEviT2_S3_PKT3_PKT1_PKS3_PS4_l16rocsparse_order_.has_indirect_call, 0
	.section	.AMDGPU.csdata,"",@progbits
; Kernel info:
; codeLenInByte = 448
; TotalNumSgprs: 21
; NumVgprs: 18
; NumAgprs: 0
; TotalNumVgprs: 18
; ScratchSize: 0
; MemoryBound: 0
; FloatMode: 240
; IeeeMode: 1
; LDSByteSize: 0 bytes/workgroup (compile time only)
; SGPRBlocks: 2
; VGPRBlocks: 2
; NumSGPRsForWavesPerEU: 21
; NumVGPRsForWavesPerEU: 18
; AccumOffset: 20
; Occupancy: 8
; WaveLimiterHint : 1
; COMPUTE_PGM_RSRC2:SCRATCH_EN: 0
; COMPUTE_PGM_RSRC2:USER_SGPR: 2
; COMPUTE_PGM_RSRC2:TRAP_HANDLER: 0
; COMPUTE_PGM_RSRC2:TGID_X_EN: 1
; COMPUTE_PGM_RSRC2:TGID_Y_EN: 0
; COMPUTE_PGM_RSRC2:TGID_Z_EN: 0
; COMPUTE_PGM_RSRC2:TIDIG_COMP_CNT: 0
; COMPUTE_PGM_RSRC3_GFX90A:ACCUM_OFFSET: 4
; COMPUTE_PGM_RSRC3_GFX90A:TG_SPLIT: 0
	.section	.text._ZN9rocsparseL16csc2dense_kernelILi16ELi32Eli21rocsparse_complex_numIfEEEviT2_S3_PKT3_PKT1_PKS3_PS4_l16rocsparse_order_,"axG",@progbits,_ZN9rocsparseL16csc2dense_kernelILi16ELi32Eli21rocsparse_complex_numIfEEEviT2_S3_PKT3_PKT1_PKS3_PS4_l16rocsparse_order_,comdat
	.globl	_ZN9rocsparseL16csc2dense_kernelILi16ELi32Eli21rocsparse_complex_numIfEEEviT2_S3_PKT3_PKT1_PKS3_PS4_l16rocsparse_order_ ; -- Begin function _ZN9rocsparseL16csc2dense_kernelILi16ELi32Eli21rocsparse_complex_numIfEEEviT2_S3_PKT3_PKT1_PKS3_PS4_l16rocsparse_order_
	.p2align	8
	.type	_ZN9rocsparseL16csc2dense_kernelILi16ELi32Eli21rocsparse_complex_numIfEEEviT2_S3_PKT3_PKT1_PKS3_PS4_l16rocsparse_order_,@function
_ZN9rocsparseL16csc2dense_kernelILi16ELi32Eli21rocsparse_complex_numIfEEEviT2_S3_PKT3_PKT1_PKS3_PS4_l16rocsparse_order_: ; @_ZN9rocsparseL16csc2dense_kernelILi16ELi32Eli21rocsparse_complex_numIfEEEviT2_S3_PKT3_PKT1_PKS3_PS4_l16rocsparse_order_
; %bb.0:
	s_load_dword s3, s[0:1], 0x8
	v_lshrrev_b32_e32 v1, 5, v0
	v_lshl_or_b32 v8, s2, 4, v1
	s_waitcnt lgkmcnt(0)
	v_cmp_gt_i32_e32 vcc, s3, v8
	s_and_saveexec_b64 s[2:3], vcc
	s_cbranch_execz .LBB122_8
; %bb.1:
	s_load_dwordx2 s[2:3], s[0:1], 0x18
	v_ashrrev_i32_e32 v9, 31, v8
	v_and_b32_e32 v0, 31, v0
	v_mov_b32_e32 v1, 0
	s_waitcnt lgkmcnt(0)
	v_lshl_add_u64 v[2:3], v[8:9], 3, s[2:3]
	global_load_dwordx4 v[2:5], v[2:3], off
	s_waitcnt vmcnt(0)
	v_sub_co_u32_e32 v4, vcc, v4, v2
	s_nop 1
	v_subb_co_u32_e32 v5, vcc, v5, v3, vcc
	v_cmp_gt_i64_e32 vcc, v[4:5], v[0:1]
	s_and_b64 exec, exec, vcc
	s_cbranch_execz .LBB122_8
; %bb.2:
	s_load_dword s12, s[0:1], 0x0
	s_load_dwordx4 s[4:7], s[0:1], 0x20
	s_load_dword s10, s[0:1], 0x38
	s_load_dwordx2 s[8:9], s[0:1], 0x10
	s_load_dwordx2 s[2:3], s[0:1], 0x30
	s_waitcnt lgkmcnt(0)
	s_ashr_i32 s13, s12, 31
	v_lshl_add_u64 v[6:7], v[8:9], 3, s[6:7]
	s_cmp_lg_u32 s10, 1
	v_lshl_add_u64 v[2:3], v[2:3], 0, v[0:1]
	v_mul_lo_u32 v10, s3, v8
	v_mul_lo_u32 v11, s2, v9
	v_mad_u64_u32 v[8:9], s[10:11], s2, v8, 0
	v_add3_u32 v9, v9, v11, v10
	v_mov_b32_e32 v11, s13
	v_subrev_co_u32_e32 v10, vcc, s12, v2
	s_cselect_b64 s[0:1], -1, 0
	s_nop 0
	v_subb_co_u32_e32 v11, vcc, v3, v11, vcc
	v_lshl_add_u64 v[8:9], v[8:9], 3, s[6:7]
	v_lshl_add_u64 v[2:3], v[10:11], 2, s[4:5]
	;; [unrolled: 1-line block ×3, first 2 shown]
	s_mov_b64 s[4:5], 0
	s_mov_b64 s[6:7], 0x80
	;; [unrolled: 1-line block ×3, first 2 shown]
	s_branch .LBB122_4
.LBB122_3:                              ;   in Loop: Header=BB122_4 Depth=1
	v_lshl_add_u64 v[0:1], v[0:1], 0, 32
	v_cmp_ge_i64_e32 vcc, v[0:1], v[4:5]
	v_lshl_add_u64 v[2:3], v[2:3], 0, s[6:7]
	s_or_b64 s[4:5], vcc, s[4:5]
	v_lshl_add_u64 v[10:11], v[10:11], 0, s[8:9]
	s_andn2_b64 exec, exec, s[4:5]
	s_cbranch_execz .LBB122_8
.LBB122_4:                              ; =>This Inner Loop Header: Depth=1
	global_load_dword v12, v[2:3], off
	s_mov_b64 s[10:11], -1
	s_and_b64 vcc, exec, s[0:1]
	s_waitcnt vmcnt(0)
	v_subrev_u32_e32 v12, s12, v12
	v_ashrrev_i32_e32 v13, 31, v12
	s_cbranch_vccz .LBB122_6
; %bb.5:                                ;   in Loop: Header=BB122_4 Depth=1
	global_load_dwordx2 v[14:15], v[10:11], off
	v_mul_lo_u32 v18, s3, v12
	v_mul_lo_u32 v19, s2, v13
	v_mad_u64_u32 v[16:17], s[10:11], s2, v12, 0
	v_add3_u32 v17, v17, v19, v18
	v_lshl_add_u64 v[16:17], v[16:17], 3, v[6:7]
	s_mov_b64 s[10:11], 0
	s_waitcnt vmcnt(0)
	global_store_dwordx2 v[16:17], v[14:15], off
.LBB122_6:                              ;   in Loop: Header=BB122_4 Depth=1
	s_andn2_b64 vcc, exec, s[10:11]
	s_cbranch_vccnz .LBB122_3
; %bb.7:                                ;   in Loop: Header=BB122_4 Depth=1
	global_load_dwordx2 v[14:15], v[10:11], off
	v_lshl_add_u64 v[12:13], v[12:13], 3, v[8:9]
	s_waitcnt vmcnt(0)
	global_store_dwordx2 v[12:13], v[14:15], off
	s_branch .LBB122_3
.LBB122_8:
	s_endpgm
	.section	.rodata,"a",@progbits
	.p2align	6, 0x0
	.amdhsa_kernel _ZN9rocsparseL16csc2dense_kernelILi16ELi32Eli21rocsparse_complex_numIfEEEviT2_S3_PKT3_PKT1_PKS3_PS4_l16rocsparse_order_
		.amdhsa_group_segment_fixed_size 0
		.amdhsa_private_segment_fixed_size 0
		.amdhsa_kernarg_size 60
		.amdhsa_user_sgpr_count 2
		.amdhsa_user_sgpr_dispatch_ptr 0
		.amdhsa_user_sgpr_queue_ptr 0
		.amdhsa_user_sgpr_kernarg_segment_ptr 1
		.amdhsa_user_sgpr_dispatch_id 0
		.amdhsa_user_sgpr_kernarg_preload_length 0
		.amdhsa_user_sgpr_kernarg_preload_offset 0
		.amdhsa_user_sgpr_private_segment_size 0
		.amdhsa_uses_dynamic_stack 0
		.amdhsa_enable_private_segment 0
		.amdhsa_system_sgpr_workgroup_id_x 1
		.amdhsa_system_sgpr_workgroup_id_y 0
		.amdhsa_system_sgpr_workgroup_id_z 0
		.amdhsa_system_sgpr_workgroup_info 0
		.amdhsa_system_vgpr_workitem_id 0
		.amdhsa_next_free_vgpr 20
		.amdhsa_next_free_sgpr 14
		.amdhsa_accum_offset 20
		.amdhsa_reserve_vcc 1
		.amdhsa_float_round_mode_32 0
		.amdhsa_float_round_mode_16_64 0
		.amdhsa_float_denorm_mode_32 3
		.amdhsa_float_denorm_mode_16_64 3
		.amdhsa_dx10_clamp 1
		.amdhsa_ieee_mode 1
		.amdhsa_fp16_overflow 0
		.amdhsa_tg_split 0
		.amdhsa_exception_fp_ieee_invalid_op 0
		.amdhsa_exception_fp_denorm_src 0
		.amdhsa_exception_fp_ieee_div_zero 0
		.amdhsa_exception_fp_ieee_overflow 0
		.amdhsa_exception_fp_ieee_underflow 0
		.amdhsa_exception_fp_ieee_inexact 0
		.amdhsa_exception_int_div_zero 0
	.end_amdhsa_kernel
	.section	.text._ZN9rocsparseL16csc2dense_kernelILi16ELi32Eli21rocsparse_complex_numIfEEEviT2_S3_PKT3_PKT1_PKS3_PS4_l16rocsparse_order_,"axG",@progbits,_ZN9rocsparseL16csc2dense_kernelILi16ELi32Eli21rocsparse_complex_numIfEEEviT2_S3_PKT3_PKT1_PKS3_PS4_l16rocsparse_order_,comdat
.Lfunc_end122:
	.size	_ZN9rocsparseL16csc2dense_kernelILi16ELi32Eli21rocsparse_complex_numIfEEEviT2_S3_PKT3_PKT1_PKS3_PS4_l16rocsparse_order_, .Lfunc_end122-_ZN9rocsparseL16csc2dense_kernelILi16ELi32Eli21rocsparse_complex_numIfEEEviT2_S3_PKT3_PKT1_PKS3_PS4_l16rocsparse_order_
                                        ; -- End function
	.set _ZN9rocsparseL16csc2dense_kernelILi16ELi32Eli21rocsparse_complex_numIfEEEviT2_S3_PKT3_PKT1_PKS3_PS4_l16rocsparse_order_.num_vgpr, 20
	.set _ZN9rocsparseL16csc2dense_kernelILi16ELi32Eli21rocsparse_complex_numIfEEEviT2_S3_PKT3_PKT1_PKS3_PS4_l16rocsparse_order_.num_agpr, 0
	.set _ZN9rocsparseL16csc2dense_kernelILi16ELi32Eli21rocsparse_complex_numIfEEEviT2_S3_PKT3_PKT1_PKS3_PS4_l16rocsparse_order_.numbered_sgpr, 14
	.set _ZN9rocsparseL16csc2dense_kernelILi16ELi32Eli21rocsparse_complex_numIfEEEviT2_S3_PKT3_PKT1_PKS3_PS4_l16rocsparse_order_.num_named_barrier, 0
	.set _ZN9rocsparseL16csc2dense_kernelILi16ELi32Eli21rocsparse_complex_numIfEEEviT2_S3_PKT3_PKT1_PKS3_PS4_l16rocsparse_order_.private_seg_size, 0
	.set _ZN9rocsparseL16csc2dense_kernelILi16ELi32Eli21rocsparse_complex_numIfEEEviT2_S3_PKT3_PKT1_PKS3_PS4_l16rocsparse_order_.uses_vcc, 1
	.set _ZN9rocsparseL16csc2dense_kernelILi16ELi32Eli21rocsparse_complex_numIfEEEviT2_S3_PKT3_PKT1_PKS3_PS4_l16rocsparse_order_.uses_flat_scratch, 0
	.set _ZN9rocsparseL16csc2dense_kernelILi16ELi32Eli21rocsparse_complex_numIfEEEviT2_S3_PKT3_PKT1_PKS3_PS4_l16rocsparse_order_.has_dyn_sized_stack, 0
	.set _ZN9rocsparseL16csc2dense_kernelILi16ELi32Eli21rocsparse_complex_numIfEEEviT2_S3_PKT3_PKT1_PKS3_PS4_l16rocsparse_order_.has_recursion, 0
	.set _ZN9rocsparseL16csc2dense_kernelILi16ELi32Eli21rocsparse_complex_numIfEEEviT2_S3_PKT3_PKT1_PKS3_PS4_l16rocsparse_order_.has_indirect_call, 0
	.section	.AMDGPU.csdata,"",@progbits
; Kernel info:
; codeLenInByte = 452
; TotalNumSgprs: 20
; NumVgprs: 20
; NumAgprs: 0
; TotalNumVgprs: 20
; ScratchSize: 0
; MemoryBound: 0
; FloatMode: 240
; IeeeMode: 1
; LDSByteSize: 0 bytes/workgroup (compile time only)
; SGPRBlocks: 2
; VGPRBlocks: 2
; NumSGPRsForWavesPerEU: 20
; NumVGPRsForWavesPerEU: 20
; AccumOffset: 20
; Occupancy: 8
; WaveLimiterHint : 1
; COMPUTE_PGM_RSRC2:SCRATCH_EN: 0
; COMPUTE_PGM_RSRC2:USER_SGPR: 2
; COMPUTE_PGM_RSRC2:TRAP_HANDLER: 0
; COMPUTE_PGM_RSRC2:TGID_X_EN: 1
; COMPUTE_PGM_RSRC2:TGID_Y_EN: 0
; COMPUTE_PGM_RSRC2:TGID_Z_EN: 0
; COMPUTE_PGM_RSRC2:TIDIG_COMP_CNT: 0
; COMPUTE_PGM_RSRC3_GFX90A:ACCUM_OFFSET: 4
; COMPUTE_PGM_RSRC3_GFX90A:TG_SPLIT: 0
	.section	.text._ZN9rocsparseL16csc2dense_kernelILi16ELi64Eli21rocsparse_complex_numIfEEEviT2_S3_PKT3_PKT1_PKS3_PS4_l16rocsparse_order_,"axG",@progbits,_ZN9rocsparseL16csc2dense_kernelILi16ELi64Eli21rocsparse_complex_numIfEEEviT2_S3_PKT3_PKT1_PKS3_PS4_l16rocsparse_order_,comdat
	.globl	_ZN9rocsparseL16csc2dense_kernelILi16ELi64Eli21rocsparse_complex_numIfEEEviT2_S3_PKT3_PKT1_PKS3_PS4_l16rocsparse_order_ ; -- Begin function _ZN9rocsparseL16csc2dense_kernelILi16ELi64Eli21rocsparse_complex_numIfEEEviT2_S3_PKT3_PKT1_PKS3_PS4_l16rocsparse_order_
	.p2align	8
	.type	_ZN9rocsparseL16csc2dense_kernelILi16ELi64Eli21rocsparse_complex_numIfEEEviT2_S3_PKT3_PKT1_PKS3_PS4_l16rocsparse_order_,@function
_ZN9rocsparseL16csc2dense_kernelILi16ELi64Eli21rocsparse_complex_numIfEEEviT2_S3_PKT3_PKT1_PKS3_PS4_l16rocsparse_order_: ; @_ZN9rocsparseL16csc2dense_kernelILi16ELi64Eli21rocsparse_complex_numIfEEEviT2_S3_PKT3_PKT1_PKS3_PS4_l16rocsparse_order_
; %bb.0:
	s_load_dword s3, s[0:1], 0x8
	v_lshrrev_b32_e32 v1, 6, v0
	v_lshl_or_b32 v8, s2, 4, v1
	s_waitcnt lgkmcnt(0)
	v_cmp_gt_i32_e32 vcc, s3, v8
	s_and_saveexec_b64 s[2:3], vcc
	s_cbranch_execz .LBB123_8
; %bb.1:
	s_load_dwordx2 s[2:3], s[0:1], 0x18
	v_ashrrev_i32_e32 v9, 31, v8
	v_and_b32_e32 v0, 63, v0
	v_mov_b32_e32 v1, 0
	s_waitcnt lgkmcnt(0)
	v_lshl_add_u64 v[2:3], v[8:9], 3, s[2:3]
	global_load_dwordx4 v[2:5], v[2:3], off
	s_waitcnt vmcnt(0)
	v_sub_co_u32_e32 v4, vcc, v4, v2
	s_nop 1
	v_subb_co_u32_e32 v5, vcc, v5, v3, vcc
	v_cmp_gt_i64_e32 vcc, v[4:5], v[0:1]
	s_and_b64 exec, exec, vcc
	s_cbranch_execz .LBB123_8
; %bb.2:
	s_load_dword s12, s[0:1], 0x0
	s_load_dwordx4 s[4:7], s[0:1], 0x20
	s_load_dword s10, s[0:1], 0x38
	s_load_dwordx2 s[8:9], s[0:1], 0x10
	s_load_dwordx2 s[2:3], s[0:1], 0x30
	s_waitcnt lgkmcnt(0)
	s_ashr_i32 s13, s12, 31
	v_lshl_add_u64 v[6:7], v[8:9], 3, s[6:7]
	s_cmp_lg_u32 s10, 1
	v_lshl_add_u64 v[2:3], v[2:3], 0, v[0:1]
	v_mul_lo_u32 v10, s3, v8
	v_mul_lo_u32 v11, s2, v9
	v_mad_u64_u32 v[8:9], s[10:11], s2, v8, 0
	v_add3_u32 v9, v9, v11, v10
	v_mov_b32_e32 v11, s13
	v_subrev_co_u32_e32 v10, vcc, s12, v2
	s_cselect_b64 s[0:1], -1, 0
	s_nop 0
	v_subb_co_u32_e32 v11, vcc, v3, v11, vcc
	v_lshl_add_u64 v[8:9], v[8:9], 3, s[6:7]
	v_lshl_add_u64 v[2:3], v[10:11], 2, s[4:5]
	;; [unrolled: 1-line block ×3, first 2 shown]
	s_mov_b64 s[4:5], 0
	s_mov_b64 s[6:7], 0x100
	s_mov_b64 s[8:9], 0x200
	s_branch .LBB123_4
.LBB123_3:                              ;   in Loop: Header=BB123_4 Depth=1
	v_lshl_add_u64 v[0:1], v[0:1], 0, 64
	v_cmp_ge_i64_e32 vcc, v[0:1], v[4:5]
	v_lshl_add_u64 v[2:3], v[2:3], 0, s[6:7]
	s_or_b64 s[4:5], vcc, s[4:5]
	v_lshl_add_u64 v[10:11], v[10:11], 0, s[8:9]
	s_andn2_b64 exec, exec, s[4:5]
	s_cbranch_execz .LBB123_8
.LBB123_4:                              ; =>This Inner Loop Header: Depth=1
	global_load_dword v12, v[2:3], off
	s_mov_b64 s[10:11], -1
	s_and_b64 vcc, exec, s[0:1]
	s_waitcnt vmcnt(0)
	v_subrev_u32_e32 v12, s12, v12
	v_ashrrev_i32_e32 v13, 31, v12
	s_cbranch_vccz .LBB123_6
; %bb.5:                                ;   in Loop: Header=BB123_4 Depth=1
	global_load_dwordx2 v[14:15], v[10:11], off
	v_mul_lo_u32 v18, s3, v12
	v_mul_lo_u32 v19, s2, v13
	v_mad_u64_u32 v[16:17], s[10:11], s2, v12, 0
	v_add3_u32 v17, v17, v19, v18
	v_lshl_add_u64 v[16:17], v[16:17], 3, v[6:7]
	s_mov_b64 s[10:11], 0
	s_waitcnt vmcnt(0)
	global_store_dwordx2 v[16:17], v[14:15], off
.LBB123_6:                              ;   in Loop: Header=BB123_4 Depth=1
	s_andn2_b64 vcc, exec, s[10:11]
	s_cbranch_vccnz .LBB123_3
; %bb.7:                                ;   in Loop: Header=BB123_4 Depth=1
	global_load_dwordx2 v[14:15], v[10:11], off
	v_lshl_add_u64 v[12:13], v[12:13], 3, v[8:9]
	s_waitcnt vmcnt(0)
	global_store_dwordx2 v[12:13], v[14:15], off
	s_branch .LBB123_3
.LBB123_8:
	s_endpgm
	.section	.rodata,"a",@progbits
	.p2align	6, 0x0
	.amdhsa_kernel _ZN9rocsparseL16csc2dense_kernelILi16ELi64Eli21rocsparse_complex_numIfEEEviT2_S3_PKT3_PKT1_PKS3_PS4_l16rocsparse_order_
		.amdhsa_group_segment_fixed_size 0
		.amdhsa_private_segment_fixed_size 0
		.amdhsa_kernarg_size 60
		.amdhsa_user_sgpr_count 2
		.amdhsa_user_sgpr_dispatch_ptr 0
		.amdhsa_user_sgpr_queue_ptr 0
		.amdhsa_user_sgpr_kernarg_segment_ptr 1
		.amdhsa_user_sgpr_dispatch_id 0
		.amdhsa_user_sgpr_kernarg_preload_length 0
		.amdhsa_user_sgpr_kernarg_preload_offset 0
		.amdhsa_user_sgpr_private_segment_size 0
		.amdhsa_uses_dynamic_stack 0
		.amdhsa_enable_private_segment 0
		.amdhsa_system_sgpr_workgroup_id_x 1
		.amdhsa_system_sgpr_workgroup_id_y 0
		.amdhsa_system_sgpr_workgroup_id_z 0
		.amdhsa_system_sgpr_workgroup_info 0
		.amdhsa_system_vgpr_workitem_id 0
		.amdhsa_next_free_vgpr 20
		.amdhsa_next_free_sgpr 14
		.amdhsa_accum_offset 20
		.amdhsa_reserve_vcc 1
		.amdhsa_float_round_mode_32 0
		.amdhsa_float_round_mode_16_64 0
		.amdhsa_float_denorm_mode_32 3
		.amdhsa_float_denorm_mode_16_64 3
		.amdhsa_dx10_clamp 1
		.amdhsa_ieee_mode 1
		.amdhsa_fp16_overflow 0
		.amdhsa_tg_split 0
		.amdhsa_exception_fp_ieee_invalid_op 0
		.amdhsa_exception_fp_denorm_src 0
		.amdhsa_exception_fp_ieee_div_zero 0
		.amdhsa_exception_fp_ieee_overflow 0
		.amdhsa_exception_fp_ieee_underflow 0
		.amdhsa_exception_fp_ieee_inexact 0
		.amdhsa_exception_int_div_zero 0
	.end_amdhsa_kernel
	.section	.text._ZN9rocsparseL16csc2dense_kernelILi16ELi64Eli21rocsparse_complex_numIfEEEviT2_S3_PKT3_PKT1_PKS3_PS4_l16rocsparse_order_,"axG",@progbits,_ZN9rocsparseL16csc2dense_kernelILi16ELi64Eli21rocsparse_complex_numIfEEEviT2_S3_PKT3_PKT1_PKS3_PS4_l16rocsparse_order_,comdat
.Lfunc_end123:
	.size	_ZN9rocsparseL16csc2dense_kernelILi16ELi64Eli21rocsparse_complex_numIfEEEviT2_S3_PKT3_PKT1_PKS3_PS4_l16rocsparse_order_, .Lfunc_end123-_ZN9rocsparseL16csc2dense_kernelILi16ELi64Eli21rocsparse_complex_numIfEEEviT2_S3_PKT3_PKT1_PKS3_PS4_l16rocsparse_order_
                                        ; -- End function
	.set _ZN9rocsparseL16csc2dense_kernelILi16ELi64Eli21rocsparse_complex_numIfEEEviT2_S3_PKT3_PKT1_PKS3_PS4_l16rocsparse_order_.num_vgpr, 20
	.set _ZN9rocsparseL16csc2dense_kernelILi16ELi64Eli21rocsparse_complex_numIfEEEviT2_S3_PKT3_PKT1_PKS3_PS4_l16rocsparse_order_.num_agpr, 0
	.set _ZN9rocsparseL16csc2dense_kernelILi16ELi64Eli21rocsparse_complex_numIfEEEviT2_S3_PKT3_PKT1_PKS3_PS4_l16rocsparse_order_.numbered_sgpr, 14
	.set _ZN9rocsparseL16csc2dense_kernelILi16ELi64Eli21rocsparse_complex_numIfEEEviT2_S3_PKT3_PKT1_PKS3_PS4_l16rocsparse_order_.num_named_barrier, 0
	.set _ZN9rocsparseL16csc2dense_kernelILi16ELi64Eli21rocsparse_complex_numIfEEEviT2_S3_PKT3_PKT1_PKS3_PS4_l16rocsparse_order_.private_seg_size, 0
	.set _ZN9rocsparseL16csc2dense_kernelILi16ELi64Eli21rocsparse_complex_numIfEEEviT2_S3_PKT3_PKT1_PKS3_PS4_l16rocsparse_order_.uses_vcc, 1
	.set _ZN9rocsparseL16csc2dense_kernelILi16ELi64Eli21rocsparse_complex_numIfEEEviT2_S3_PKT3_PKT1_PKS3_PS4_l16rocsparse_order_.uses_flat_scratch, 0
	.set _ZN9rocsparseL16csc2dense_kernelILi16ELi64Eli21rocsparse_complex_numIfEEEviT2_S3_PKT3_PKT1_PKS3_PS4_l16rocsparse_order_.has_dyn_sized_stack, 0
	.set _ZN9rocsparseL16csc2dense_kernelILi16ELi64Eli21rocsparse_complex_numIfEEEviT2_S3_PKT3_PKT1_PKS3_PS4_l16rocsparse_order_.has_recursion, 0
	.set _ZN9rocsparseL16csc2dense_kernelILi16ELi64Eli21rocsparse_complex_numIfEEEviT2_S3_PKT3_PKT1_PKS3_PS4_l16rocsparse_order_.has_indirect_call, 0
	.section	.AMDGPU.csdata,"",@progbits
; Kernel info:
; codeLenInByte = 452
; TotalNumSgprs: 20
; NumVgprs: 20
; NumAgprs: 0
; TotalNumVgprs: 20
; ScratchSize: 0
; MemoryBound: 0
; FloatMode: 240
; IeeeMode: 1
; LDSByteSize: 0 bytes/workgroup (compile time only)
; SGPRBlocks: 2
; VGPRBlocks: 2
; NumSGPRsForWavesPerEU: 20
; NumVGPRsForWavesPerEU: 20
; AccumOffset: 20
; Occupancy: 8
; WaveLimiterHint : 1
; COMPUTE_PGM_RSRC2:SCRATCH_EN: 0
; COMPUTE_PGM_RSRC2:USER_SGPR: 2
; COMPUTE_PGM_RSRC2:TRAP_HANDLER: 0
; COMPUTE_PGM_RSRC2:TGID_X_EN: 1
; COMPUTE_PGM_RSRC2:TGID_Y_EN: 0
; COMPUTE_PGM_RSRC2:TGID_Z_EN: 0
; COMPUTE_PGM_RSRC2:TIDIG_COMP_CNT: 0
; COMPUTE_PGM_RSRC3_GFX90A:ACCUM_OFFSET: 4
; COMPUTE_PGM_RSRC3_GFX90A:TG_SPLIT: 0
	.section	.text._ZN9rocsparseL23sddmm_csx_sample_kernelILi512ELi64EL20rocsparse_direction_1E21rocsparse_complex_numIfEliS3_EEvT4_S4_T3_PKT5_S4_PS6_PKS5_PKS4_21rocsparse_index_base_,"axG",@progbits,_ZN9rocsparseL23sddmm_csx_sample_kernelILi512ELi64EL20rocsparse_direction_1E21rocsparse_complex_numIfEliS3_EEvT4_S4_T3_PKT5_S4_PS6_PKS5_PKS4_21rocsparse_index_base_,comdat
	.globl	_ZN9rocsparseL23sddmm_csx_sample_kernelILi512ELi64EL20rocsparse_direction_1E21rocsparse_complex_numIfEliS3_EEvT4_S4_T3_PKT5_S4_PS6_PKS5_PKS4_21rocsparse_index_base_ ; -- Begin function _ZN9rocsparseL23sddmm_csx_sample_kernelILi512ELi64EL20rocsparse_direction_1E21rocsparse_complex_numIfEliS3_EEvT4_S4_T3_PKT5_S4_PS6_PKS5_PKS4_21rocsparse_index_base_
	.p2align	8
	.type	_ZN9rocsparseL23sddmm_csx_sample_kernelILi512ELi64EL20rocsparse_direction_1E21rocsparse_complex_numIfEliS3_EEvT4_S4_T3_PKT5_S4_PS6_PKS5_PKS4_21rocsparse_index_base_,@function
_ZN9rocsparseL23sddmm_csx_sample_kernelILi512ELi64EL20rocsparse_direction_1E21rocsparse_complex_numIfEliS3_EEvT4_S4_T3_PKT5_S4_PS6_PKS5_PKS4_21rocsparse_index_base_: ; @_ZN9rocsparseL23sddmm_csx_sample_kernelILi512ELi64EL20rocsparse_direction_1E21rocsparse_complex_numIfEliS3_EEvT4_S4_T3_PKT5_S4_PS6_PKS5_PKS4_21rocsparse_index_base_
; %bb.0:
	s_load_dword s3, s[0:1], 0x4
	v_lshrrev_b32_e32 v1, 6, v0
	v_lshl_or_b32 v4, s2, 3, v1
	s_waitcnt lgkmcnt(0)
	v_cmp_gt_u32_e32 vcc, s3, v4
	s_and_saveexec_b64 s[2:3], vcc
	s_cbranch_execz .LBB124_4
; %bb.1:
	s_load_dwordx2 s[2:3], s[0:1], 0x28
	s_load_dword s4, s[0:1], 0x38
	v_mov_b32_e32 v5, 0
	v_and_b32_e32 v0, 63, v0
	s_waitcnt lgkmcnt(0)
	v_lshl_add_u64 v[2:3], v[4:5], 3, s[2:3]
	global_load_dwordx4 v[6:9], v[2:3], off
	v_subrev_co_u32_e32 v0, vcc, s4, v0
	s_nop 1
	v_subb_co_u32_e64 v1, s[2:3], 0, 0, vcc
	s_waitcnt vmcnt(0)
	v_subrev_co_u32_e32 v2, vcc, s4, v8
	v_lshl_add_u64 v[0:1], v[0:1], 0, v[6:7]
	s_nop 0
	v_subbrev_co_u32_e32 v3, vcc, 0, v9, vcc
	v_cmp_lt_i64_e32 vcc, v[0:1], v[2:3]
	s_and_b64 exec, exec, vcc
	s_cbranch_execz .LBB124_4
; %bb.2:
	s_load_dwordx2 s[6:7], s[0:1], 0x30
	s_load_dword s5, s[0:1], 0x18
	s_load_dwordx2 s[8:9], s[0:1], 0x20
	s_load_dwordx2 s[2:3], s[0:1], 0x10
	s_mov_b64 s[0:1], 0
	s_waitcnt lgkmcnt(0)
	v_mul_lo_u32 v6, s5, v4
	v_lshl_add_u64 v[4:5], v[0:1], 3, s[8:9]
	v_subrev_u32_e32 v8, s4, v6
	v_lshl_add_u64 v[6:7], v[0:1], 2, s[6:7]
	s_mov_b64 s[4:5], 0x200
	s_mov_b64 s[6:7], 0x100
.LBB124_3:                              ; =>This Inner Loop Header: Depth=1
	global_load_dword v9, v[6:7], off
	v_lshl_add_u64 v[0:1], v[0:1], 0, 64
	v_cmp_ge_i64_e32 vcc, v[0:1], v[2:3]
	v_lshl_add_u64 v[6:7], v[6:7], 0, s[6:7]
	s_or_b64 s[0:1], vcc, s[0:1]
	s_waitcnt vmcnt(0)
	v_add_u32_e32 v10, v8, v9
	v_ashrrev_i32_e32 v11, 31, v10
	v_lshl_add_u64 v[10:11], v[10:11], 3, s[2:3]
	global_load_dwordx2 v[10:11], v[10:11], off
	s_waitcnt vmcnt(0)
	global_store_dwordx2 v[4:5], v[10:11], off
	v_lshl_add_u64 v[4:5], v[4:5], 0, s[4:5]
	s_andn2_b64 exec, exec, s[0:1]
	s_cbranch_execnz .LBB124_3
.LBB124_4:
	s_endpgm
	.section	.rodata,"a",@progbits
	.p2align	6, 0x0
	.amdhsa_kernel _ZN9rocsparseL23sddmm_csx_sample_kernelILi512ELi64EL20rocsparse_direction_1E21rocsparse_complex_numIfEliS3_EEvT4_S4_T3_PKT5_S4_PS6_PKS5_PKS4_21rocsparse_index_base_
		.amdhsa_group_segment_fixed_size 0
		.amdhsa_private_segment_fixed_size 0
		.amdhsa_kernarg_size 60
		.amdhsa_user_sgpr_count 2
		.amdhsa_user_sgpr_dispatch_ptr 0
		.amdhsa_user_sgpr_queue_ptr 0
		.amdhsa_user_sgpr_kernarg_segment_ptr 1
		.amdhsa_user_sgpr_dispatch_id 0
		.amdhsa_user_sgpr_kernarg_preload_length 0
		.amdhsa_user_sgpr_kernarg_preload_offset 0
		.amdhsa_user_sgpr_private_segment_size 0
		.amdhsa_uses_dynamic_stack 0
		.amdhsa_enable_private_segment 0
		.amdhsa_system_sgpr_workgroup_id_x 1
		.amdhsa_system_sgpr_workgroup_id_y 0
		.amdhsa_system_sgpr_workgroup_id_z 0
		.amdhsa_system_sgpr_workgroup_info 0
		.amdhsa_system_vgpr_workitem_id 0
		.amdhsa_next_free_vgpr 12
		.amdhsa_next_free_sgpr 10
		.amdhsa_accum_offset 12
		.amdhsa_reserve_vcc 1
		.amdhsa_float_round_mode_32 0
		.amdhsa_float_round_mode_16_64 0
		.amdhsa_float_denorm_mode_32 3
		.amdhsa_float_denorm_mode_16_64 3
		.amdhsa_dx10_clamp 1
		.amdhsa_ieee_mode 1
		.amdhsa_fp16_overflow 0
		.amdhsa_tg_split 0
		.amdhsa_exception_fp_ieee_invalid_op 0
		.amdhsa_exception_fp_denorm_src 0
		.amdhsa_exception_fp_ieee_div_zero 0
		.amdhsa_exception_fp_ieee_overflow 0
		.amdhsa_exception_fp_ieee_underflow 0
		.amdhsa_exception_fp_ieee_inexact 0
		.amdhsa_exception_int_div_zero 0
	.end_amdhsa_kernel
	.section	.text._ZN9rocsparseL23sddmm_csx_sample_kernelILi512ELi64EL20rocsparse_direction_1E21rocsparse_complex_numIfEliS3_EEvT4_S4_T3_PKT5_S4_PS6_PKS5_PKS4_21rocsparse_index_base_,"axG",@progbits,_ZN9rocsparseL23sddmm_csx_sample_kernelILi512ELi64EL20rocsparse_direction_1E21rocsparse_complex_numIfEliS3_EEvT4_S4_T3_PKT5_S4_PS6_PKS5_PKS4_21rocsparse_index_base_,comdat
.Lfunc_end124:
	.size	_ZN9rocsparseL23sddmm_csx_sample_kernelILi512ELi64EL20rocsparse_direction_1E21rocsparse_complex_numIfEliS3_EEvT4_S4_T3_PKT5_S4_PS6_PKS5_PKS4_21rocsparse_index_base_, .Lfunc_end124-_ZN9rocsparseL23sddmm_csx_sample_kernelILi512ELi64EL20rocsparse_direction_1E21rocsparse_complex_numIfEliS3_EEvT4_S4_T3_PKT5_S4_PS6_PKS5_PKS4_21rocsparse_index_base_
                                        ; -- End function
	.set _ZN9rocsparseL23sddmm_csx_sample_kernelILi512ELi64EL20rocsparse_direction_1E21rocsparse_complex_numIfEliS3_EEvT4_S4_T3_PKT5_S4_PS6_PKS5_PKS4_21rocsparse_index_base_.num_vgpr, 12
	.set _ZN9rocsparseL23sddmm_csx_sample_kernelILi512ELi64EL20rocsparse_direction_1E21rocsparse_complex_numIfEliS3_EEvT4_S4_T3_PKT5_S4_PS6_PKS5_PKS4_21rocsparse_index_base_.num_agpr, 0
	.set _ZN9rocsparseL23sddmm_csx_sample_kernelILi512ELi64EL20rocsparse_direction_1E21rocsparse_complex_numIfEliS3_EEvT4_S4_T3_PKT5_S4_PS6_PKS5_PKS4_21rocsparse_index_base_.numbered_sgpr, 10
	.set _ZN9rocsparseL23sddmm_csx_sample_kernelILi512ELi64EL20rocsparse_direction_1E21rocsparse_complex_numIfEliS3_EEvT4_S4_T3_PKT5_S4_PS6_PKS5_PKS4_21rocsparse_index_base_.num_named_barrier, 0
	.set _ZN9rocsparseL23sddmm_csx_sample_kernelILi512ELi64EL20rocsparse_direction_1E21rocsparse_complex_numIfEliS3_EEvT4_S4_T3_PKT5_S4_PS6_PKS5_PKS4_21rocsparse_index_base_.private_seg_size, 0
	.set _ZN9rocsparseL23sddmm_csx_sample_kernelILi512ELi64EL20rocsparse_direction_1E21rocsparse_complex_numIfEliS3_EEvT4_S4_T3_PKT5_S4_PS6_PKS5_PKS4_21rocsparse_index_base_.uses_vcc, 1
	.set _ZN9rocsparseL23sddmm_csx_sample_kernelILi512ELi64EL20rocsparse_direction_1E21rocsparse_complex_numIfEliS3_EEvT4_S4_T3_PKT5_S4_PS6_PKS5_PKS4_21rocsparse_index_base_.uses_flat_scratch, 0
	.set _ZN9rocsparseL23sddmm_csx_sample_kernelILi512ELi64EL20rocsparse_direction_1E21rocsparse_complex_numIfEliS3_EEvT4_S4_T3_PKT5_S4_PS6_PKS5_PKS4_21rocsparse_index_base_.has_dyn_sized_stack, 0
	.set _ZN9rocsparseL23sddmm_csx_sample_kernelILi512ELi64EL20rocsparse_direction_1E21rocsparse_complex_numIfEliS3_EEvT4_S4_T3_PKT5_S4_PS6_PKS5_PKS4_21rocsparse_index_base_.has_recursion, 0
	.set _ZN9rocsparseL23sddmm_csx_sample_kernelILi512ELi64EL20rocsparse_direction_1E21rocsparse_complex_numIfEliS3_EEvT4_S4_T3_PKT5_S4_PS6_PKS5_PKS4_21rocsparse_index_base_.has_indirect_call, 0
	.section	.AMDGPU.csdata,"",@progbits
; Kernel info:
; codeLenInByte = 308
; TotalNumSgprs: 16
; NumVgprs: 12
; NumAgprs: 0
; TotalNumVgprs: 12
; ScratchSize: 0
; MemoryBound: 0
; FloatMode: 240
; IeeeMode: 1
; LDSByteSize: 0 bytes/workgroup (compile time only)
; SGPRBlocks: 1
; VGPRBlocks: 1
; NumSGPRsForWavesPerEU: 16
; NumVGPRsForWavesPerEU: 12
; AccumOffset: 12
; Occupancy: 8
; WaveLimiterHint : 1
; COMPUTE_PGM_RSRC2:SCRATCH_EN: 0
; COMPUTE_PGM_RSRC2:USER_SGPR: 2
; COMPUTE_PGM_RSRC2:TRAP_HANDLER: 0
; COMPUTE_PGM_RSRC2:TGID_X_EN: 1
; COMPUTE_PGM_RSRC2:TGID_Y_EN: 0
; COMPUTE_PGM_RSRC2:TGID_Z_EN: 0
; COMPUTE_PGM_RSRC2:TIDIG_COMP_CNT: 0
; COMPUTE_PGM_RSRC3_GFX90A:ACCUM_OFFSET: 2
; COMPUTE_PGM_RSRC3_GFX90A:TG_SPLIT: 0
	.section	.text._ZN9rocsparseL23sddmm_csx_sample_kernelILi512ELi32EL20rocsparse_direction_1E21rocsparse_complex_numIfEliS3_EEvT4_S4_T3_PKT5_S4_PS6_PKS5_PKS4_21rocsparse_index_base_,"axG",@progbits,_ZN9rocsparseL23sddmm_csx_sample_kernelILi512ELi32EL20rocsparse_direction_1E21rocsparse_complex_numIfEliS3_EEvT4_S4_T3_PKT5_S4_PS6_PKS5_PKS4_21rocsparse_index_base_,comdat
	.globl	_ZN9rocsparseL23sddmm_csx_sample_kernelILi512ELi32EL20rocsparse_direction_1E21rocsparse_complex_numIfEliS3_EEvT4_S4_T3_PKT5_S4_PS6_PKS5_PKS4_21rocsparse_index_base_ ; -- Begin function _ZN9rocsparseL23sddmm_csx_sample_kernelILi512ELi32EL20rocsparse_direction_1E21rocsparse_complex_numIfEliS3_EEvT4_S4_T3_PKT5_S4_PS6_PKS5_PKS4_21rocsparse_index_base_
	.p2align	8
	.type	_ZN9rocsparseL23sddmm_csx_sample_kernelILi512ELi32EL20rocsparse_direction_1E21rocsparse_complex_numIfEliS3_EEvT4_S4_T3_PKT5_S4_PS6_PKS5_PKS4_21rocsparse_index_base_,@function
_ZN9rocsparseL23sddmm_csx_sample_kernelILi512ELi32EL20rocsparse_direction_1E21rocsparse_complex_numIfEliS3_EEvT4_S4_T3_PKT5_S4_PS6_PKS5_PKS4_21rocsparse_index_base_: ; @_ZN9rocsparseL23sddmm_csx_sample_kernelILi512ELi32EL20rocsparse_direction_1E21rocsparse_complex_numIfEliS3_EEvT4_S4_T3_PKT5_S4_PS6_PKS5_PKS4_21rocsparse_index_base_
; %bb.0:
	s_load_dword s3, s[0:1], 0x4
	v_lshrrev_b32_e32 v1, 5, v0
	v_lshl_or_b32 v4, s2, 4, v1
	s_waitcnt lgkmcnt(0)
	v_cmp_gt_u32_e32 vcc, s3, v4
	s_and_saveexec_b64 s[2:3], vcc
	s_cbranch_execz .LBB125_4
; %bb.1:
	s_load_dwordx2 s[2:3], s[0:1], 0x28
	s_load_dword s4, s[0:1], 0x38
	v_mov_b32_e32 v5, 0
	v_and_b32_e32 v0, 31, v0
	s_waitcnt lgkmcnt(0)
	v_lshl_add_u64 v[2:3], v[4:5], 3, s[2:3]
	global_load_dwordx4 v[6:9], v[2:3], off
	v_subrev_co_u32_e32 v0, vcc, s4, v0
	s_nop 1
	v_subb_co_u32_e64 v1, s[2:3], 0, 0, vcc
	s_waitcnt vmcnt(0)
	v_subrev_co_u32_e32 v2, vcc, s4, v8
	v_lshl_add_u64 v[0:1], v[0:1], 0, v[6:7]
	s_nop 0
	v_subbrev_co_u32_e32 v3, vcc, 0, v9, vcc
	v_cmp_lt_i64_e32 vcc, v[0:1], v[2:3]
	s_and_b64 exec, exec, vcc
	s_cbranch_execz .LBB125_4
; %bb.2:
	s_load_dwordx2 s[6:7], s[0:1], 0x30
	s_load_dword s5, s[0:1], 0x18
	s_load_dwordx2 s[8:9], s[0:1], 0x20
	s_load_dwordx2 s[2:3], s[0:1], 0x10
	s_mov_b64 s[0:1], 0
	s_waitcnt lgkmcnt(0)
	v_mul_lo_u32 v6, s5, v4
	v_lshl_add_u64 v[4:5], v[0:1], 3, s[8:9]
	v_subrev_u32_e32 v8, s4, v6
	v_lshl_add_u64 v[6:7], v[0:1], 2, s[6:7]
	s_mov_b64 s[4:5], 0x100
	s_mov_b64 s[6:7], 0x80
.LBB125_3:                              ; =>This Inner Loop Header: Depth=1
	global_load_dword v9, v[6:7], off
	v_lshl_add_u64 v[0:1], v[0:1], 0, 32
	v_cmp_ge_i64_e32 vcc, v[0:1], v[2:3]
	v_lshl_add_u64 v[6:7], v[6:7], 0, s[6:7]
	s_or_b64 s[0:1], vcc, s[0:1]
	s_waitcnt vmcnt(0)
	v_add_u32_e32 v10, v8, v9
	v_ashrrev_i32_e32 v11, 31, v10
	v_lshl_add_u64 v[10:11], v[10:11], 3, s[2:3]
	global_load_dwordx2 v[10:11], v[10:11], off
	s_waitcnt vmcnt(0)
	global_store_dwordx2 v[4:5], v[10:11], off
	v_lshl_add_u64 v[4:5], v[4:5], 0, s[4:5]
	s_andn2_b64 exec, exec, s[0:1]
	s_cbranch_execnz .LBB125_3
.LBB125_4:
	s_endpgm
	.section	.rodata,"a",@progbits
	.p2align	6, 0x0
	.amdhsa_kernel _ZN9rocsparseL23sddmm_csx_sample_kernelILi512ELi32EL20rocsparse_direction_1E21rocsparse_complex_numIfEliS3_EEvT4_S4_T3_PKT5_S4_PS6_PKS5_PKS4_21rocsparse_index_base_
		.amdhsa_group_segment_fixed_size 0
		.amdhsa_private_segment_fixed_size 0
		.amdhsa_kernarg_size 60
		.amdhsa_user_sgpr_count 2
		.amdhsa_user_sgpr_dispatch_ptr 0
		.amdhsa_user_sgpr_queue_ptr 0
		.amdhsa_user_sgpr_kernarg_segment_ptr 1
		.amdhsa_user_sgpr_dispatch_id 0
		.amdhsa_user_sgpr_kernarg_preload_length 0
		.amdhsa_user_sgpr_kernarg_preload_offset 0
		.amdhsa_user_sgpr_private_segment_size 0
		.amdhsa_uses_dynamic_stack 0
		.amdhsa_enable_private_segment 0
		.amdhsa_system_sgpr_workgroup_id_x 1
		.amdhsa_system_sgpr_workgroup_id_y 0
		.amdhsa_system_sgpr_workgroup_id_z 0
		.amdhsa_system_sgpr_workgroup_info 0
		.amdhsa_system_vgpr_workitem_id 0
		.amdhsa_next_free_vgpr 12
		.amdhsa_next_free_sgpr 10
		.amdhsa_accum_offset 12
		.amdhsa_reserve_vcc 1
		.amdhsa_float_round_mode_32 0
		.amdhsa_float_round_mode_16_64 0
		.amdhsa_float_denorm_mode_32 3
		.amdhsa_float_denorm_mode_16_64 3
		.amdhsa_dx10_clamp 1
		.amdhsa_ieee_mode 1
		.amdhsa_fp16_overflow 0
		.amdhsa_tg_split 0
		.amdhsa_exception_fp_ieee_invalid_op 0
		.amdhsa_exception_fp_denorm_src 0
		.amdhsa_exception_fp_ieee_div_zero 0
		.amdhsa_exception_fp_ieee_overflow 0
		.amdhsa_exception_fp_ieee_underflow 0
		.amdhsa_exception_fp_ieee_inexact 0
		.amdhsa_exception_int_div_zero 0
	.end_amdhsa_kernel
	.section	.text._ZN9rocsparseL23sddmm_csx_sample_kernelILi512ELi32EL20rocsparse_direction_1E21rocsparse_complex_numIfEliS3_EEvT4_S4_T3_PKT5_S4_PS6_PKS5_PKS4_21rocsparse_index_base_,"axG",@progbits,_ZN9rocsparseL23sddmm_csx_sample_kernelILi512ELi32EL20rocsparse_direction_1E21rocsparse_complex_numIfEliS3_EEvT4_S4_T3_PKT5_S4_PS6_PKS5_PKS4_21rocsparse_index_base_,comdat
.Lfunc_end125:
	.size	_ZN9rocsparseL23sddmm_csx_sample_kernelILi512ELi32EL20rocsparse_direction_1E21rocsparse_complex_numIfEliS3_EEvT4_S4_T3_PKT5_S4_PS6_PKS5_PKS4_21rocsparse_index_base_, .Lfunc_end125-_ZN9rocsparseL23sddmm_csx_sample_kernelILi512ELi32EL20rocsparse_direction_1E21rocsparse_complex_numIfEliS3_EEvT4_S4_T3_PKT5_S4_PS6_PKS5_PKS4_21rocsparse_index_base_
                                        ; -- End function
	.set _ZN9rocsparseL23sddmm_csx_sample_kernelILi512ELi32EL20rocsparse_direction_1E21rocsparse_complex_numIfEliS3_EEvT4_S4_T3_PKT5_S4_PS6_PKS5_PKS4_21rocsparse_index_base_.num_vgpr, 12
	.set _ZN9rocsparseL23sddmm_csx_sample_kernelILi512ELi32EL20rocsparse_direction_1E21rocsparse_complex_numIfEliS3_EEvT4_S4_T3_PKT5_S4_PS6_PKS5_PKS4_21rocsparse_index_base_.num_agpr, 0
	.set _ZN9rocsparseL23sddmm_csx_sample_kernelILi512ELi32EL20rocsparse_direction_1E21rocsparse_complex_numIfEliS3_EEvT4_S4_T3_PKT5_S4_PS6_PKS5_PKS4_21rocsparse_index_base_.numbered_sgpr, 10
	.set _ZN9rocsparseL23sddmm_csx_sample_kernelILi512ELi32EL20rocsparse_direction_1E21rocsparse_complex_numIfEliS3_EEvT4_S4_T3_PKT5_S4_PS6_PKS5_PKS4_21rocsparse_index_base_.num_named_barrier, 0
	.set _ZN9rocsparseL23sddmm_csx_sample_kernelILi512ELi32EL20rocsparse_direction_1E21rocsparse_complex_numIfEliS3_EEvT4_S4_T3_PKT5_S4_PS6_PKS5_PKS4_21rocsparse_index_base_.private_seg_size, 0
	.set _ZN9rocsparseL23sddmm_csx_sample_kernelILi512ELi32EL20rocsparse_direction_1E21rocsparse_complex_numIfEliS3_EEvT4_S4_T3_PKT5_S4_PS6_PKS5_PKS4_21rocsparse_index_base_.uses_vcc, 1
	.set _ZN9rocsparseL23sddmm_csx_sample_kernelILi512ELi32EL20rocsparse_direction_1E21rocsparse_complex_numIfEliS3_EEvT4_S4_T3_PKT5_S4_PS6_PKS5_PKS4_21rocsparse_index_base_.uses_flat_scratch, 0
	.set _ZN9rocsparseL23sddmm_csx_sample_kernelILi512ELi32EL20rocsparse_direction_1E21rocsparse_complex_numIfEliS3_EEvT4_S4_T3_PKT5_S4_PS6_PKS5_PKS4_21rocsparse_index_base_.has_dyn_sized_stack, 0
	.set _ZN9rocsparseL23sddmm_csx_sample_kernelILi512ELi32EL20rocsparse_direction_1E21rocsparse_complex_numIfEliS3_EEvT4_S4_T3_PKT5_S4_PS6_PKS5_PKS4_21rocsparse_index_base_.has_recursion, 0
	.set _ZN9rocsparseL23sddmm_csx_sample_kernelILi512ELi32EL20rocsparse_direction_1E21rocsparse_complex_numIfEliS3_EEvT4_S4_T3_PKT5_S4_PS6_PKS5_PKS4_21rocsparse_index_base_.has_indirect_call, 0
	.section	.AMDGPU.csdata,"",@progbits
; Kernel info:
; codeLenInByte = 308
; TotalNumSgprs: 16
; NumVgprs: 12
; NumAgprs: 0
; TotalNumVgprs: 12
; ScratchSize: 0
; MemoryBound: 0
; FloatMode: 240
; IeeeMode: 1
; LDSByteSize: 0 bytes/workgroup (compile time only)
; SGPRBlocks: 1
; VGPRBlocks: 1
; NumSGPRsForWavesPerEU: 16
; NumVGPRsForWavesPerEU: 12
; AccumOffset: 12
; Occupancy: 8
; WaveLimiterHint : 1
; COMPUTE_PGM_RSRC2:SCRATCH_EN: 0
; COMPUTE_PGM_RSRC2:USER_SGPR: 2
; COMPUTE_PGM_RSRC2:TRAP_HANDLER: 0
; COMPUTE_PGM_RSRC2:TGID_X_EN: 1
; COMPUTE_PGM_RSRC2:TGID_Y_EN: 0
; COMPUTE_PGM_RSRC2:TGID_Z_EN: 0
; COMPUTE_PGM_RSRC2:TIDIG_COMP_CNT: 0
; COMPUTE_PGM_RSRC3_GFX90A:ACCUM_OFFSET: 2
; COMPUTE_PGM_RSRC3_GFX90A:TG_SPLIT: 0
	.section	.text._ZN9rocsparseL23sddmm_csx_sample_kernelILi512ELi16EL20rocsparse_direction_1E21rocsparse_complex_numIfEliS3_EEvT4_S4_T3_PKT5_S4_PS6_PKS5_PKS4_21rocsparse_index_base_,"axG",@progbits,_ZN9rocsparseL23sddmm_csx_sample_kernelILi512ELi16EL20rocsparse_direction_1E21rocsparse_complex_numIfEliS3_EEvT4_S4_T3_PKT5_S4_PS6_PKS5_PKS4_21rocsparse_index_base_,comdat
	.globl	_ZN9rocsparseL23sddmm_csx_sample_kernelILi512ELi16EL20rocsparse_direction_1E21rocsparse_complex_numIfEliS3_EEvT4_S4_T3_PKT5_S4_PS6_PKS5_PKS4_21rocsparse_index_base_ ; -- Begin function _ZN9rocsparseL23sddmm_csx_sample_kernelILi512ELi16EL20rocsparse_direction_1E21rocsparse_complex_numIfEliS3_EEvT4_S4_T3_PKT5_S4_PS6_PKS5_PKS4_21rocsparse_index_base_
	.p2align	8
	.type	_ZN9rocsparseL23sddmm_csx_sample_kernelILi512ELi16EL20rocsparse_direction_1E21rocsparse_complex_numIfEliS3_EEvT4_S4_T3_PKT5_S4_PS6_PKS5_PKS4_21rocsparse_index_base_,@function
_ZN9rocsparseL23sddmm_csx_sample_kernelILi512ELi16EL20rocsparse_direction_1E21rocsparse_complex_numIfEliS3_EEvT4_S4_T3_PKT5_S4_PS6_PKS5_PKS4_21rocsparse_index_base_: ; @_ZN9rocsparseL23sddmm_csx_sample_kernelILi512ELi16EL20rocsparse_direction_1E21rocsparse_complex_numIfEliS3_EEvT4_S4_T3_PKT5_S4_PS6_PKS5_PKS4_21rocsparse_index_base_
; %bb.0:
	s_load_dword s3, s[0:1], 0x4
	v_lshrrev_b32_e32 v1, 4, v0
	v_lshl_or_b32 v4, s2, 5, v1
	s_waitcnt lgkmcnt(0)
	v_cmp_gt_u32_e32 vcc, s3, v4
	s_and_saveexec_b64 s[2:3], vcc
	s_cbranch_execz .LBB126_4
; %bb.1:
	s_load_dwordx2 s[2:3], s[0:1], 0x28
	s_load_dword s4, s[0:1], 0x38
	v_mov_b32_e32 v5, 0
	v_and_b32_e32 v0, 15, v0
	s_waitcnt lgkmcnt(0)
	v_lshl_add_u64 v[2:3], v[4:5], 3, s[2:3]
	global_load_dwordx4 v[6:9], v[2:3], off
	v_subrev_co_u32_e32 v0, vcc, s4, v0
	s_nop 1
	v_subb_co_u32_e64 v1, s[2:3], 0, 0, vcc
	s_waitcnt vmcnt(0)
	v_subrev_co_u32_e32 v2, vcc, s4, v8
	v_lshl_add_u64 v[0:1], v[0:1], 0, v[6:7]
	s_nop 0
	v_subbrev_co_u32_e32 v3, vcc, 0, v9, vcc
	v_cmp_lt_i64_e32 vcc, v[0:1], v[2:3]
	s_and_b64 exec, exec, vcc
	s_cbranch_execz .LBB126_4
; %bb.2:
	s_load_dwordx2 s[6:7], s[0:1], 0x30
	s_load_dword s5, s[0:1], 0x18
	s_load_dwordx2 s[8:9], s[0:1], 0x20
	s_load_dwordx2 s[2:3], s[0:1], 0x10
	s_mov_b64 s[0:1], 0
	s_waitcnt lgkmcnt(0)
	v_mul_lo_u32 v6, s5, v4
	v_lshl_add_u64 v[4:5], v[0:1], 3, s[8:9]
	v_subrev_u32_e32 v8, s4, v6
	v_lshl_add_u64 v[6:7], v[0:1], 2, s[6:7]
	s_mov_b64 s[4:5], 0x80
.LBB126_3:                              ; =>This Inner Loop Header: Depth=1
	global_load_dword v9, v[6:7], off
	v_lshl_add_u64 v[0:1], v[0:1], 0, 16
	v_cmp_ge_i64_e32 vcc, v[0:1], v[2:3]
	v_lshl_add_u64 v[6:7], v[6:7], 0, 64
	s_or_b64 s[0:1], vcc, s[0:1]
	s_waitcnt vmcnt(0)
	v_add_u32_e32 v10, v8, v9
	v_ashrrev_i32_e32 v11, 31, v10
	v_lshl_add_u64 v[10:11], v[10:11], 3, s[2:3]
	global_load_dwordx2 v[10:11], v[10:11], off
	s_waitcnt vmcnt(0)
	global_store_dwordx2 v[4:5], v[10:11], off
	v_lshl_add_u64 v[4:5], v[4:5], 0, s[4:5]
	s_andn2_b64 exec, exec, s[0:1]
	s_cbranch_execnz .LBB126_3
.LBB126_4:
	s_endpgm
	.section	.rodata,"a",@progbits
	.p2align	6, 0x0
	.amdhsa_kernel _ZN9rocsparseL23sddmm_csx_sample_kernelILi512ELi16EL20rocsparse_direction_1E21rocsparse_complex_numIfEliS3_EEvT4_S4_T3_PKT5_S4_PS6_PKS5_PKS4_21rocsparse_index_base_
		.amdhsa_group_segment_fixed_size 0
		.amdhsa_private_segment_fixed_size 0
		.amdhsa_kernarg_size 60
		.amdhsa_user_sgpr_count 2
		.amdhsa_user_sgpr_dispatch_ptr 0
		.amdhsa_user_sgpr_queue_ptr 0
		.amdhsa_user_sgpr_kernarg_segment_ptr 1
		.amdhsa_user_sgpr_dispatch_id 0
		.amdhsa_user_sgpr_kernarg_preload_length 0
		.amdhsa_user_sgpr_kernarg_preload_offset 0
		.amdhsa_user_sgpr_private_segment_size 0
		.amdhsa_uses_dynamic_stack 0
		.amdhsa_enable_private_segment 0
		.amdhsa_system_sgpr_workgroup_id_x 1
		.amdhsa_system_sgpr_workgroup_id_y 0
		.amdhsa_system_sgpr_workgroup_id_z 0
		.amdhsa_system_sgpr_workgroup_info 0
		.amdhsa_system_vgpr_workitem_id 0
		.amdhsa_next_free_vgpr 12
		.amdhsa_next_free_sgpr 10
		.amdhsa_accum_offset 12
		.amdhsa_reserve_vcc 1
		.amdhsa_float_round_mode_32 0
		.amdhsa_float_round_mode_16_64 0
		.amdhsa_float_denorm_mode_32 3
		.amdhsa_float_denorm_mode_16_64 3
		.amdhsa_dx10_clamp 1
		.amdhsa_ieee_mode 1
		.amdhsa_fp16_overflow 0
		.amdhsa_tg_split 0
		.amdhsa_exception_fp_ieee_invalid_op 0
		.amdhsa_exception_fp_denorm_src 0
		.amdhsa_exception_fp_ieee_div_zero 0
		.amdhsa_exception_fp_ieee_overflow 0
		.amdhsa_exception_fp_ieee_underflow 0
		.amdhsa_exception_fp_ieee_inexact 0
		.amdhsa_exception_int_div_zero 0
	.end_amdhsa_kernel
	.section	.text._ZN9rocsparseL23sddmm_csx_sample_kernelILi512ELi16EL20rocsparse_direction_1E21rocsparse_complex_numIfEliS3_EEvT4_S4_T3_PKT5_S4_PS6_PKS5_PKS4_21rocsparse_index_base_,"axG",@progbits,_ZN9rocsparseL23sddmm_csx_sample_kernelILi512ELi16EL20rocsparse_direction_1E21rocsparse_complex_numIfEliS3_EEvT4_S4_T3_PKT5_S4_PS6_PKS5_PKS4_21rocsparse_index_base_,comdat
.Lfunc_end126:
	.size	_ZN9rocsparseL23sddmm_csx_sample_kernelILi512ELi16EL20rocsparse_direction_1E21rocsparse_complex_numIfEliS3_EEvT4_S4_T3_PKT5_S4_PS6_PKS5_PKS4_21rocsparse_index_base_, .Lfunc_end126-_ZN9rocsparseL23sddmm_csx_sample_kernelILi512ELi16EL20rocsparse_direction_1E21rocsparse_complex_numIfEliS3_EEvT4_S4_T3_PKT5_S4_PS6_PKS5_PKS4_21rocsparse_index_base_
                                        ; -- End function
	.set _ZN9rocsparseL23sddmm_csx_sample_kernelILi512ELi16EL20rocsparse_direction_1E21rocsparse_complex_numIfEliS3_EEvT4_S4_T3_PKT5_S4_PS6_PKS5_PKS4_21rocsparse_index_base_.num_vgpr, 12
	.set _ZN9rocsparseL23sddmm_csx_sample_kernelILi512ELi16EL20rocsparse_direction_1E21rocsparse_complex_numIfEliS3_EEvT4_S4_T3_PKT5_S4_PS6_PKS5_PKS4_21rocsparse_index_base_.num_agpr, 0
	.set _ZN9rocsparseL23sddmm_csx_sample_kernelILi512ELi16EL20rocsparse_direction_1E21rocsparse_complex_numIfEliS3_EEvT4_S4_T3_PKT5_S4_PS6_PKS5_PKS4_21rocsparse_index_base_.numbered_sgpr, 10
	.set _ZN9rocsparseL23sddmm_csx_sample_kernelILi512ELi16EL20rocsparse_direction_1E21rocsparse_complex_numIfEliS3_EEvT4_S4_T3_PKT5_S4_PS6_PKS5_PKS4_21rocsparse_index_base_.num_named_barrier, 0
	.set _ZN9rocsparseL23sddmm_csx_sample_kernelILi512ELi16EL20rocsparse_direction_1E21rocsparse_complex_numIfEliS3_EEvT4_S4_T3_PKT5_S4_PS6_PKS5_PKS4_21rocsparse_index_base_.private_seg_size, 0
	.set _ZN9rocsparseL23sddmm_csx_sample_kernelILi512ELi16EL20rocsparse_direction_1E21rocsparse_complex_numIfEliS3_EEvT4_S4_T3_PKT5_S4_PS6_PKS5_PKS4_21rocsparse_index_base_.uses_vcc, 1
	.set _ZN9rocsparseL23sddmm_csx_sample_kernelILi512ELi16EL20rocsparse_direction_1E21rocsparse_complex_numIfEliS3_EEvT4_S4_T3_PKT5_S4_PS6_PKS5_PKS4_21rocsparse_index_base_.uses_flat_scratch, 0
	.set _ZN9rocsparseL23sddmm_csx_sample_kernelILi512ELi16EL20rocsparse_direction_1E21rocsparse_complex_numIfEliS3_EEvT4_S4_T3_PKT5_S4_PS6_PKS5_PKS4_21rocsparse_index_base_.has_dyn_sized_stack, 0
	.set _ZN9rocsparseL23sddmm_csx_sample_kernelILi512ELi16EL20rocsparse_direction_1E21rocsparse_complex_numIfEliS3_EEvT4_S4_T3_PKT5_S4_PS6_PKS5_PKS4_21rocsparse_index_base_.has_recursion, 0
	.set _ZN9rocsparseL23sddmm_csx_sample_kernelILi512ELi16EL20rocsparse_direction_1E21rocsparse_complex_numIfEliS3_EEvT4_S4_T3_PKT5_S4_PS6_PKS5_PKS4_21rocsparse_index_base_.has_indirect_call, 0
	.section	.AMDGPU.csdata,"",@progbits
; Kernel info:
; codeLenInByte = 300
; TotalNumSgprs: 16
; NumVgprs: 12
; NumAgprs: 0
; TotalNumVgprs: 12
; ScratchSize: 0
; MemoryBound: 0
; FloatMode: 240
; IeeeMode: 1
; LDSByteSize: 0 bytes/workgroup (compile time only)
; SGPRBlocks: 1
; VGPRBlocks: 1
; NumSGPRsForWavesPerEU: 16
; NumVGPRsForWavesPerEU: 12
; AccumOffset: 12
; Occupancy: 8
; WaveLimiterHint : 1
; COMPUTE_PGM_RSRC2:SCRATCH_EN: 0
; COMPUTE_PGM_RSRC2:USER_SGPR: 2
; COMPUTE_PGM_RSRC2:TRAP_HANDLER: 0
; COMPUTE_PGM_RSRC2:TGID_X_EN: 1
; COMPUTE_PGM_RSRC2:TGID_Y_EN: 0
; COMPUTE_PGM_RSRC2:TGID_Z_EN: 0
; COMPUTE_PGM_RSRC2:TIDIG_COMP_CNT: 0
; COMPUTE_PGM_RSRC3_GFX90A:ACCUM_OFFSET: 2
; COMPUTE_PGM_RSRC3_GFX90A:TG_SPLIT: 0
	.section	.text._ZN9rocsparseL23sddmm_csx_sample_kernelILi512ELi8EL20rocsparse_direction_1E21rocsparse_complex_numIfEliS3_EEvT4_S4_T3_PKT5_S4_PS6_PKS5_PKS4_21rocsparse_index_base_,"axG",@progbits,_ZN9rocsparseL23sddmm_csx_sample_kernelILi512ELi8EL20rocsparse_direction_1E21rocsparse_complex_numIfEliS3_EEvT4_S4_T3_PKT5_S4_PS6_PKS5_PKS4_21rocsparse_index_base_,comdat
	.globl	_ZN9rocsparseL23sddmm_csx_sample_kernelILi512ELi8EL20rocsparse_direction_1E21rocsparse_complex_numIfEliS3_EEvT4_S4_T3_PKT5_S4_PS6_PKS5_PKS4_21rocsparse_index_base_ ; -- Begin function _ZN9rocsparseL23sddmm_csx_sample_kernelILi512ELi8EL20rocsparse_direction_1E21rocsparse_complex_numIfEliS3_EEvT4_S4_T3_PKT5_S4_PS6_PKS5_PKS4_21rocsparse_index_base_
	.p2align	8
	.type	_ZN9rocsparseL23sddmm_csx_sample_kernelILi512ELi8EL20rocsparse_direction_1E21rocsparse_complex_numIfEliS3_EEvT4_S4_T3_PKT5_S4_PS6_PKS5_PKS4_21rocsparse_index_base_,@function
_ZN9rocsparseL23sddmm_csx_sample_kernelILi512ELi8EL20rocsparse_direction_1E21rocsparse_complex_numIfEliS3_EEvT4_S4_T3_PKT5_S4_PS6_PKS5_PKS4_21rocsparse_index_base_: ; @_ZN9rocsparseL23sddmm_csx_sample_kernelILi512ELi8EL20rocsparse_direction_1E21rocsparse_complex_numIfEliS3_EEvT4_S4_T3_PKT5_S4_PS6_PKS5_PKS4_21rocsparse_index_base_
; %bb.0:
	s_load_dword s3, s[0:1], 0x4
	v_lshrrev_b32_e32 v1, 3, v0
	v_lshl_or_b32 v4, s2, 6, v1
	s_waitcnt lgkmcnt(0)
	v_cmp_gt_u32_e32 vcc, s3, v4
	s_and_saveexec_b64 s[2:3], vcc
	s_cbranch_execz .LBB127_4
; %bb.1:
	s_load_dwordx2 s[2:3], s[0:1], 0x28
	s_load_dword s4, s[0:1], 0x38
	v_mov_b32_e32 v5, 0
	v_and_b32_e32 v0, 7, v0
	s_waitcnt lgkmcnt(0)
	v_lshl_add_u64 v[2:3], v[4:5], 3, s[2:3]
	global_load_dwordx4 v[6:9], v[2:3], off
	v_subrev_co_u32_e32 v0, vcc, s4, v0
	s_nop 1
	v_subb_co_u32_e64 v1, s[2:3], 0, 0, vcc
	s_waitcnt vmcnt(0)
	v_subrev_co_u32_e32 v2, vcc, s4, v8
	v_lshl_add_u64 v[0:1], v[0:1], 0, v[6:7]
	s_nop 0
	v_subbrev_co_u32_e32 v3, vcc, 0, v9, vcc
	v_cmp_lt_i64_e32 vcc, v[0:1], v[2:3]
	s_and_b64 exec, exec, vcc
	s_cbranch_execz .LBB127_4
; %bb.2:
	s_load_dwordx2 s[6:7], s[0:1], 0x30
	s_load_dword s5, s[0:1], 0x18
	s_load_dwordx2 s[8:9], s[0:1], 0x20
	s_load_dwordx2 s[2:3], s[0:1], 0x10
	s_mov_b64 s[0:1], 0
	s_waitcnt lgkmcnt(0)
	v_mul_lo_u32 v6, s5, v4
	v_lshl_add_u64 v[4:5], v[0:1], 3, s[8:9]
	v_subrev_u32_e32 v8, s4, v6
	v_lshl_add_u64 v[6:7], v[0:1], 2, s[6:7]
.LBB127_3:                              ; =>This Inner Loop Header: Depth=1
	global_load_dword v9, v[6:7], off
	v_lshl_add_u64 v[0:1], v[0:1], 0, 8
	v_cmp_ge_i64_e32 vcc, v[0:1], v[2:3]
	v_lshl_add_u64 v[6:7], v[6:7], 0, 32
	s_or_b64 s[0:1], vcc, s[0:1]
	s_waitcnt vmcnt(0)
	v_add_u32_e32 v10, v8, v9
	v_ashrrev_i32_e32 v11, 31, v10
	v_lshl_add_u64 v[10:11], v[10:11], 3, s[2:3]
	global_load_dwordx2 v[10:11], v[10:11], off
	s_waitcnt vmcnt(0)
	global_store_dwordx2 v[4:5], v[10:11], off
	v_lshl_add_u64 v[4:5], v[4:5], 0, 64
	s_andn2_b64 exec, exec, s[0:1]
	s_cbranch_execnz .LBB127_3
.LBB127_4:
	s_endpgm
	.section	.rodata,"a",@progbits
	.p2align	6, 0x0
	.amdhsa_kernel _ZN9rocsparseL23sddmm_csx_sample_kernelILi512ELi8EL20rocsparse_direction_1E21rocsparse_complex_numIfEliS3_EEvT4_S4_T3_PKT5_S4_PS6_PKS5_PKS4_21rocsparse_index_base_
		.amdhsa_group_segment_fixed_size 0
		.amdhsa_private_segment_fixed_size 0
		.amdhsa_kernarg_size 60
		.amdhsa_user_sgpr_count 2
		.amdhsa_user_sgpr_dispatch_ptr 0
		.amdhsa_user_sgpr_queue_ptr 0
		.amdhsa_user_sgpr_kernarg_segment_ptr 1
		.amdhsa_user_sgpr_dispatch_id 0
		.amdhsa_user_sgpr_kernarg_preload_length 0
		.amdhsa_user_sgpr_kernarg_preload_offset 0
		.amdhsa_user_sgpr_private_segment_size 0
		.amdhsa_uses_dynamic_stack 0
		.amdhsa_enable_private_segment 0
		.amdhsa_system_sgpr_workgroup_id_x 1
		.amdhsa_system_sgpr_workgroup_id_y 0
		.amdhsa_system_sgpr_workgroup_id_z 0
		.amdhsa_system_sgpr_workgroup_info 0
		.amdhsa_system_vgpr_workitem_id 0
		.amdhsa_next_free_vgpr 12
		.amdhsa_next_free_sgpr 10
		.amdhsa_accum_offset 12
		.amdhsa_reserve_vcc 1
		.amdhsa_float_round_mode_32 0
		.amdhsa_float_round_mode_16_64 0
		.amdhsa_float_denorm_mode_32 3
		.amdhsa_float_denorm_mode_16_64 3
		.amdhsa_dx10_clamp 1
		.amdhsa_ieee_mode 1
		.amdhsa_fp16_overflow 0
		.amdhsa_tg_split 0
		.amdhsa_exception_fp_ieee_invalid_op 0
		.amdhsa_exception_fp_denorm_src 0
		.amdhsa_exception_fp_ieee_div_zero 0
		.amdhsa_exception_fp_ieee_overflow 0
		.amdhsa_exception_fp_ieee_underflow 0
		.amdhsa_exception_fp_ieee_inexact 0
		.amdhsa_exception_int_div_zero 0
	.end_amdhsa_kernel
	.section	.text._ZN9rocsparseL23sddmm_csx_sample_kernelILi512ELi8EL20rocsparse_direction_1E21rocsparse_complex_numIfEliS3_EEvT4_S4_T3_PKT5_S4_PS6_PKS5_PKS4_21rocsparse_index_base_,"axG",@progbits,_ZN9rocsparseL23sddmm_csx_sample_kernelILi512ELi8EL20rocsparse_direction_1E21rocsparse_complex_numIfEliS3_EEvT4_S4_T3_PKT5_S4_PS6_PKS5_PKS4_21rocsparse_index_base_,comdat
.Lfunc_end127:
	.size	_ZN9rocsparseL23sddmm_csx_sample_kernelILi512ELi8EL20rocsparse_direction_1E21rocsparse_complex_numIfEliS3_EEvT4_S4_T3_PKT5_S4_PS6_PKS5_PKS4_21rocsparse_index_base_, .Lfunc_end127-_ZN9rocsparseL23sddmm_csx_sample_kernelILi512ELi8EL20rocsparse_direction_1E21rocsparse_complex_numIfEliS3_EEvT4_S4_T3_PKT5_S4_PS6_PKS5_PKS4_21rocsparse_index_base_
                                        ; -- End function
	.set _ZN9rocsparseL23sddmm_csx_sample_kernelILi512ELi8EL20rocsparse_direction_1E21rocsparse_complex_numIfEliS3_EEvT4_S4_T3_PKT5_S4_PS6_PKS5_PKS4_21rocsparse_index_base_.num_vgpr, 12
	.set _ZN9rocsparseL23sddmm_csx_sample_kernelILi512ELi8EL20rocsparse_direction_1E21rocsparse_complex_numIfEliS3_EEvT4_S4_T3_PKT5_S4_PS6_PKS5_PKS4_21rocsparse_index_base_.num_agpr, 0
	.set _ZN9rocsparseL23sddmm_csx_sample_kernelILi512ELi8EL20rocsparse_direction_1E21rocsparse_complex_numIfEliS3_EEvT4_S4_T3_PKT5_S4_PS6_PKS5_PKS4_21rocsparse_index_base_.numbered_sgpr, 10
	.set _ZN9rocsparseL23sddmm_csx_sample_kernelILi512ELi8EL20rocsparse_direction_1E21rocsparse_complex_numIfEliS3_EEvT4_S4_T3_PKT5_S4_PS6_PKS5_PKS4_21rocsparse_index_base_.num_named_barrier, 0
	.set _ZN9rocsparseL23sddmm_csx_sample_kernelILi512ELi8EL20rocsparse_direction_1E21rocsparse_complex_numIfEliS3_EEvT4_S4_T3_PKT5_S4_PS6_PKS5_PKS4_21rocsparse_index_base_.private_seg_size, 0
	.set _ZN9rocsparseL23sddmm_csx_sample_kernelILi512ELi8EL20rocsparse_direction_1E21rocsparse_complex_numIfEliS3_EEvT4_S4_T3_PKT5_S4_PS6_PKS5_PKS4_21rocsparse_index_base_.uses_vcc, 1
	.set _ZN9rocsparseL23sddmm_csx_sample_kernelILi512ELi8EL20rocsparse_direction_1E21rocsparse_complex_numIfEliS3_EEvT4_S4_T3_PKT5_S4_PS6_PKS5_PKS4_21rocsparse_index_base_.uses_flat_scratch, 0
	.set _ZN9rocsparseL23sddmm_csx_sample_kernelILi512ELi8EL20rocsparse_direction_1E21rocsparse_complex_numIfEliS3_EEvT4_S4_T3_PKT5_S4_PS6_PKS5_PKS4_21rocsparse_index_base_.has_dyn_sized_stack, 0
	.set _ZN9rocsparseL23sddmm_csx_sample_kernelILi512ELi8EL20rocsparse_direction_1E21rocsparse_complex_numIfEliS3_EEvT4_S4_T3_PKT5_S4_PS6_PKS5_PKS4_21rocsparse_index_base_.has_recursion, 0
	.set _ZN9rocsparseL23sddmm_csx_sample_kernelILi512ELi8EL20rocsparse_direction_1E21rocsparse_complex_numIfEliS3_EEvT4_S4_T3_PKT5_S4_PS6_PKS5_PKS4_21rocsparse_index_base_.has_indirect_call, 0
	.section	.AMDGPU.csdata,"",@progbits
; Kernel info:
; codeLenInByte = 292
; TotalNumSgprs: 16
; NumVgprs: 12
; NumAgprs: 0
; TotalNumVgprs: 12
; ScratchSize: 0
; MemoryBound: 0
; FloatMode: 240
; IeeeMode: 1
; LDSByteSize: 0 bytes/workgroup (compile time only)
; SGPRBlocks: 1
; VGPRBlocks: 1
; NumSGPRsForWavesPerEU: 16
; NumVGPRsForWavesPerEU: 12
; AccumOffset: 12
; Occupancy: 8
; WaveLimiterHint : 1
; COMPUTE_PGM_RSRC2:SCRATCH_EN: 0
; COMPUTE_PGM_RSRC2:USER_SGPR: 2
; COMPUTE_PGM_RSRC2:TRAP_HANDLER: 0
; COMPUTE_PGM_RSRC2:TGID_X_EN: 1
; COMPUTE_PGM_RSRC2:TGID_Y_EN: 0
; COMPUTE_PGM_RSRC2:TGID_Z_EN: 0
; COMPUTE_PGM_RSRC2:TIDIG_COMP_CNT: 0
; COMPUTE_PGM_RSRC3_GFX90A:ACCUM_OFFSET: 2
; COMPUTE_PGM_RSRC3_GFX90A:TG_SPLIT: 0
	.section	.text._ZN9rocsparseL23sddmm_csx_sample_kernelILi512ELi4EL20rocsparse_direction_1E21rocsparse_complex_numIfEliS3_EEvT4_S4_T3_PKT5_S4_PS6_PKS5_PKS4_21rocsparse_index_base_,"axG",@progbits,_ZN9rocsparseL23sddmm_csx_sample_kernelILi512ELi4EL20rocsparse_direction_1E21rocsparse_complex_numIfEliS3_EEvT4_S4_T3_PKT5_S4_PS6_PKS5_PKS4_21rocsparse_index_base_,comdat
	.globl	_ZN9rocsparseL23sddmm_csx_sample_kernelILi512ELi4EL20rocsparse_direction_1E21rocsparse_complex_numIfEliS3_EEvT4_S4_T3_PKT5_S4_PS6_PKS5_PKS4_21rocsparse_index_base_ ; -- Begin function _ZN9rocsparseL23sddmm_csx_sample_kernelILi512ELi4EL20rocsparse_direction_1E21rocsparse_complex_numIfEliS3_EEvT4_S4_T3_PKT5_S4_PS6_PKS5_PKS4_21rocsparse_index_base_
	.p2align	8
	.type	_ZN9rocsparseL23sddmm_csx_sample_kernelILi512ELi4EL20rocsparse_direction_1E21rocsparse_complex_numIfEliS3_EEvT4_S4_T3_PKT5_S4_PS6_PKS5_PKS4_21rocsparse_index_base_,@function
_ZN9rocsparseL23sddmm_csx_sample_kernelILi512ELi4EL20rocsparse_direction_1E21rocsparse_complex_numIfEliS3_EEvT4_S4_T3_PKT5_S4_PS6_PKS5_PKS4_21rocsparse_index_base_: ; @_ZN9rocsparseL23sddmm_csx_sample_kernelILi512ELi4EL20rocsparse_direction_1E21rocsparse_complex_numIfEliS3_EEvT4_S4_T3_PKT5_S4_PS6_PKS5_PKS4_21rocsparse_index_base_
; %bb.0:
	s_load_dword s3, s[0:1], 0x4
	v_lshrrev_b32_e32 v1, 2, v0
	v_lshl_or_b32 v4, s2, 7, v1
	s_waitcnt lgkmcnt(0)
	v_cmp_gt_u32_e32 vcc, s3, v4
	s_and_saveexec_b64 s[2:3], vcc
	s_cbranch_execz .LBB128_4
; %bb.1:
	s_load_dwordx2 s[2:3], s[0:1], 0x28
	s_load_dword s4, s[0:1], 0x38
	v_mov_b32_e32 v5, 0
	v_and_b32_e32 v0, 3, v0
	s_waitcnt lgkmcnt(0)
	v_lshl_add_u64 v[2:3], v[4:5], 3, s[2:3]
	global_load_dwordx4 v[6:9], v[2:3], off
	v_subrev_co_u32_e32 v0, vcc, s4, v0
	s_nop 1
	v_subb_co_u32_e64 v1, s[2:3], 0, 0, vcc
	s_waitcnt vmcnt(0)
	v_subrev_co_u32_e32 v2, vcc, s4, v8
	v_lshl_add_u64 v[0:1], v[0:1], 0, v[6:7]
	s_nop 0
	v_subbrev_co_u32_e32 v3, vcc, 0, v9, vcc
	v_cmp_lt_i64_e32 vcc, v[0:1], v[2:3]
	s_and_b64 exec, exec, vcc
	s_cbranch_execz .LBB128_4
; %bb.2:
	s_load_dwordx2 s[6:7], s[0:1], 0x30
	s_load_dword s5, s[0:1], 0x18
	s_load_dwordx2 s[8:9], s[0:1], 0x20
	s_load_dwordx2 s[2:3], s[0:1], 0x10
	s_mov_b64 s[0:1], 0
	s_waitcnt lgkmcnt(0)
	v_mul_lo_u32 v6, s5, v4
	v_lshl_add_u64 v[4:5], v[0:1], 3, s[8:9]
	v_subrev_u32_e32 v8, s4, v6
	v_lshl_add_u64 v[6:7], v[0:1], 2, s[6:7]
.LBB128_3:                              ; =>This Inner Loop Header: Depth=1
	global_load_dword v9, v[6:7], off
	v_lshl_add_u64 v[0:1], v[0:1], 0, 4
	v_cmp_ge_i64_e32 vcc, v[0:1], v[2:3]
	v_lshl_add_u64 v[6:7], v[6:7], 0, 16
	s_or_b64 s[0:1], vcc, s[0:1]
	s_waitcnt vmcnt(0)
	v_add_u32_e32 v10, v8, v9
	v_ashrrev_i32_e32 v11, 31, v10
	v_lshl_add_u64 v[10:11], v[10:11], 3, s[2:3]
	global_load_dwordx2 v[10:11], v[10:11], off
	s_waitcnt vmcnt(0)
	global_store_dwordx2 v[4:5], v[10:11], off
	v_lshl_add_u64 v[4:5], v[4:5], 0, 32
	s_andn2_b64 exec, exec, s[0:1]
	s_cbranch_execnz .LBB128_3
.LBB128_4:
	s_endpgm
	.section	.rodata,"a",@progbits
	.p2align	6, 0x0
	.amdhsa_kernel _ZN9rocsparseL23sddmm_csx_sample_kernelILi512ELi4EL20rocsparse_direction_1E21rocsparse_complex_numIfEliS3_EEvT4_S4_T3_PKT5_S4_PS6_PKS5_PKS4_21rocsparse_index_base_
		.amdhsa_group_segment_fixed_size 0
		.amdhsa_private_segment_fixed_size 0
		.amdhsa_kernarg_size 60
		.amdhsa_user_sgpr_count 2
		.amdhsa_user_sgpr_dispatch_ptr 0
		.amdhsa_user_sgpr_queue_ptr 0
		.amdhsa_user_sgpr_kernarg_segment_ptr 1
		.amdhsa_user_sgpr_dispatch_id 0
		.amdhsa_user_sgpr_kernarg_preload_length 0
		.amdhsa_user_sgpr_kernarg_preload_offset 0
		.amdhsa_user_sgpr_private_segment_size 0
		.amdhsa_uses_dynamic_stack 0
		.amdhsa_enable_private_segment 0
		.amdhsa_system_sgpr_workgroup_id_x 1
		.amdhsa_system_sgpr_workgroup_id_y 0
		.amdhsa_system_sgpr_workgroup_id_z 0
		.amdhsa_system_sgpr_workgroup_info 0
		.amdhsa_system_vgpr_workitem_id 0
		.amdhsa_next_free_vgpr 12
		.amdhsa_next_free_sgpr 10
		.amdhsa_accum_offset 12
		.amdhsa_reserve_vcc 1
		.amdhsa_float_round_mode_32 0
		.amdhsa_float_round_mode_16_64 0
		.amdhsa_float_denorm_mode_32 3
		.amdhsa_float_denorm_mode_16_64 3
		.amdhsa_dx10_clamp 1
		.amdhsa_ieee_mode 1
		.amdhsa_fp16_overflow 0
		.amdhsa_tg_split 0
		.amdhsa_exception_fp_ieee_invalid_op 0
		.amdhsa_exception_fp_denorm_src 0
		.amdhsa_exception_fp_ieee_div_zero 0
		.amdhsa_exception_fp_ieee_overflow 0
		.amdhsa_exception_fp_ieee_underflow 0
		.amdhsa_exception_fp_ieee_inexact 0
		.amdhsa_exception_int_div_zero 0
	.end_amdhsa_kernel
	.section	.text._ZN9rocsparseL23sddmm_csx_sample_kernelILi512ELi4EL20rocsparse_direction_1E21rocsparse_complex_numIfEliS3_EEvT4_S4_T3_PKT5_S4_PS6_PKS5_PKS4_21rocsparse_index_base_,"axG",@progbits,_ZN9rocsparseL23sddmm_csx_sample_kernelILi512ELi4EL20rocsparse_direction_1E21rocsparse_complex_numIfEliS3_EEvT4_S4_T3_PKT5_S4_PS6_PKS5_PKS4_21rocsparse_index_base_,comdat
.Lfunc_end128:
	.size	_ZN9rocsparseL23sddmm_csx_sample_kernelILi512ELi4EL20rocsparse_direction_1E21rocsparse_complex_numIfEliS3_EEvT4_S4_T3_PKT5_S4_PS6_PKS5_PKS4_21rocsparse_index_base_, .Lfunc_end128-_ZN9rocsparseL23sddmm_csx_sample_kernelILi512ELi4EL20rocsparse_direction_1E21rocsparse_complex_numIfEliS3_EEvT4_S4_T3_PKT5_S4_PS6_PKS5_PKS4_21rocsparse_index_base_
                                        ; -- End function
	.set _ZN9rocsparseL23sddmm_csx_sample_kernelILi512ELi4EL20rocsparse_direction_1E21rocsparse_complex_numIfEliS3_EEvT4_S4_T3_PKT5_S4_PS6_PKS5_PKS4_21rocsparse_index_base_.num_vgpr, 12
	.set _ZN9rocsparseL23sddmm_csx_sample_kernelILi512ELi4EL20rocsparse_direction_1E21rocsparse_complex_numIfEliS3_EEvT4_S4_T3_PKT5_S4_PS6_PKS5_PKS4_21rocsparse_index_base_.num_agpr, 0
	.set _ZN9rocsparseL23sddmm_csx_sample_kernelILi512ELi4EL20rocsparse_direction_1E21rocsparse_complex_numIfEliS3_EEvT4_S4_T3_PKT5_S4_PS6_PKS5_PKS4_21rocsparse_index_base_.numbered_sgpr, 10
	.set _ZN9rocsparseL23sddmm_csx_sample_kernelILi512ELi4EL20rocsparse_direction_1E21rocsparse_complex_numIfEliS3_EEvT4_S4_T3_PKT5_S4_PS6_PKS5_PKS4_21rocsparse_index_base_.num_named_barrier, 0
	.set _ZN9rocsparseL23sddmm_csx_sample_kernelILi512ELi4EL20rocsparse_direction_1E21rocsparse_complex_numIfEliS3_EEvT4_S4_T3_PKT5_S4_PS6_PKS5_PKS4_21rocsparse_index_base_.private_seg_size, 0
	.set _ZN9rocsparseL23sddmm_csx_sample_kernelILi512ELi4EL20rocsparse_direction_1E21rocsparse_complex_numIfEliS3_EEvT4_S4_T3_PKT5_S4_PS6_PKS5_PKS4_21rocsparse_index_base_.uses_vcc, 1
	.set _ZN9rocsparseL23sddmm_csx_sample_kernelILi512ELi4EL20rocsparse_direction_1E21rocsparse_complex_numIfEliS3_EEvT4_S4_T3_PKT5_S4_PS6_PKS5_PKS4_21rocsparse_index_base_.uses_flat_scratch, 0
	.set _ZN9rocsparseL23sddmm_csx_sample_kernelILi512ELi4EL20rocsparse_direction_1E21rocsparse_complex_numIfEliS3_EEvT4_S4_T3_PKT5_S4_PS6_PKS5_PKS4_21rocsparse_index_base_.has_dyn_sized_stack, 0
	.set _ZN9rocsparseL23sddmm_csx_sample_kernelILi512ELi4EL20rocsparse_direction_1E21rocsparse_complex_numIfEliS3_EEvT4_S4_T3_PKT5_S4_PS6_PKS5_PKS4_21rocsparse_index_base_.has_recursion, 0
	.set _ZN9rocsparseL23sddmm_csx_sample_kernelILi512ELi4EL20rocsparse_direction_1E21rocsparse_complex_numIfEliS3_EEvT4_S4_T3_PKT5_S4_PS6_PKS5_PKS4_21rocsparse_index_base_.has_indirect_call, 0
	.section	.AMDGPU.csdata,"",@progbits
; Kernel info:
; codeLenInByte = 292
; TotalNumSgprs: 16
; NumVgprs: 12
; NumAgprs: 0
; TotalNumVgprs: 12
; ScratchSize: 0
; MemoryBound: 0
; FloatMode: 240
; IeeeMode: 1
; LDSByteSize: 0 bytes/workgroup (compile time only)
; SGPRBlocks: 1
; VGPRBlocks: 1
; NumSGPRsForWavesPerEU: 16
; NumVGPRsForWavesPerEU: 12
; AccumOffset: 12
; Occupancy: 8
; WaveLimiterHint : 1
; COMPUTE_PGM_RSRC2:SCRATCH_EN: 0
; COMPUTE_PGM_RSRC2:USER_SGPR: 2
; COMPUTE_PGM_RSRC2:TRAP_HANDLER: 0
; COMPUTE_PGM_RSRC2:TGID_X_EN: 1
; COMPUTE_PGM_RSRC2:TGID_Y_EN: 0
; COMPUTE_PGM_RSRC2:TGID_Z_EN: 0
; COMPUTE_PGM_RSRC2:TIDIG_COMP_CNT: 0
; COMPUTE_PGM_RSRC3_GFX90A:ACCUM_OFFSET: 2
; COMPUTE_PGM_RSRC3_GFX90A:TG_SPLIT: 0
	.section	.text._ZN9rocsparseL23sddmm_csx_sample_kernelILi512ELi2EL20rocsparse_direction_1E21rocsparse_complex_numIfEliS3_EEvT4_S4_T3_PKT5_S4_PS6_PKS5_PKS4_21rocsparse_index_base_,"axG",@progbits,_ZN9rocsparseL23sddmm_csx_sample_kernelILi512ELi2EL20rocsparse_direction_1E21rocsparse_complex_numIfEliS3_EEvT4_S4_T3_PKT5_S4_PS6_PKS5_PKS4_21rocsparse_index_base_,comdat
	.globl	_ZN9rocsparseL23sddmm_csx_sample_kernelILi512ELi2EL20rocsparse_direction_1E21rocsparse_complex_numIfEliS3_EEvT4_S4_T3_PKT5_S4_PS6_PKS5_PKS4_21rocsparse_index_base_ ; -- Begin function _ZN9rocsparseL23sddmm_csx_sample_kernelILi512ELi2EL20rocsparse_direction_1E21rocsparse_complex_numIfEliS3_EEvT4_S4_T3_PKT5_S4_PS6_PKS5_PKS4_21rocsparse_index_base_
	.p2align	8
	.type	_ZN9rocsparseL23sddmm_csx_sample_kernelILi512ELi2EL20rocsparse_direction_1E21rocsparse_complex_numIfEliS3_EEvT4_S4_T3_PKT5_S4_PS6_PKS5_PKS4_21rocsparse_index_base_,@function
_ZN9rocsparseL23sddmm_csx_sample_kernelILi512ELi2EL20rocsparse_direction_1E21rocsparse_complex_numIfEliS3_EEvT4_S4_T3_PKT5_S4_PS6_PKS5_PKS4_21rocsparse_index_base_: ; @_ZN9rocsparseL23sddmm_csx_sample_kernelILi512ELi2EL20rocsparse_direction_1E21rocsparse_complex_numIfEliS3_EEvT4_S4_T3_PKT5_S4_PS6_PKS5_PKS4_21rocsparse_index_base_
; %bb.0:
	s_load_dword s3, s[0:1], 0x4
	v_lshrrev_b32_e32 v1, 1, v0
	v_lshl_or_b32 v4, s2, 8, v1
	s_waitcnt lgkmcnt(0)
	v_cmp_gt_u32_e32 vcc, s3, v4
	s_and_saveexec_b64 s[2:3], vcc
	s_cbranch_execz .LBB129_4
; %bb.1:
	s_load_dwordx2 s[2:3], s[0:1], 0x28
	s_load_dword s4, s[0:1], 0x38
	v_mov_b32_e32 v5, 0
	v_and_b32_e32 v0, 1, v0
	s_waitcnt lgkmcnt(0)
	v_lshl_add_u64 v[2:3], v[4:5], 3, s[2:3]
	global_load_dwordx4 v[6:9], v[2:3], off
	v_subrev_co_u32_e32 v0, vcc, s4, v0
	s_nop 1
	v_subb_co_u32_e64 v1, s[2:3], 0, 0, vcc
	s_waitcnt vmcnt(0)
	v_subrev_co_u32_e32 v2, vcc, s4, v8
	v_lshl_add_u64 v[0:1], v[0:1], 0, v[6:7]
	s_nop 0
	v_subbrev_co_u32_e32 v3, vcc, 0, v9, vcc
	v_cmp_lt_i64_e32 vcc, v[0:1], v[2:3]
	s_and_b64 exec, exec, vcc
	s_cbranch_execz .LBB129_4
; %bb.2:
	s_load_dwordx2 s[6:7], s[0:1], 0x30
	s_load_dword s5, s[0:1], 0x18
	s_load_dwordx2 s[8:9], s[0:1], 0x20
	s_load_dwordx2 s[2:3], s[0:1], 0x10
	s_mov_b64 s[0:1], 0
	s_waitcnt lgkmcnt(0)
	v_mul_lo_u32 v6, s5, v4
	v_lshl_add_u64 v[4:5], v[0:1], 3, s[8:9]
	v_subrev_u32_e32 v8, s4, v6
	v_lshl_add_u64 v[6:7], v[0:1], 2, s[6:7]
.LBB129_3:                              ; =>This Inner Loop Header: Depth=1
	global_load_dword v9, v[6:7], off
	v_lshl_add_u64 v[0:1], v[0:1], 0, 2
	v_cmp_ge_i64_e32 vcc, v[0:1], v[2:3]
	v_lshl_add_u64 v[6:7], v[6:7], 0, 8
	s_or_b64 s[0:1], vcc, s[0:1]
	s_waitcnt vmcnt(0)
	v_add_u32_e32 v10, v8, v9
	v_ashrrev_i32_e32 v11, 31, v10
	v_lshl_add_u64 v[10:11], v[10:11], 3, s[2:3]
	global_load_dwordx2 v[10:11], v[10:11], off
	s_waitcnt vmcnt(0)
	global_store_dwordx2 v[4:5], v[10:11], off
	v_lshl_add_u64 v[4:5], v[4:5], 0, 16
	s_andn2_b64 exec, exec, s[0:1]
	s_cbranch_execnz .LBB129_3
.LBB129_4:
	s_endpgm
	.section	.rodata,"a",@progbits
	.p2align	6, 0x0
	.amdhsa_kernel _ZN9rocsparseL23sddmm_csx_sample_kernelILi512ELi2EL20rocsparse_direction_1E21rocsparse_complex_numIfEliS3_EEvT4_S4_T3_PKT5_S4_PS6_PKS5_PKS4_21rocsparse_index_base_
		.amdhsa_group_segment_fixed_size 0
		.amdhsa_private_segment_fixed_size 0
		.amdhsa_kernarg_size 60
		.amdhsa_user_sgpr_count 2
		.amdhsa_user_sgpr_dispatch_ptr 0
		.amdhsa_user_sgpr_queue_ptr 0
		.amdhsa_user_sgpr_kernarg_segment_ptr 1
		.amdhsa_user_sgpr_dispatch_id 0
		.amdhsa_user_sgpr_kernarg_preload_length 0
		.amdhsa_user_sgpr_kernarg_preload_offset 0
		.amdhsa_user_sgpr_private_segment_size 0
		.amdhsa_uses_dynamic_stack 0
		.amdhsa_enable_private_segment 0
		.amdhsa_system_sgpr_workgroup_id_x 1
		.amdhsa_system_sgpr_workgroup_id_y 0
		.amdhsa_system_sgpr_workgroup_id_z 0
		.amdhsa_system_sgpr_workgroup_info 0
		.amdhsa_system_vgpr_workitem_id 0
		.amdhsa_next_free_vgpr 12
		.amdhsa_next_free_sgpr 10
		.amdhsa_accum_offset 12
		.amdhsa_reserve_vcc 1
		.amdhsa_float_round_mode_32 0
		.amdhsa_float_round_mode_16_64 0
		.amdhsa_float_denorm_mode_32 3
		.amdhsa_float_denorm_mode_16_64 3
		.amdhsa_dx10_clamp 1
		.amdhsa_ieee_mode 1
		.amdhsa_fp16_overflow 0
		.amdhsa_tg_split 0
		.amdhsa_exception_fp_ieee_invalid_op 0
		.amdhsa_exception_fp_denorm_src 0
		.amdhsa_exception_fp_ieee_div_zero 0
		.amdhsa_exception_fp_ieee_overflow 0
		.amdhsa_exception_fp_ieee_underflow 0
		.amdhsa_exception_fp_ieee_inexact 0
		.amdhsa_exception_int_div_zero 0
	.end_amdhsa_kernel
	.section	.text._ZN9rocsparseL23sddmm_csx_sample_kernelILi512ELi2EL20rocsparse_direction_1E21rocsparse_complex_numIfEliS3_EEvT4_S4_T3_PKT5_S4_PS6_PKS5_PKS4_21rocsparse_index_base_,"axG",@progbits,_ZN9rocsparseL23sddmm_csx_sample_kernelILi512ELi2EL20rocsparse_direction_1E21rocsparse_complex_numIfEliS3_EEvT4_S4_T3_PKT5_S4_PS6_PKS5_PKS4_21rocsparse_index_base_,comdat
.Lfunc_end129:
	.size	_ZN9rocsparseL23sddmm_csx_sample_kernelILi512ELi2EL20rocsparse_direction_1E21rocsparse_complex_numIfEliS3_EEvT4_S4_T3_PKT5_S4_PS6_PKS5_PKS4_21rocsparse_index_base_, .Lfunc_end129-_ZN9rocsparseL23sddmm_csx_sample_kernelILi512ELi2EL20rocsparse_direction_1E21rocsparse_complex_numIfEliS3_EEvT4_S4_T3_PKT5_S4_PS6_PKS5_PKS4_21rocsparse_index_base_
                                        ; -- End function
	.set _ZN9rocsparseL23sddmm_csx_sample_kernelILi512ELi2EL20rocsparse_direction_1E21rocsparse_complex_numIfEliS3_EEvT4_S4_T3_PKT5_S4_PS6_PKS5_PKS4_21rocsparse_index_base_.num_vgpr, 12
	.set _ZN9rocsparseL23sddmm_csx_sample_kernelILi512ELi2EL20rocsparse_direction_1E21rocsparse_complex_numIfEliS3_EEvT4_S4_T3_PKT5_S4_PS6_PKS5_PKS4_21rocsparse_index_base_.num_agpr, 0
	.set _ZN9rocsparseL23sddmm_csx_sample_kernelILi512ELi2EL20rocsparse_direction_1E21rocsparse_complex_numIfEliS3_EEvT4_S4_T3_PKT5_S4_PS6_PKS5_PKS4_21rocsparse_index_base_.numbered_sgpr, 10
	.set _ZN9rocsparseL23sddmm_csx_sample_kernelILi512ELi2EL20rocsparse_direction_1E21rocsparse_complex_numIfEliS3_EEvT4_S4_T3_PKT5_S4_PS6_PKS5_PKS4_21rocsparse_index_base_.num_named_barrier, 0
	.set _ZN9rocsparseL23sddmm_csx_sample_kernelILi512ELi2EL20rocsparse_direction_1E21rocsparse_complex_numIfEliS3_EEvT4_S4_T3_PKT5_S4_PS6_PKS5_PKS4_21rocsparse_index_base_.private_seg_size, 0
	.set _ZN9rocsparseL23sddmm_csx_sample_kernelILi512ELi2EL20rocsparse_direction_1E21rocsparse_complex_numIfEliS3_EEvT4_S4_T3_PKT5_S4_PS6_PKS5_PKS4_21rocsparse_index_base_.uses_vcc, 1
	.set _ZN9rocsparseL23sddmm_csx_sample_kernelILi512ELi2EL20rocsparse_direction_1E21rocsparse_complex_numIfEliS3_EEvT4_S4_T3_PKT5_S4_PS6_PKS5_PKS4_21rocsparse_index_base_.uses_flat_scratch, 0
	.set _ZN9rocsparseL23sddmm_csx_sample_kernelILi512ELi2EL20rocsparse_direction_1E21rocsparse_complex_numIfEliS3_EEvT4_S4_T3_PKT5_S4_PS6_PKS5_PKS4_21rocsparse_index_base_.has_dyn_sized_stack, 0
	.set _ZN9rocsparseL23sddmm_csx_sample_kernelILi512ELi2EL20rocsparse_direction_1E21rocsparse_complex_numIfEliS3_EEvT4_S4_T3_PKT5_S4_PS6_PKS5_PKS4_21rocsparse_index_base_.has_recursion, 0
	.set _ZN9rocsparseL23sddmm_csx_sample_kernelILi512ELi2EL20rocsparse_direction_1E21rocsparse_complex_numIfEliS3_EEvT4_S4_T3_PKT5_S4_PS6_PKS5_PKS4_21rocsparse_index_base_.has_indirect_call, 0
	.section	.AMDGPU.csdata,"",@progbits
; Kernel info:
; codeLenInByte = 292
; TotalNumSgprs: 16
; NumVgprs: 12
; NumAgprs: 0
; TotalNumVgprs: 12
; ScratchSize: 0
; MemoryBound: 0
; FloatMode: 240
; IeeeMode: 1
; LDSByteSize: 0 bytes/workgroup (compile time only)
; SGPRBlocks: 1
; VGPRBlocks: 1
; NumSGPRsForWavesPerEU: 16
; NumVGPRsForWavesPerEU: 12
; AccumOffset: 12
; Occupancy: 8
; WaveLimiterHint : 1
; COMPUTE_PGM_RSRC2:SCRATCH_EN: 0
; COMPUTE_PGM_RSRC2:USER_SGPR: 2
; COMPUTE_PGM_RSRC2:TRAP_HANDLER: 0
; COMPUTE_PGM_RSRC2:TGID_X_EN: 1
; COMPUTE_PGM_RSRC2:TGID_Y_EN: 0
; COMPUTE_PGM_RSRC2:TGID_Z_EN: 0
; COMPUTE_PGM_RSRC2:TIDIG_COMP_CNT: 0
; COMPUTE_PGM_RSRC3_GFX90A:ACCUM_OFFSET: 2
; COMPUTE_PGM_RSRC3_GFX90A:TG_SPLIT: 0
	.section	.text._ZN9rocsparseL23sddmm_csx_sample_kernelILi512ELi1EL20rocsparse_direction_1E21rocsparse_complex_numIfEliS3_EEvT4_S4_T3_PKT5_S4_PS6_PKS5_PKS4_21rocsparse_index_base_,"axG",@progbits,_ZN9rocsparseL23sddmm_csx_sample_kernelILi512ELi1EL20rocsparse_direction_1E21rocsparse_complex_numIfEliS3_EEvT4_S4_T3_PKT5_S4_PS6_PKS5_PKS4_21rocsparse_index_base_,comdat
	.globl	_ZN9rocsparseL23sddmm_csx_sample_kernelILi512ELi1EL20rocsparse_direction_1E21rocsparse_complex_numIfEliS3_EEvT4_S4_T3_PKT5_S4_PS6_PKS5_PKS4_21rocsparse_index_base_ ; -- Begin function _ZN9rocsparseL23sddmm_csx_sample_kernelILi512ELi1EL20rocsparse_direction_1E21rocsparse_complex_numIfEliS3_EEvT4_S4_T3_PKT5_S4_PS6_PKS5_PKS4_21rocsparse_index_base_
	.p2align	8
	.type	_ZN9rocsparseL23sddmm_csx_sample_kernelILi512ELi1EL20rocsparse_direction_1E21rocsparse_complex_numIfEliS3_EEvT4_S4_T3_PKT5_S4_PS6_PKS5_PKS4_21rocsparse_index_base_,@function
_ZN9rocsparseL23sddmm_csx_sample_kernelILi512ELi1EL20rocsparse_direction_1E21rocsparse_complex_numIfEliS3_EEvT4_S4_T3_PKT5_S4_PS6_PKS5_PKS4_21rocsparse_index_base_: ; @_ZN9rocsparseL23sddmm_csx_sample_kernelILi512ELi1EL20rocsparse_direction_1E21rocsparse_complex_numIfEliS3_EEvT4_S4_T3_PKT5_S4_PS6_PKS5_PKS4_21rocsparse_index_base_
; %bb.0:
	s_load_dword s3, s[0:1], 0x4
	v_lshl_or_b32 v6, s2, 9, v0
	s_waitcnt lgkmcnt(0)
	v_cmp_gt_u32_e32 vcc, s3, v6
	s_and_saveexec_b64 s[2:3], vcc
	s_cbranch_execz .LBB130_4
; %bb.1:
	s_load_dwordx2 s[2:3], s[0:1], 0x28
	v_mov_b32_e32 v7, 0
	s_waitcnt lgkmcnt(0)
	v_lshl_add_u64 v[0:1], v[6:7], 3, s[2:3]
	global_load_dwordx4 v[0:3], v[0:1], off
	s_waitcnt vmcnt(0)
	v_cmp_lt_i64_e32 vcc, v[0:1], v[2:3]
	s_and_b64 exec, exec, vcc
	s_cbranch_execz .LBB130_4
; %bb.2:
	s_load_dword s4, s[0:1], 0x38
	s_load_dwordx2 s[2:3], s[0:1], 0x10
	s_load_dwordx2 s[6:7], s[0:1], 0x20
	;; [unrolled: 1-line block ×3, first 2 shown]
	s_load_dword s10, s[0:1], 0x18
	s_waitcnt lgkmcnt(0)
	v_subrev_co_u32_e32 v2, vcc, s4, v2
	s_mov_b32 s5, 0
	s_nop 0
	v_subbrev_co_u32_e32 v3, vcc, 0, v3, vcc
	v_subrev_co_u32_e32 v4, vcc, s4, v0
	v_mul_lo_u32 v6, s10, v6
	s_nop 0
	v_subbrev_co_u32_e32 v5, vcc, 0, v1, vcc
	v_subrev_u32_e32 v8, s4, v6
	v_lshlrev_b64 v[6:7], 3, v[0:1]
	s_lshl_b64 s[0:1], s[4:5], 3
	v_mov_b32_e32 v9, s1
	v_subrev_co_u32_e32 v6, vcc, s0, v6
	v_lshlrev_b64 v[0:1], 2, v[0:1]
	s_nop 0
	v_subb_co_u32_e32 v7, vcc, v7, v9, vcc
	s_lshl_b64 s[0:1], s[4:5], 2
	v_mov_b32_e32 v9, s1
	v_subrev_co_u32_e32 v0, vcc, s0, v0
	v_lshl_add_u64 v[6:7], s[6:7], 0, v[6:7]
	s_nop 0
	v_subb_co_u32_e32 v1, vcc, v1, v9, vcc
	v_lshl_add_u64 v[0:1], s[8:9], 0, v[0:1]
	s_mov_b64 s[0:1], 0
.LBB130_3:                              ; =>This Inner Loop Header: Depth=1
	global_load_dword v9, v[0:1], off
	v_lshl_add_u64 v[4:5], v[4:5], 0, 1
	v_cmp_ge_i64_e32 vcc, v[4:5], v[2:3]
	v_lshl_add_u64 v[0:1], v[0:1], 0, 4
	s_or_b64 s[0:1], vcc, s[0:1]
	s_waitcnt vmcnt(0)
	v_add_u32_e32 v10, v8, v9
	v_ashrrev_i32_e32 v11, 31, v10
	v_lshl_add_u64 v[10:11], v[10:11], 3, s[2:3]
	global_load_dwordx2 v[10:11], v[10:11], off
	s_waitcnt vmcnt(0)
	global_store_dwordx2 v[6:7], v[10:11], off
	v_lshl_add_u64 v[6:7], v[6:7], 0, 8
	s_andn2_b64 exec, exec, s[0:1]
	s_cbranch_execnz .LBB130_3
.LBB130_4:
	s_endpgm
	.section	.rodata,"a",@progbits
	.p2align	6, 0x0
	.amdhsa_kernel _ZN9rocsparseL23sddmm_csx_sample_kernelILi512ELi1EL20rocsparse_direction_1E21rocsparse_complex_numIfEliS3_EEvT4_S4_T3_PKT5_S4_PS6_PKS5_PKS4_21rocsparse_index_base_
		.amdhsa_group_segment_fixed_size 0
		.amdhsa_private_segment_fixed_size 0
		.amdhsa_kernarg_size 60
		.amdhsa_user_sgpr_count 2
		.amdhsa_user_sgpr_dispatch_ptr 0
		.amdhsa_user_sgpr_queue_ptr 0
		.amdhsa_user_sgpr_kernarg_segment_ptr 1
		.amdhsa_user_sgpr_dispatch_id 0
		.amdhsa_user_sgpr_kernarg_preload_length 0
		.amdhsa_user_sgpr_kernarg_preload_offset 0
		.amdhsa_user_sgpr_private_segment_size 0
		.amdhsa_uses_dynamic_stack 0
		.amdhsa_enable_private_segment 0
		.amdhsa_system_sgpr_workgroup_id_x 1
		.amdhsa_system_sgpr_workgroup_id_y 0
		.amdhsa_system_sgpr_workgroup_id_z 0
		.amdhsa_system_sgpr_workgroup_info 0
		.amdhsa_system_vgpr_workitem_id 0
		.amdhsa_next_free_vgpr 12
		.amdhsa_next_free_sgpr 11
		.amdhsa_accum_offset 12
		.amdhsa_reserve_vcc 1
		.amdhsa_float_round_mode_32 0
		.amdhsa_float_round_mode_16_64 0
		.amdhsa_float_denorm_mode_32 3
		.amdhsa_float_denorm_mode_16_64 3
		.amdhsa_dx10_clamp 1
		.amdhsa_ieee_mode 1
		.amdhsa_fp16_overflow 0
		.amdhsa_tg_split 0
		.amdhsa_exception_fp_ieee_invalid_op 0
		.amdhsa_exception_fp_denorm_src 0
		.amdhsa_exception_fp_ieee_div_zero 0
		.amdhsa_exception_fp_ieee_overflow 0
		.amdhsa_exception_fp_ieee_underflow 0
		.amdhsa_exception_fp_ieee_inexact 0
		.amdhsa_exception_int_div_zero 0
	.end_amdhsa_kernel
	.section	.text._ZN9rocsparseL23sddmm_csx_sample_kernelILi512ELi1EL20rocsparse_direction_1E21rocsparse_complex_numIfEliS3_EEvT4_S4_T3_PKT5_S4_PS6_PKS5_PKS4_21rocsparse_index_base_,"axG",@progbits,_ZN9rocsparseL23sddmm_csx_sample_kernelILi512ELi1EL20rocsparse_direction_1E21rocsparse_complex_numIfEliS3_EEvT4_S4_T3_PKT5_S4_PS6_PKS5_PKS4_21rocsparse_index_base_,comdat
.Lfunc_end130:
	.size	_ZN9rocsparseL23sddmm_csx_sample_kernelILi512ELi1EL20rocsparse_direction_1E21rocsparse_complex_numIfEliS3_EEvT4_S4_T3_PKT5_S4_PS6_PKS5_PKS4_21rocsparse_index_base_, .Lfunc_end130-_ZN9rocsparseL23sddmm_csx_sample_kernelILi512ELi1EL20rocsparse_direction_1E21rocsparse_complex_numIfEliS3_EEvT4_S4_T3_PKT5_S4_PS6_PKS5_PKS4_21rocsparse_index_base_
                                        ; -- End function
	.set _ZN9rocsparseL23sddmm_csx_sample_kernelILi512ELi1EL20rocsparse_direction_1E21rocsparse_complex_numIfEliS3_EEvT4_S4_T3_PKT5_S4_PS6_PKS5_PKS4_21rocsparse_index_base_.num_vgpr, 12
	.set _ZN9rocsparseL23sddmm_csx_sample_kernelILi512ELi1EL20rocsparse_direction_1E21rocsparse_complex_numIfEliS3_EEvT4_S4_T3_PKT5_S4_PS6_PKS5_PKS4_21rocsparse_index_base_.num_agpr, 0
	.set _ZN9rocsparseL23sddmm_csx_sample_kernelILi512ELi1EL20rocsparse_direction_1E21rocsparse_complex_numIfEliS3_EEvT4_S4_T3_PKT5_S4_PS6_PKS5_PKS4_21rocsparse_index_base_.numbered_sgpr, 11
	.set _ZN9rocsparseL23sddmm_csx_sample_kernelILi512ELi1EL20rocsparse_direction_1E21rocsparse_complex_numIfEliS3_EEvT4_S4_T3_PKT5_S4_PS6_PKS5_PKS4_21rocsparse_index_base_.num_named_barrier, 0
	.set _ZN9rocsparseL23sddmm_csx_sample_kernelILi512ELi1EL20rocsparse_direction_1E21rocsparse_complex_numIfEliS3_EEvT4_S4_T3_PKT5_S4_PS6_PKS5_PKS4_21rocsparse_index_base_.private_seg_size, 0
	.set _ZN9rocsparseL23sddmm_csx_sample_kernelILi512ELi1EL20rocsparse_direction_1E21rocsparse_complex_numIfEliS3_EEvT4_S4_T3_PKT5_S4_PS6_PKS5_PKS4_21rocsparse_index_base_.uses_vcc, 1
	.set _ZN9rocsparseL23sddmm_csx_sample_kernelILi512ELi1EL20rocsparse_direction_1E21rocsparse_complex_numIfEliS3_EEvT4_S4_T3_PKT5_S4_PS6_PKS5_PKS4_21rocsparse_index_base_.uses_flat_scratch, 0
	.set _ZN9rocsparseL23sddmm_csx_sample_kernelILi512ELi1EL20rocsparse_direction_1E21rocsparse_complex_numIfEliS3_EEvT4_S4_T3_PKT5_S4_PS6_PKS5_PKS4_21rocsparse_index_base_.has_dyn_sized_stack, 0
	.set _ZN9rocsparseL23sddmm_csx_sample_kernelILi512ELi1EL20rocsparse_direction_1E21rocsparse_complex_numIfEliS3_EEvT4_S4_T3_PKT5_S4_PS6_PKS5_PKS4_21rocsparse_index_base_.has_recursion, 0
	.set _ZN9rocsparseL23sddmm_csx_sample_kernelILi512ELi1EL20rocsparse_direction_1E21rocsparse_complex_numIfEliS3_EEvT4_S4_T3_PKT5_S4_PS6_PKS5_PKS4_21rocsparse_index_base_.has_indirect_call, 0
	.section	.AMDGPU.csdata,"",@progbits
; Kernel info:
; codeLenInByte = 332
; TotalNumSgprs: 17
; NumVgprs: 12
; NumAgprs: 0
; TotalNumVgprs: 12
; ScratchSize: 0
; MemoryBound: 0
; FloatMode: 240
; IeeeMode: 1
; LDSByteSize: 0 bytes/workgroup (compile time only)
; SGPRBlocks: 2
; VGPRBlocks: 1
; NumSGPRsForWavesPerEU: 17
; NumVGPRsForWavesPerEU: 12
; AccumOffset: 12
; Occupancy: 8
; WaveLimiterHint : 1
; COMPUTE_PGM_RSRC2:SCRATCH_EN: 0
; COMPUTE_PGM_RSRC2:USER_SGPR: 2
; COMPUTE_PGM_RSRC2:TRAP_HANDLER: 0
; COMPUTE_PGM_RSRC2:TGID_X_EN: 1
; COMPUTE_PGM_RSRC2:TGID_Y_EN: 0
; COMPUTE_PGM_RSRC2:TGID_Z_EN: 0
; COMPUTE_PGM_RSRC2:TIDIG_COMP_CNT: 0
; COMPUTE_PGM_RSRC3_GFX90A:ACCUM_OFFSET: 2
; COMPUTE_PGM_RSRC3_GFX90A:TG_SPLIT: 0
	.section	.text._ZN9rocsparseL16sddmm_csx_kernelILi512ELi8EL20rocsparse_direction_0E21rocsparse_complex_numIfEliS3_S3_S3_EEv20rocsparse_operation_S4_16rocsparse_order_S5_T4_S6_S6_T3_NS_24const_host_device_scalarIT2_EEPKT5_lPKT6_lSA_PT7_PKS7_PKS6_21rocsparse_index_base_b,"axG",@progbits,_ZN9rocsparseL16sddmm_csx_kernelILi512ELi8EL20rocsparse_direction_0E21rocsparse_complex_numIfEliS3_S3_S3_EEv20rocsparse_operation_S4_16rocsparse_order_S5_T4_S6_S6_T3_NS_24const_host_device_scalarIT2_EEPKT5_lPKT6_lSA_PT7_PKS7_PKS6_21rocsparse_index_base_b,comdat
	.globl	_ZN9rocsparseL16sddmm_csx_kernelILi512ELi8EL20rocsparse_direction_0E21rocsparse_complex_numIfEliS3_S3_S3_EEv20rocsparse_operation_S4_16rocsparse_order_S5_T4_S6_S6_T3_NS_24const_host_device_scalarIT2_EEPKT5_lPKT6_lSA_PT7_PKS7_PKS6_21rocsparse_index_base_b ; -- Begin function _ZN9rocsparseL16sddmm_csx_kernelILi512ELi8EL20rocsparse_direction_0E21rocsparse_complex_numIfEliS3_S3_S3_EEv20rocsparse_operation_S4_16rocsparse_order_S5_T4_S6_S6_T3_NS_24const_host_device_scalarIT2_EEPKT5_lPKT6_lSA_PT7_PKS7_PKS6_21rocsparse_index_base_b
	.p2align	8
	.type	_ZN9rocsparseL16sddmm_csx_kernelILi512ELi8EL20rocsparse_direction_0E21rocsparse_complex_numIfEliS3_S3_S3_EEv20rocsparse_operation_S4_16rocsparse_order_S5_T4_S6_S6_T3_NS_24const_host_device_scalarIT2_EEPKT5_lPKT6_lSA_PT7_PKS7_PKS6_21rocsparse_index_base_b,@function
_ZN9rocsparseL16sddmm_csx_kernelILi512ELi8EL20rocsparse_direction_0E21rocsparse_complex_numIfEliS3_S3_S3_EEv20rocsparse_operation_S4_16rocsparse_order_S5_T4_S6_S6_T3_NS_24const_host_device_scalarIT2_EEPKT5_lPKT6_lSA_PT7_PKS7_PKS6_21rocsparse_index_base_b: ; @_ZN9rocsparseL16sddmm_csx_kernelILi512ELi8EL20rocsparse_direction_0E21rocsparse_complex_numIfEliS3_S3_S3_EEv20rocsparse_operation_S4_16rocsparse_order_S5_T4_S6_S6_T3_NS_24const_host_device_scalarIT2_EEPKT5_lPKT6_lSA_PT7_PKS7_PKS6_21rocsparse_index_base_b
; %bb.0:
	s_load_dwordx2 s[4:5], s[0:1], 0x28
	s_load_dwordx4 s[12:15], s[0:1], 0x48
	s_load_dwordx2 s[16:17], s[0:1], 0x70
	s_add_u32 s3, s0, 40
	s_addc_u32 s6, s1, 0
	s_add_u32 s7, s0, 0x50
	s_addc_u32 s8, s1, 0
	s_waitcnt lgkmcnt(0)
	s_bitcmp1_b32 s17, 0
	s_cselect_b32 s5, s6, s5
	s_cselect_b32 s3, s3, s4
	v_mov_b32_e32 v2, s3
	v_mov_b32_e32 v3, s5
	flat_load_dwordx2 v[6:7], v[2:3]
	s_cselect_b32 s3, s8, s15
	s_cselect_b32 s4, s7, s14
	v_mov_b32_e32 v2, s4
	v_mov_b32_e32 v3, s3
	flat_load_dwordx2 v[8:9], v[2:3]
	s_brev_b32 s3, -2
	s_mov_b64 s[4:5], -1
	s_waitcnt vmcnt(0) lgkmcnt(0)
	v_bitop3_b32 v1, v6, s3, v7 bitop3:0xc8
	v_cmp_eq_u32_e32 vcc, 0, v1
	s_and_saveexec_b64 s[6:7], vcc
; %bb.1:
	v_cmp_neq_f32_e32 vcc, 1.0, v8
	v_cmp_neq_f32_e64 s[4:5], 0, v9
	s_or_b64 s[4:5], vcc, s[4:5]
	s_orn2_b64 s[4:5], s[4:5], exec
; %bb.2:
	s_or_b64 exec, exec, s[6:7]
	s_and_saveexec_b64 s[6:7], s[4:5]
	s_cbranch_execz .LBB131_34
; %bb.3:
	s_load_dword s4, s[0:1], 0x10
	v_lshrrev_b32_e32 v10, 3, v0
	v_lshl_or_b32 v2, s2, 6, v10
	v_mov_b32_e32 v3, 0
	s_waitcnt lgkmcnt(0)
	s_ashr_i32 s5, s4, 31
	v_cmp_gt_i64_e32 vcc, s[4:5], v[2:3]
	s_and_b64 exec, exec, vcc
	s_cbranch_execz .LBB131_34
; %bb.4:
	s_load_dwordx4 s[4:7], s[0:1], 0x0
	s_load_dwordx2 s[14:15], s[0:1], 0x60
	s_load_dwordx2 s[2:3], s[0:1], 0x38
	s_waitcnt lgkmcnt(0)
	s_cmp_eq_u32 s6, 1
	s_cselect_b64 s[8:9], -1, 0
	s_cmpk_eq_i32 s4, 0x6f
	s_cselect_b64 s[10:11], -1, 0
	s_cmpk_lg_i32 s4, 0x6f
	s_cselect_b64 s[18:19], -1, 0
	s_cmp_lg_u32 s6, 1
	s_cbranch_scc0 .LBB131_8
; %bb.5:
	s_andn2_b64 vcc, exec, s[10:11]
	v_mov_b64_e32 v[12:13], v[2:3]
	s_cbranch_vccnz .LBB131_7
; %bb.6:
	v_mad_u64_u32 v[12:13], s[20:21], s2, v2, 0
	v_mov_b32_e32 v4, v13
	v_mad_u64_u32 v[4:5], s[20:21], s3, v2, v[4:5]
	v_mov_b32_e32 v13, v4
.LBB131_7:
	s_cbranch_execz .LBB131_9
	s_branch .LBB131_11
.LBB131_8:
                                        ; implicit-def: $vgpr12_vgpr13
.LBB131_9:
	s_andn2_b64 vcc, exec, s[18:19]
	v_mov_b64_e32 v[12:13], v[2:3]
	s_cbranch_vccnz .LBB131_11
; %bb.10:
	v_mad_u64_u32 v[12:13], s[18:19], s2, v2, 0
	v_mov_b32_e32 v4, v13
	v_mad_u64_u32 v[4:5], s[18:19], s3, v2, v[4:5]
	v_mov_b32_e32 v13, v4
.LBB131_11:
	v_lshl_add_u64 v[2:3], v[2:3], 3, s[14:15]
	global_load_dwordx4 v[2:5], v[2:3], off
	s_waitcnt vmcnt(0)
	v_cmp_lt_i64_e32 vcc, v[2:3], v[4:5]
	s_and_b64 exec, exec, vcc
	s_cbranch_execz .LBB131_34
; %bb.12:
	s_xor_b64 s[8:9], s[10:11], s[8:9]
	s_and_b64 s[8:9], s[8:9], exec
	s_cselect_b32 s9, 0, s3
	s_cselect_b32 s8, 1, s2
	s_cmp_lg_u32 s7, 1
	s_cselect_b64 s[18:19], -1, 0
	s_cmp_eq_u32 s7, 1
	v_and_b32_e32 v22, 7, v0
	s_cselect_b64 s[2:3], -1, 0
	s_cmpk_eq_i32 s5, 0x6f
	v_mad_u64_u32 v[14:15], s[28:29], s8, v22, 0
	s_cselect_b64 s[6:7], -1, 0
	s_cmpk_lg_i32 s5, 0x6f
	s_load_dwordx2 s[26:27], s[0:1], 0x40
	s_load_dwordx2 s[20:21], s[0:1], 0x58
	;; [unrolled: 1-line block ×3, first 2 shown]
	s_load_dword s17, s[0:1], 0x18
	v_mov_b32_e32 v16, v15
	s_cselect_b64 s[10:11], -1, 0
	s_xor_b64 s[2:3], s[6:7], s[2:3]
	v_mad_u64_u32 v[16:17], s[28:29], s9, v22, v[16:17]
	s_and_b64 s[2:3], s[2:3], exec
	v_mov_b32_e32 v15, v16
	v_lshlrev_b64 v[12:13], 3, v[12:13]
	s_cselect_b32 s24, s12, 1
	v_lshl_add_u64 v[12:13], v[14:15], 3, v[12:13]
	s_cselect_b32 s25, s13, 0
	s_waitcnt lgkmcnt(0)
	v_lshl_add_u64 v[12:13], s[22:23], 0, v[12:13]
	s_lshl_b64 s[22:23], s[8:9], 6
	v_mad_u64_u32 v[14:15], s[8:9], s24, v22, 0
	s_load_dwordx2 s[14:15], s[0:1], 0x68
	v_mov_b32_e32 v16, v15
	v_subrev_co_u32_e32 v0, vcc, s16, v2
	v_mad_u64_u32 v[16:17], s[8:9], s25, v22, v[16:17]
	s_nop 0
	v_subbrev_co_u32_e32 v1, vcc, 0, v3, vcc
	v_mov_b32_e32 v15, v16
	v_cndmask_b32_e64 v18, 0, 1, s[6:7]
	v_lshlrev_b32_e32 v23, 6, v10
	v_subrev_co_u32_e32 v4, vcc, s16, v4
	v_lshl_add_u64 v[14:15], v[14:15], 3, s[26:27]
	v_cndmask_b32_e64 v16, 0, 1, s[10:11]
	v_cmp_gt_i32_e64 s[0:1], s17, v22
	v_lshl_or_b32 v24, v22, 3, v23
	v_cmp_eq_u32_e64 s[2:3], 0, v22
	v_xor_b32_e32 v2, 0x80000000, v7
	v_cmp_gt_u32_e64 s[4:5], 4, v22
	v_cmp_gt_u32_e64 s[6:7], 2, v22
	v_mov_b32_e32 v3, v6
	v_mov_b32_e32 v10, v8
	;; [unrolled: 1-line block ×4, first 2 shown]
	v_subbrev_co_u32_e32 v5, vcc, 0, v5, vcc
	v_lshl_add_u64 v[14:15], v[14:15], 0, 4
	s_lshl_b64 s[24:25], s[24:25], 6
	s_mov_b64 s[26:27], 0
	v_cmp_ne_u32_e64 s[8:9], 1, v16
	v_cmp_ne_u32_e64 s[10:11], 1, v18
	s_branch .LBB131_14
.LBB131_13:                             ;   in Loop: Header=BB131_14 Depth=1
	s_or_b64 exec, exec, s[28:29]
	v_lshl_add_u64 v[0:1], v[0:1], 0, 1
	v_cmp_ge_i64_e32 vcc, v[0:1], v[4:5]
	s_or_b64 s[26:27], vcc, s[26:27]
	s_andn2_b64 exec, exec, s[26:27]
	s_cbranch_execz .LBB131_34
.LBB131_14:                             ; =>This Loop Header: Depth=1
                                        ;     Child Loop BB131_24 Depth 2
	s_waitcnt lgkmcnt(0)
	v_lshl_add_u64 v[16:17], v[0:1], 2, s[14:15]
	global_load_dword v16, v[16:17], off
	s_mov_b64 s[28:29], -1
	s_and_b64 vcc, exec, s[18:19]
                                        ; implicit-def: $vgpr18_vgpr19
	s_waitcnt vmcnt(0)
	v_subrev_u32_e32 v16, s16, v16
	v_ashrrev_i32_e32 v17, 31, v16
	s_cbranch_vccnz .LBB131_17
; %bb.15:                               ;   in Loop: Header=BB131_14 Depth=1
	s_andn2_b64 vcc, exec, s[28:29]
	s_cbranch_vccz .LBB131_20
.LBB131_16:                             ;   in Loop: Header=BB131_14 Depth=1
	v_mov_b32_e32 v17, 0
	v_mov_b32_e32 v16, v17
	s_and_saveexec_b64 s[28:29], s[0:1]
	s_cbranch_execnz .LBB131_23
	s_branch .LBB131_26
.LBB131_17:                             ;   in Loop: Header=BB131_14 Depth=1
	s_and_b64 vcc, exec, s[8:9]
	v_mov_b64_e32 v[18:19], v[16:17]
	s_cbranch_vccnz .LBB131_19
; %bb.18:                               ;   in Loop: Header=BB131_14 Depth=1
	v_mul_lo_u32 v20, s13, v16
	v_mul_lo_u32 v21, s12, v17
	v_mad_u64_u32 v[18:19], s[28:29], s12, v16, 0
	v_add3_u32 v19, v19, v21, v20
.LBB131_19:                             ;   in Loop: Header=BB131_14 Depth=1
	s_cbranch_execnz .LBB131_16
.LBB131_20:                             ;   in Loop: Header=BB131_14 Depth=1
	s_and_b64 vcc, exec, s[10:11]
	s_cbranch_vccnz .LBB131_22
; %bb.21:                               ;   in Loop: Header=BB131_14 Depth=1
	v_mul_lo_u32 v18, s13, v16
	v_mul_lo_u32 v19, s12, v17
	v_mad_u64_u32 v[16:17], s[28:29], s12, v16, 0
	v_add3_u32 v17, v17, v19, v18
.LBB131_22:                             ;   in Loop: Header=BB131_14 Depth=1
	v_mov_b64_e32 v[18:19], v[16:17]
	v_mov_b32_e32 v17, 0
	v_mov_b32_e32 v16, v17
	s_and_saveexec_b64 s[28:29], s[0:1]
	s_cbranch_execz .LBB131_26
.LBB131_23:                             ;   in Loop: Header=BB131_14 Depth=1
	v_mov_b32_e32 v16, 0
	v_lshl_add_u64 v[18:19], v[18:19], 3, v[14:15]
	s_mov_b64 s[30:31], 0
	v_mov_b64_e32 v[20:21], v[12:13]
	v_mov_b32_e32 v25, v22
	v_mov_b32_e32 v17, v16
.LBB131_24:                             ;   Parent Loop BB131_14 Depth=1
                                        ; =>  This Inner Loop Header: Depth=2
	global_load_dwordx2 v[26:27], v[20:21], off
	global_load_dwordx2 v[28:29], v[18:19], off offset:-4
	v_add_u32_e32 v25, 8, v25
	v_cmp_le_i32_e32 vcc, s17, v25
	v_lshl_add_u64 v[20:21], v[20:21], 0, s[22:23]
	v_lshl_add_u64 v[18:19], v[18:19], 0, s[24:25]
	s_or_b64 s[30:31], vcc, s[30:31]
	s_waitcnt vmcnt(1)
	v_xor_b32_e32 v30, 0x80000000, v27
	v_mov_b32_e32 v31, v26
	s_waitcnt vmcnt(0)
	v_pk_mul_f32 v[30:31], v[28:29], v[30:31] op_sel:[1,0]
	s_nop 0
	v_pk_fma_f32 v[26:27], v[26:27], v[28:29], v[30:31] op_sel_hi:[1,0,1]
	s_nop 0
	v_pk_add_f32 v[16:17], v[16:17], v[26:27]
	s_andn2_b64 exec, exec, s[30:31]
	s_cbranch_execnz .LBB131_24
; %bb.25:                               ;   in Loop: Header=BB131_14 Depth=1
	s_or_b64 exec, exec, s[30:31]
.LBB131_26:                             ;   in Loop: Header=BB131_14 Depth=1
	s_or_b64 exec, exec, s[28:29]
	ds_write_b64 v24, v[16:17]
	s_waitcnt lgkmcnt(0)
	s_barrier
	s_and_saveexec_b64 s[28:29], s[4:5]
	s_cbranch_execz .LBB131_28
; %bb.27:                               ;   in Loop: Header=BB131_14 Depth=1
	ds_read2_b64 v[16:19], v24 offset1:4
	s_waitcnt lgkmcnt(0)
	v_pk_add_f32 v[16:17], v[18:19], v[16:17]
	ds_write_b64 v24, v[16:17]
.LBB131_28:                             ;   in Loop: Header=BB131_14 Depth=1
	s_or_b64 exec, exec, s[28:29]
	s_waitcnt lgkmcnt(0)
	s_barrier
	s_and_saveexec_b64 s[28:29], s[6:7]
	s_cbranch_execz .LBB131_30
; %bb.29:                               ;   in Loop: Header=BB131_14 Depth=1
	ds_read2_b64 v[16:19], v24 offset1:2
	s_waitcnt lgkmcnt(0)
	v_pk_add_f32 v[16:17], v[18:19], v[16:17]
	ds_write_b64 v24, v[16:17]
.LBB131_30:                             ;   in Loop: Header=BB131_14 Depth=1
	s_or_b64 exec, exec, s[28:29]
	;; [unrolled: 11-line block ×3, first 2 shown]
	s_waitcnt lgkmcnt(0)
	s_barrier
	s_and_saveexec_b64 s[28:29], s[2:3]
	s_cbranch_execz .LBB131_13
; %bb.33:                               ;   in Loop: Header=BB131_14 Depth=1
	v_lshl_add_u64 v[16:17], v[0:1], 3, s[20:21]
	global_load_dwordx2 v[18:19], v[16:17], off
	ds_read_b64 v[20:21], v23
	s_waitcnt lgkmcnt(0)
	v_pk_mul_f32 v[26:27], v[20:21], v[2:3] op_sel:[1,0]
	s_nop 0
	v_pk_fma_f32 v[20:21], v[6:7], v[20:21], v[26:27] op_sel_hi:[1,0,1]
	s_waitcnt vmcnt(0)
	v_pk_mul_f32 v[28:29], v[8:9], v[18:19] op_sel:[0,1] op_sel_hi:[1,0] neg_lo:[0,1]
	s_nop 0
	v_pk_fma_f32 v[18:19], v[18:19], v[10:11], v[28:29]
	s_nop 0
	v_pk_add_f32 v[18:19], v[20:21], v[18:19]
	global_store_dwordx2 v[16:17], v[18:19], off
	s_branch .LBB131_13
.LBB131_34:
	s_endpgm
	.section	.rodata,"a",@progbits
	.p2align	6, 0x0
	.amdhsa_kernel _ZN9rocsparseL16sddmm_csx_kernelILi512ELi8EL20rocsparse_direction_0E21rocsparse_complex_numIfEliS3_S3_S3_EEv20rocsparse_operation_S4_16rocsparse_order_S5_T4_S6_S6_T3_NS_24const_host_device_scalarIT2_EEPKT5_lPKT6_lSA_PT7_PKS7_PKS6_21rocsparse_index_base_b
		.amdhsa_group_segment_fixed_size 4096
		.amdhsa_private_segment_fixed_size 0
		.amdhsa_kernarg_size 120
		.amdhsa_user_sgpr_count 2
		.amdhsa_user_sgpr_dispatch_ptr 0
		.amdhsa_user_sgpr_queue_ptr 0
		.amdhsa_user_sgpr_kernarg_segment_ptr 1
		.amdhsa_user_sgpr_dispatch_id 0
		.amdhsa_user_sgpr_kernarg_preload_length 0
		.amdhsa_user_sgpr_kernarg_preload_offset 0
		.amdhsa_user_sgpr_private_segment_size 0
		.amdhsa_uses_dynamic_stack 0
		.amdhsa_enable_private_segment 0
		.amdhsa_system_sgpr_workgroup_id_x 1
		.amdhsa_system_sgpr_workgroup_id_y 0
		.amdhsa_system_sgpr_workgroup_id_z 0
		.amdhsa_system_sgpr_workgroup_info 0
		.amdhsa_system_vgpr_workitem_id 0
		.amdhsa_next_free_vgpr 32
		.amdhsa_next_free_sgpr 32
		.amdhsa_accum_offset 32
		.amdhsa_reserve_vcc 1
		.amdhsa_float_round_mode_32 0
		.amdhsa_float_round_mode_16_64 0
		.amdhsa_float_denorm_mode_32 3
		.amdhsa_float_denorm_mode_16_64 3
		.amdhsa_dx10_clamp 1
		.amdhsa_ieee_mode 1
		.amdhsa_fp16_overflow 0
		.amdhsa_tg_split 0
		.amdhsa_exception_fp_ieee_invalid_op 0
		.amdhsa_exception_fp_denorm_src 0
		.amdhsa_exception_fp_ieee_div_zero 0
		.amdhsa_exception_fp_ieee_overflow 0
		.amdhsa_exception_fp_ieee_underflow 0
		.amdhsa_exception_fp_ieee_inexact 0
		.amdhsa_exception_int_div_zero 0
	.end_amdhsa_kernel
	.section	.text._ZN9rocsparseL16sddmm_csx_kernelILi512ELi8EL20rocsparse_direction_0E21rocsparse_complex_numIfEliS3_S3_S3_EEv20rocsparse_operation_S4_16rocsparse_order_S5_T4_S6_S6_T3_NS_24const_host_device_scalarIT2_EEPKT5_lPKT6_lSA_PT7_PKS7_PKS6_21rocsparse_index_base_b,"axG",@progbits,_ZN9rocsparseL16sddmm_csx_kernelILi512ELi8EL20rocsparse_direction_0E21rocsparse_complex_numIfEliS3_S3_S3_EEv20rocsparse_operation_S4_16rocsparse_order_S5_T4_S6_S6_T3_NS_24const_host_device_scalarIT2_EEPKT5_lPKT6_lSA_PT7_PKS7_PKS6_21rocsparse_index_base_b,comdat
.Lfunc_end131:
	.size	_ZN9rocsparseL16sddmm_csx_kernelILi512ELi8EL20rocsparse_direction_0E21rocsparse_complex_numIfEliS3_S3_S3_EEv20rocsparse_operation_S4_16rocsparse_order_S5_T4_S6_S6_T3_NS_24const_host_device_scalarIT2_EEPKT5_lPKT6_lSA_PT7_PKS7_PKS6_21rocsparse_index_base_b, .Lfunc_end131-_ZN9rocsparseL16sddmm_csx_kernelILi512ELi8EL20rocsparse_direction_0E21rocsparse_complex_numIfEliS3_S3_S3_EEv20rocsparse_operation_S4_16rocsparse_order_S5_T4_S6_S6_T3_NS_24const_host_device_scalarIT2_EEPKT5_lPKT6_lSA_PT7_PKS7_PKS6_21rocsparse_index_base_b
                                        ; -- End function
	.set _ZN9rocsparseL16sddmm_csx_kernelILi512ELi8EL20rocsparse_direction_0E21rocsparse_complex_numIfEliS3_S3_S3_EEv20rocsparse_operation_S4_16rocsparse_order_S5_T4_S6_S6_T3_NS_24const_host_device_scalarIT2_EEPKT5_lPKT6_lSA_PT7_PKS7_PKS6_21rocsparse_index_base_b.num_vgpr, 32
	.set _ZN9rocsparseL16sddmm_csx_kernelILi512ELi8EL20rocsparse_direction_0E21rocsparse_complex_numIfEliS3_S3_S3_EEv20rocsparse_operation_S4_16rocsparse_order_S5_T4_S6_S6_T3_NS_24const_host_device_scalarIT2_EEPKT5_lPKT6_lSA_PT7_PKS7_PKS6_21rocsparse_index_base_b.num_agpr, 0
	.set _ZN9rocsparseL16sddmm_csx_kernelILi512ELi8EL20rocsparse_direction_0E21rocsparse_complex_numIfEliS3_S3_S3_EEv20rocsparse_operation_S4_16rocsparse_order_S5_T4_S6_S6_T3_NS_24const_host_device_scalarIT2_EEPKT5_lPKT6_lSA_PT7_PKS7_PKS6_21rocsparse_index_base_b.numbered_sgpr, 32
	.set _ZN9rocsparseL16sddmm_csx_kernelILi512ELi8EL20rocsparse_direction_0E21rocsparse_complex_numIfEliS3_S3_S3_EEv20rocsparse_operation_S4_16rocsparse_order_S5_T4_S6_S6_T3_NS_24const_host_device_scalarIT2_EEPKT5_lPKT6_lSA_PT7_PKS7_PKS6_21rocsparse_index_base_b.num_named_barrier, 0
	.set _ZN9rocsparseL16sddmm_csx_kernelILi512ELi8EL20rocsparse_direction_0E21rocsparse_complex_numIfEliS3_S3_S3_EEv20rocsparse_operation_S4_16rocsparse_order_S5_T4_S6_S6_T3_NS_24const_host_device_scalarIT2_EEPKT5_lPKT6_lSA_PT7_PKS7_PKS6_21rocsparse_index_base_b.private_seg_size, 0
	.set _ZN9rocsparseL16sddmm_csx_kernelILi512ELi8EL20rocsparse_direction_0E21rocsparse_complex_numIfEliS3_S3_S3_EEv20rocsparse_operation_S4_16rocsparse_order_S5_T4_S6_S6_T3_NS_24const_host_device_scalarIT2_EEPKT5_lPKT6_lSA_PT7_PKS7_PKS6_21rocsparse_index_base_b.uses_vcc, 1
	.set _ZN9rocsparseL16sddmm_csx_kernelILi512ELi8EL20rocsparse_direction_0E21rocsparse_complex_numIfEliS3_S3_S3_EEv20rocsparse_operation_S4_16rocsparse_order_S5_T4_S6_S6_T3_NS_24const_host_device_scalarIT2_EEPKT5_lPKT6_lSA_PT7_PKS7_PKS6_21rocsparse_index_base_b.uses_flat_scratch, 0
	.set _ZN9rocsparseL16sddmm_csx_kernelILi512ELi8EL20rocsparse_direction_0E21rocsparse_complex_numIfEliS3_S3_S3_EEv20rocsparse_operation_S4_16rocsparse_order_S5_T4_S6_S6_T3_NS_24const_host_device_scalarIT2_EEPKT5_lPKT6_lSA_PT7_PKS7_PKS6_21rocsparse_index_base_b.has_dyn_sized_stack, 0
	.set _ZN9rocsparseL16sddmm_csx_kernelILi512ELi8EL20rocsparse_direction_0E21rocsparse_complex_numIfEliS3_S3_S3_EEv20rocsparse_operation_S4_16rocsparse_order_S5_T4_S6_S6_T3_NS_24const_host_device_scalarIT2_EEPKT5_lPKT6_lSA_PT7_PKS7_PKS6_21rocsparse_index_base_b.has_recursion, 0
	.set _ZN9rocsparseL16sddmm_csx_kernelILi512ELi8EL20rocsparse_direction_0E21rocsparse_complex_numIfEliS3_S3_S3_EEv20rocsparse_operation_S4_16rocsparse_order_S5_T4_S6_S6_T3_NS_24const_host_device_scalarIT2_EEPKT5_lPKT6_lSA_PT7_PKS7_PKS6_21rocsparse_index_base_b.has_indirect_call, 0
	.section	.AMDGPU.csdata,"",@progbits
; Kernel info:
; codeLenInByte = 1328
; TotalNumSgprs: 38
; NumVgprs: 32
; NumAgprs: 0
; TotalNumVgprs: 32
; ScratchSize: 0
; MemoryBound: 0
; FloatMode: 240
; IeeeMode: 1
; LDSByteSize: 4096 bytes/workgroup (compile time only)
; SGPRBlocks: 4
; VGPRBlocks: 3
; NumSGPRsForWavesPerEU: 38
; NumVGPRsForWavesPerEU: 32
; AccumOffset: 32
; Occupancy: 8
; WaveLimiterHint : 0
; COMPUTE_PGM_RSRC2:SCRATCH_EN: 0
; COMPUTE_PGM_RSRC2:USER_SGPR: 2
; COMPUTE_PGM_RSRC2:TRAP_HANDLER: 0
; COMPUTE_PGM_RSRC2:TGID_X_EN: 1
; COMPUTE_PGM_RSRC2:TGID_Y_EN: 0
; COMPUTE_PGM_RSRC2:TGID_Z_EN: 0
; COMPUTE_PGM_RSRC2:TIDIG_COMP_CNT: 0
; COMPUTE_PGM_RSRC3_GFX90A:ACCUM_OFFSET: 7
; COMPUTE_PGM_RSRC3_GFX90A:TG_SPLIT: 0
	.section	.text._ZN9rocsparseL16sddmm_csx_kernelILi512ELi4EL20rocsparse_direction_0E21rocsparse_complex_numIfEliS3_S3_S3_EEv20rocsparse_operation_S4_16rocsparse_order_S5_T4_S6_S6_T3_NS_24const_host_device_scalarIT2_EEPKT5_lPKT6_lSA_PT7_PKS7_PKS6_21rocsparse_index_base_b,"axG",@progbits,_ZN9rocsparseL16sddmm_csx_kernelILi512ELi4EL20rocsparse_direction_0E21rocsparse_complex_numIfEliS3_S3_S3_EEv20rocsparse_operation_S4_16rocsparse_order_S5_T4_S6_S6_T3_NS_24const_host_device_scalarIT2_EEPKT5_lPKT6_lSA_PT7_PKS7_PKS6_21rocsparse_index_base_b,comdat
	.globl	_ZN9rocsparseL16sddmm_csx_kernelILi512ELi4EL20rocsparse_direction_0E21rocsparse_complex_numIfEliS3_S3_S3_EEv20rocsparse_operation_S4_16rocsparse_order_S5_T4_S6_S6_T3_NS_24const_host_device_scalarIT2_EEPKT5_lPKT6_lSA_PT7_PKS7_PKS6_21rocsparse_index_base_b ; -- Begin function _ZN9rocsparseL16sddmm_csx_kernelILi512ELi4EL20rocsparse_direction_0E21rocsparse_complex_numIfEliS3_S3_S3_EEv20rocsparse_operation_S4_16rocsparse_order_S5_T4_S6_S6_T3_NS_24const_host_device_scalarIT2_EEPKT5_lPKT6_lSA_PT7_PKS7_PKS6_21rocsparse_index_base_b
	.p2align	8
	.type	_ZN9rocsparseL16sddmm_csx_kernelILi512ELi4EL20rocsparse_direction_0E21rocsparse_complex_numIfEliS3_S3_S3_EEv20rocsparse_operation_S4_16rocsparse_order_S5_T4_S6_S6_T3_NS_24const_host_device_scalarIT2_EEPKT5_lPKT6_lSA_PT7_PKS7_PKS6_21rocsparse_index_base_b,@function
_ZN9rocsparseL16sddmm_csx_kernelILi512ELi4EL20rocsparse_direction_0E21rocsparse_complex_numIfEliS3_S3_S3_EEv20rocsparse_operation_S4_16rocsparse_order_S5_T4_S6_S6_T3_NS_24const_host_device_scalarIT2_EEPKT5_lPKT6_lSA_PT7_PKS7_PKS6_21rocsparse_index_base_b: ; @_ZN9rocsparseL16sddmm_csx_kernelILi512ELi4EL20rocsparse_direction_0E21rocsparse_complex_numIfEliS3_S3_S3_EEv20rocsparse_operation_S4_16rocsparse_order_S5_T4_S6_S6_T3_NS_24const_host_device_scalarIT2_EEPKT5_lPKT6_lSA_PT7_PKS7_PKS6_21rocsparse_index_base_b
; %bb.0:
	s_load_dwordx2 s[4:5], s[0:1], 0x28
	s_load_dwordx4 s[12:15], s[0:1], 0x48
	s_load_dwordx2 s[10:11], s[0:1], 0x70
	s_add_u32 s3, s0, 40
	s_addc_u32 s6, s1, 0
	s_add_u32 s7, s0, 0x50
	s_addc_u32 s8, s1, 0
	s_waitcnt lgkmcnt(0)
	s_bitcmp1_b32 s11, 0
	s_cselect_b32 s5, s6, s5
	s_cselect_b32 s3, s3, s4
	v_mov_b32_e32 v2, s3
	v_mov_b32_e32 v3, s5
	flat_load_dwordx2 v[6:7], v[2:3]
	s_cselect_b32 s3, s8, s15
	s_cselect_b32 s4, s7, s14
	v_mov_b32_e32 v2, s4
	v_mov_b32_e32 v3, s3
	flat_load_dwordx2 v[8:9], v[2:3]
	s_brev_b32 s3, -2
	s_mov_b64 s[4:5], -1
	s_waitcnt vmcnt(0) lgkmcnt(0)
	v_bitop3_b32 v1, v6, s3, v7 bitop3:0xc8
	v_cmp_eq_u32_e32 vcc, 0, v1
	s_and_saveexec_b64 s[6:7], vcc
; %bb.1:
	v_cmp_neq_f32_e32 vcc, 1.0, v8
	v_cmp_neq_f32_e64 s[4:5], 0, v9
	s_or_b64 s[4:5], vcc, s[4:5]
	s_orn2_b64 s[4:5], s[4:5], exec
; %bb.2:
	s_or_b64 exec, exec, s[6:7]
	s_and_saveexec_b64 s[6:7], s[4:5]
	s_cbranch_execz .LBB132_32
; %bb.3:
	s_load_dword s4, s[0:1], 0x10
	v_lshrrev_b32_e32 v10, 2, v0
	v_lshl_or_b32 v2, s2, 7, v10
	v_mov_b32_e32 v3, 0
	s_waitcnt lgkmcnt(0)
	s_ashr_i32 s5, s4, 31
	v_cmp_gt_i64_e32 vcc, s[4:5], v[2:3]
	s_and_b64 exec, exec, vcc
	s_cbranch_execz .LBB132_32
; %bb.4:
	s_load_dwordx4 s[4:7], s[0:1], 0x0
	s_load_dwordx2 s[14:15], s[0:1], 0x60
	s_load_dwordx2 s[2:3], s[0:1], 0x38
	s_waitcnt lgkmcnt(0)
	s_cmp_eq_u32 s6, 1
	s_cselect_b64 s[8:9], -1, 0
	s_cmpk_eq_i32 s4, 0x6f
	s_cselect_b64 s[16:17], -1, 0
	s_cmpk_lg_i32 s4, 0x6f
	s_cselect_b64 s[18:19], -1, 0
	s_cmp_lg_u32 s6, 1
	s_cbranch_scc0 .LBB132_8
; %bb.5:
	s_andn2_b64 vcc, exec, s[16:17]
	v_mov_b64_e32 v[12:13], v[2:3]
	s_cbranch_vccnz .LBB132_7
; %bb.6:
	v_mad_u64_u32 v[12:13], s[20:21], s2, v2, 0
	v_mov_b32_e32 v4, v13
	v_mad_u64_u32 v[4:5], s[20:21], s3, v2, v[4:5]
	v_mov_b32_e32 v13, v4
.LBB132_7:
	s_cbranch_execz .LBB132_9
	s_branch .LBB132_11
.LBB132_8:
                                        ; implicit-def: $vgpr12_vgpr13
.LBB132_9:
	s_andn2_b64 vcc, exec, s[18:19]
	v_mov_b64_e32 v[12:13], v[2:3]
	s_cbranch_vccnz .LBB132_11
; %bb.10:
	v_mad_u64_u32 v[12:13], s[18:19], s2, v2, 0
	v_mov_b32_e32 v4, v13
	v_mad_u64_u32 v[4:5], s[18:19], s3, v2, v[4:5]
	v_mov_b32_e32 v13, v4
.LBB132_11:
	v_lshl_add_u64 v[2:3], v[2:3], 3, s[14:15]
	global_load_dwordx4 v[2:5], v[2:3], off
	s_waitcnt vmcnt(0)
	v_cmp_lt_i64_e32 vcc, v[2:3], v[4:5]
	s_and_b64 exec, exec, vcc
	s_cbranch_execz .LBB132_32
; %bb.12:
	s_xor_b64 s[8:9], s[16:17], s[8:9]
	s_and_b64 s[8:9], s[8:9], exec
	s_cselect_b32 s9, 0, s3
	s_cselect_b32 s8, 1, s2
	s_cmp_lg_u32 s7, 1
	s_cselect_b64 s[16:17], -1, 0
	s_cmp_eq_u32 s7, 1
	v_and_b32_e32 v22, 3, v0
	s_cselect_b64 s[2:3], -1, 0
	s_cmpk_eq_i32 s5, 0x6f
	v_mad_u64_u32 v[14:15], s[24:25], s8, v22, 0
	s_cselect_b64 s[6:7], -1, 0
	s_cmpk_lg_i32 s5, 0x6f
	s_load_dwordx2 s[22:23], s[0:1], 0x40
	s_load_dwordx2 s[18:19], s[0:1], 0x58
	;; [unrolled: 1-line block ×3, first 2 shown]
	s_load_dword s11, s[0:1], 0x18
	v_mov_b32_e32 v16, v15
	s_cselect_b64 s[26:27], -1, 0
	s_xor_b64 s[2:3], s[6:7], s[2:3]
	v_mad_u64_u32 v[16:17], s[24:25], s9, v22, v[16:17]
	s_and_b64 s[2:3], s[2:3], exec
	v_mov_b32_e32 v15, v16
	v_lshlrev_b64 v[12:13], 3, v[12:13]
	v_cndmask_b32_e64 v18, 0, 1, s[6:7]
	s_cselect_b32 s6, s12, 1
	v_lshl_add_u64 v[12:13], v[14:15], 3, v[12:13]
	s_cselect_b32 s7, s13, 0
	s_waitcnt lgkmcnt(0)
	v_lshl_add_u64 v[12:13], s[20:21], 0, v[12:13]
	s_lshl_b64 s[20:21], s[8:9], 5
	v_mad_u64_u32 v[14:15], s[8:9], s6, v22, 0
	s_load_dwordx2 s[14:15], s[0:1], 0x68
	v_mov_b32_e32 v16, v15
	v_subrev_co_u32_e32 v0, vcc, s10, v2
	v_mad_u64_u32 v[16:17], s[8:9], s7, v22, v[16:17]
	s_nop 0
	v_subbrev_co_u32_e32 v1, vcc, 0, v3, vcc
	v_mov_b32_e32 v15, v16
	v_lshlrev_b32_e32 v23, 5, v10
	v_subrev_co_u32_e32 v4, vcc, s10, v4
	v_lshl_add_u64 v[14:15], v[14:15], 3, s[22:23]
	v_cndmask_b32_e64 v16, 0, 1, s[26:27]
	v_cmp_gt_i32_e64 s[0:1], s11, v22
	v_lshl_or_b32 v24, v22, 3, v23
	v_cmp_eq_u32_e64 s[2:3], 0, v22
	v_xor_b32_e32 v2, 0x80000000, v7
	v_cmp_gt_u32_e64 s[4:5], 2, v22
	v_mov_b32_e32 v3, v6
	v_mov_b32_e32 v10, v8
	;; [unrolled: 1-line block ×4, first 2 shown]
	v_subbrev_co_u32_e32 v5, vcc, 0, v5, vcc
	v_lshl_add_u64 v[14:15], v[14:15], 0, 4
	s_lshl_b64 s[22:23], s[6:7], 5
	s_mov_b64 s[24:25], 0
	v_cmp_ne_u32_e64 s[6:7], 1, v16
	v_cmp_ne_u32_e64 s[8:9], 1, v18
	s_branch .LBB132_14
.LBB132_13:                             ;   in Loop: Header=BB132_14 Depth=1
	s_or_b64 exec, exec, s[26:27]
	v_lshl_add_u64 v[0:1], v[0:1], 0, 1
	v_cmp_ge_i64_e32 vcc, v[0:1], v[4:5]
	s_or_b64 s[24:25], vcc, s[24:25]
	s_andn2_b64 exec, exec, s[24:25]
	s_cbranch_execz .LBB132_32
.LBB132_14:                             ; =>This Loop Header: Depth=1
                                        ;     Child Loop BB132_24 Depth 2
	s_waitcnt lgkmcnt(0)
	v_lshl_add_u64 v[16:17], v[0:1], 2, s[14:15]
	global_load_dword v16, v[16:17], off
	s_mov_b64 s[26:27], -1
	s_and_b64 vcc, exec, s[16:17]
                                        ; implicit-def: $vgpr18_vgpr19
	s_waitcnt vmcnt(0)
	v_subrev_u32_e32 v16, s10, v16
	v_ashrrev_i32_e32 v17, 31, v16
	s_cbranch_vccnz .LBB132_17
; %bb.15:                               ;   in Loop: Header=BB132_14 Depth=1
	s_andn2_b64 vcc, exec, s[26:27]
	s_cbranch_vccz .LBB132_20
.LBB132_16:                             ;   in Loop: Header=BB132_14 Depth=1
	v_mov_b32_e32 v17, 0
	v_mov_b32_e32 v16, v17
	s_and_saveexec_b64 s[26:27], s[0:1]
	s_cbranch_execnz .LBB132_23
	s_branch .LBB132_26
.LBB132_17:                             ;   in Loop: Header=BB132_14 Depth=1
	s_and_b64 vcc, exec, s[6:7]
	v_mov_b64_e32 v[18:19], v[16:17]
	s_cbranch_vccnz .LBB132_19
; %bb.18:                               ;   in Loop: Header=BB132_14 Depth=1
	v_mul_lo_u32 v20, s13, v16
	v_mul_lo_u32 v21, s12, v17
	v_mad_u64_u32 v[18:19], s[26:27], s12, v16, 0
	v_add3_u32 v19, v19, v21, v20
.LBB132_19:                             ;   in Loop: Header=BB132_14 Depth=1
	s_cbranch_execnz .LBB132_16
.LBB132_20:                             ;   in Loop: Header=BB132_14 Depth=1
	s_and_b64 vcc, exec, s[8:9]
	s_cbranch_vccnz .LBB132_22
; %bb.21:                               ;   in Loop: Header=BB132_14 Depth=1
	v_mul_lo_u32 v18, s13, v16
	v_mul_lo_u32 v19, s12, v17
	v_mad_u64_u32 v[16:17], s[26:27], s12, v16, 0
	v_add3_u32 v17, v17, v19, v18
.LBB132_22:                             ;   in Loop: Header=BB132_14 Depth=1
	v_mov_b64_e32 v[18:19], v[16:17]
	v_mov_b32_e32 v17, 0
	v_mov_b32_e32 v16, v17
	s_and_saveexec_b64 s[26:27], s[0:1]
	s_cbranch_execz .LBB132_26
.LBB132_23:                             ;   in Loop: Header=BB132_14 Depth=1
	v_mov_b32_e32 v16, 0
	v_lshl_add_u64 v[18:19], v[18:19], 3, v[14:15]
	s_mov_b64 s[28:29], 0
	v_mov_b64_e32 v[20:21], v[12:13]
	v_mov_b32_e32 v25, v22
	v_mov_b32_e32 v17, v16
.LBB132_24:                             ;   Parent Loop BB132_14 Depth=1
                                        ; =>  This Inner Loop Header: Depth=2
	global_load_dwordx2 v[26:27], v[20:21], off
	global_load_dwordx2 v[28:29], v[18:19], off offset:-4
	v_add_u32_e32 v25, 4, v25
	v_cmp_le_i32_e32 vcc, s11, v25
	v_lshl_add_u64 v[20:21], v[20:21], 0, s[20:21]
	v_lshl_add_u64 v[18:19], v[18:19], 0, s[22:23]
	s_or_b64 s[28:29], vcc, s[28:29]
	s_waitcnt vmcnt(1)
	v_xor_b32_e32 v30, 0x80000000, v27
	v_mov_b32_e32 v31, v26
	s_waitcnt vmcnt(0)
	v_pk_mul_f32 v[30:31], v[28:29], v[30:31] op_sel:[1,0]
	s_nop 0
	v_pk_fma_f32 v[26:27], v[26:27], v[28:29], v[30:31] op_sel_hi:[1,0,1]
	s_nop 0
	v_pk_add_f32 v[16:17], v[16:17], v[26:27]
	s_andn2_b64 exec, exec, s[28:29]
	s_cbranch_execnz .LBB132_24
; %bb.25:                               ;   in Loop: Header=BB132_14 Depth=1
	s_or_b64 exec, exec, s[28:29]
.LBB132_26:                             ;   in Loop: Header=BB132_14 Depth=1
	s_or_b64 exec, exec, s[26:27]
	ds_write_b64 v24, v[16:17]
	s_waitcnt lgkmcnt(0)
	s_barrier
	s_and_saveexec_b64 s[26:27], s[4:5]
	s_cbranch_execz .LBB132_28
; %bb.27:                               ;   in Loop: Header=BB132_14 Depth=1
	ds_read2_b64 v[16:19], v24 offset1:2
	s_waitcnt lgkmcnt(0)
	v_pk_add_f32 v[16:17], v[18:19], v[16:17]
	ds_write_b64 v24, v[16:17]
.LBB132_28:                             ;   in Loop: Header=BB132_14 Depth=1
	s_or_b64 exec, exec, s[26:27]
	s_waitcnt lgkmcnt(0)
	s_barrier
	s_and_saveexec_b64 s[26:27], s[2:3]
	s_cbranch_execz .LBB132_30
; %bb.29:                               ;   in Loop: Header=BB132_14 Depth=1
	ds_read2_b64 v[16:19], v24 offset1:1
	s_waitcnt lgkmcnt(0)
	v_pk_add_f32 v[16:17], v[18:19], v[16:17]
	ds_write_b64 v24, v[16:17]
.LBB132_30:                             ;   in Loop: Header=BB132_14 Depth=1
	s_or_b64 exec, exec, s[26:27]
	s_waitcnt lgkmcnt(0)
	s_barrier
	s_and_saveexec_b64 s[26:27], s[2:3]
	s_cbranch_execz .LBB132_13
; %bb.31:                               ;   in Loop: Header=BB132_14 Depth=1
	v_lshl_add_u64 v[16:17], v[0:1], 3, s[18:19]
	global_load_dwordx2 v[18:19], v[16:17], off
	ds_read_b64 v[20:21], v23
	s_waitcnt lgkmcnt(0)
	v_pk_mul_f32 v[26:27], v[20:21], v[2:3] op_sel:[1,0]
	s_nop 0
	v_pk_fma_f32 v[20:21], v[6:7], v[20:21], v[26:27] op_sel_hi:[1,0,1]
	s_waitcnt vmcnt(0)
	v_pk_mul_f32 v[28:29], v[8:9], v[18:19] op_sel:[0,1] op_sel_hi:[1,0] neg_lo:[0,1]
	s_nop 0
	v_pk_fma_f32 v[18:19], v[18:19], v[10:11], v[28:29]
	s_nop 0
	v_pk_add_f32 v[18:19], v[20:21], v[18:19]
	global_store_dwordx2 v[16:17], v[18:19], off
	s_branch .LBB132_13
.LBB132_32:
	s_endpgm
	.section	.rodata,"a",@progbits
	.p2align	6, 0x0
	.amdhsa_kernel _ZN9rocsparseL16sddmm_csx_kernelILi512ELi4EL20rocsparse_direction_0E21rocsparse_complex_numIfEliS3_S3_S3_EEv20rocsparse_operation_S4_16rocsparse_order_S5_T4_S6_S6_T3_NS_24const_host_device_scalarIT2_EEPKT5_lPKT6_lSA_PT7_PKS7_PKS6_21rocsparse_index_base_b
		.amdhsa_group_segment_fixed_size 4096
		.amdhsa_private_segment_fixed_size 0
		.amdhsa_kernarg_size 120
		.amdhsa_user_sgpr_count 2
		.amdhsa_user_sgpr_dispatch_ptr 0
		.amdhsa_user_sgpr_queue_ptr 0
		.amdhsa_user_sgpr_kernarg_segment_ptr 1
		.amdhsa_user_sgpr_dispatch_id 0
		.amdhsa_user_sgpr_kernarg_preload_length 0
		.amdhsa_user_sgpr_kernarg_preload_offset 0
		.amdhsa_user_sgpr_private_segment_size 0
		.amdhsa_uses_dynamic_stack 0
		.amdhsa_enable_private_segment 0
		.amdhsa_system_sgpr_workgroup_id_x 1
		.amdhsa_system_sgpr_workgroup_id_y 0
		.amdhsa_system_sgpr_workgroup_id_z 0
		.amdhsa_system_sgpr_workgroup_info 0
		.amdhsa_system_vgpr_workitem_id 0
		.amdhsa_next_free_vgpr 32
		.amdhsa_next_free_sgpr 30
		.amdhsa_accum_offset 32
		.amdhsa_reserve_vcc 1
		.amdhsa_float_round_mode_32 0
		.amdhsa_float_round_mode_16_64 0
		.amdhsa_float_denorm_mode_32 3
		.amdhsa_float_denorm_mode_16_64 3
		.amdhsa_dx10_clamp 1
		.amdhsa_ieee_mode 1
		.amdhsa_fp16_overflow 0
		.amdhsa_tg_split 0
		.amdhsa_exception_fp_ieee_invalid_op 0
		.amdhsa_exception_fp_denorm_src 0
		.amdhsa_exception_fp_ieee_div_zero 0
		.amdhsa_exception_fp_ieee_overflow 0
		.amdhsa_exception_fp_ieee_underflow 0
		.amdhsa_exception_fp_ieee_inexact 0
		.amdhsa_exception_int_div_zero 0
	.end_amdhsa_kernel
	.section	.text._ZN9rocsparseL16sddmm_csx_kernelILi512ELi4EL20rocsparse_direction_0E21rocsparse_complex_numIfEliS3_S3_S3_EEv20rocsparse_operation_S4_16rocsparse_order_S5_T4_S6_S6_T3_NS_24const_host_device_scalarIT2_EEPKT5_lPKT6_lSA_PT7_PKS7_PKS6_21rocsparse_index_base_b,"axG",@progbits,_ZN9rocsparseL16sddmm_csx_kernelILi512ELi4EL20rocsparse_direction_0E21rocsparse_complex_numIfEliS3_S3_S3_EEv20rocsparse_operation_S4_16rocsparse_order_S5_T4_S6_S6_T3_NS_24const_host_device_scalarIT2_EEPKT5_lPKT6_lSA_PT7_PKS7_PKS6_21rocsparse_index_base_b,comdat
.Lfunc_end132:
	.size	_ZN9rocsparseL16sddmm_csx_kernelILi512ELi4EL20rocsparse_direction_0E21rocsparse_complex_numIfEliS3_S3_S3_EEv20rocsparse_operation_S4_16rocsparse_order_S5_T4_S6_S6_T3_NS_24const_host_device_scalarIT2_EEPKT5_lPKT6_lSA_PT7_PKS7_PKS6_21rocsparse_index_base_b, .Lfunc_end132-_ZN9rocsparseL16sddmm_csx_kernelILi512ELi4EL20rocsparse_direction_0E21rocsparse_complex_numIfEliS3_S3_S3_EEv20rocsparse_operation_S4_16rocsparse_order_S5_T4_S6_S6_T3_NS_24const_host_device_scalarIT2_EEPKT5_lPKT6_lSA_PT7_PKS7_PKS6_21rocsparse_index_base_b
                                        ; -- End function
	.set _ZN9rocsparseL16sddmm_csx_kernelILi512ELi4EL20rocsparse_direction_0E21rocsparse_complex_numIfEliS3_S3_S3_EEv20rocsparse_operation_S4_16rocsparse_order_S5_T4_S6_S6_T3_NS_24const_host_device_scalarIT2_EEPKT5_lPKT6_lSA_PT7_PKS7_PKS6_21rocsparse_index_base_b.num_vgpr, 32
	.set _ZN9rocsparseL16sddmm_csx_kernelILi512ELi4EL20rocsparse_direction_0E21rocsparse_complex_numIfEliS3_S3_S3_EEv20rocsparse_operation_S4_16rocsparse_order_S5_T4_S6_S6_T3_NS_24const_host_device_scalarIT2_EEPKT5_lPKT6_lSA_PT7_PKS7_PKS6_21rocsparse_index_base_b.num_agpr, 0
	.set _ZN9rocsparseL16sddmm_csx_kernelILi512ELi4EL20rocsparse_direction_0E21rocsparse_complex_numIfEliS3_S3_S3_EEv20rocsparse_operation_S4_16rocsparse_order_S5_T4_S6_S6_T3_NS_24const_host_device_scalarIT2_EEPKT5_lPKT6_lSA_PT7_PKS7_PKS6_21rocsparse_index_base_b.numbered_sgpr, 30
	.set _ZN9rocsparseL16sddmm_csx_kernelILi512ELi4EL20rocsparse_direction_0E21rocsparse_complex_numIfEliS3_S3_S3_EEv20rocsparse_operation_S4_16rocsparse_order_S5_T4_S6_S6_T3_NS_24const_host_device_scalarIT2_EEPKT5_lPKT6_lSA_PT7_PKS7_PKS6_21rocsparse_index_base_b.num_named_barrier, 0
	.set _ZN9rocsparseL16sddmm_csx_kernelILi512ELi4EL20rocsparse_direction_0E21rocsparse_complex_numIfEliS3_S3_S3_EEv20rocsparse_operation_S4_16rocsparse_order_S5_T4_S6_S6_T3_NS_24const_host_device_scalarIT2_EEPKT5_lPKT6_lSA_PT7_PKS7_PKS6_21rocsparse_index_base_b.private_seg_size, 0
	.set _ZN9rocsparseL16sddmm_csx_kernelILi512ELi4EL20rocsparse_direction_0E21rocsparse_complex_numIfEliS3_S3_S3_EEv20rocsparse_operation_S4_16rocsparse_order_S5_T4_S6_S6_T3_NS_24const_host_device_scalarIT2_EEPKT5_lPKT6_lSA_PT7_PKS7_PKS6_21rocsparse_index_base_b.uses_vcc, 1
	.set _ZN9rocsparseL16sddmm_csx_kernelILi512ELi4EL20rocsparse_direction_0E21rocsparse_complex_numIfEliS3_S3_S3_EEv20rocsparse_operation_S4_16rocsparse_order_S5_T4_S6_S6_T3_NS_24const_host_device_scalarIT2_EEPKT5_lPKT6_lSA_PT7_PKS7_PKS6_21rocsparse_index_base_b.uses_flat_scratch, 0
	.set _ZN9rocsparseL16sddmm_csx_kernelILi512ELi4EL20rocsparse_direction_0E21rocsparse_complex_numIfEliS3_S3_S3_EEv20rocsparse_operation_S4_16rocsparse_order_S5_T4_S6_S6_T3_NS_24const_host_device_scalarIT2_EEPKT5_lPKT6_lSA_PT7_PKS7_PKS6_21rocsparse_index_base_b.has_dyn_sized_stack, 0
	.set _ZN9rocsparseL16sddmm_csx_kernelILi512ELi4EL20rocsparse_direction_0E21rocsparse_complex_numIfEliS3_S3_S3_EEv20rocsparse_operation_S4_16rocsparse_order_S5_T4_S6_S6_T3_NS_24const_host_device_scalarIT2_EEPKT5_lPKT6_lSA_PT7_PKS7_PKS6_21rocsparse_index_base_b.has_recursion, 0
	.set _ZN9rocsparseL16sddmm_csx_kernelILi512ELi4EL20rocsparse_direction_0E21rocsparse_complex_numIfEliS3_S3_S3_EEv20rocsparse_operation_S4_16rocsparse_order_S5_T4_S6_S6_T3_NS_24const_host_device_scalarIT2_EEPKT5_lPKT6_lSA_PT7_PKS7_PKS6_21rocsparse_index_base_b.has_indirect_call, 0
	.section	.AMDGPU.csdata,"",@progbits
; Kernel info:
; codeLenInByte = 1272
; TotalNumSgprs: 36
; NumVgprs: 32
; NumAgprs: 0
; TotalNumVgprs: 32
; ScratchSize: 0
; MemoryBound: 0
; FloatMode: 240
; IeeeMode: 1
; LDSByteSize: 4096 bytes/workgroup (compile time only)
; SGPRBlocks: 4
; VGPRBlocks: 3
; NumSGPRsForWavesPerEU: 36
; NumVGPRsForWavesPerEU: 32
; AccumOffset: 32
; Occupancy: 8
; WaveLimiterHint : 0
; COMPUTE_PGM_RSRC2:SCRATCH_EN: 0
; COMPUTE_PGM_RSRC2:USER_SGPR: 2
; COMPUTE_PGM_RSRC2:TRAP_HANDLER: 0
; COMPUTE_PGM_RSRC2:TGID_X_EN: 1
; COMPUTE_PGM_RSRC2:TGID_Y_EN: 0
; COMPUTE_PGM_RSRC2:TGID_Z_EN: 0
; COMPUTE_PGM_RSRC2:TIDIG_COMP_CNT: 0
; COMPUTE_PGM_RSRC3_GFX90A:ACCUM_OFFSET: 7
; COMPUTE_PGM_RSRC3_GFX90A:TG_SPLIT: 0
	.section	.text._ZN9rocsparseL16sddmm_csx_kernelILi512ELi2EL20rocsparse_direction_0E21rocsparse_complex_numIfEliS3_S3_S3_EEv20rocsparse_operation_S4_16rocsparse_order_S5_T4_S6_S6_T3_NS_24const_host_device_scalarIT2_EEPKT5_lPKT6_lSA_PT7_PKS7_PKS6_21rocsparse_index_base_b,"axG",@progbits,_ZN9rocsparseL16sddmm_csx_kernelILi512ELi2EL20rocsparse_direction_0E21rocsparse_complex_numIfEliS3_S3_S3_EEv20rocsparse_operation_S4_16rocsparse_order_S5_T4_S6_S6_T3_NS_24const_host_device_scalarIT2_EEPKT5_lPKT6_lSA_PT7_PKS7_PKS6_21rocsparse_index_base_b,comdat
	.globl	_ZN9rocsparseL16sddmm_csx_kernelILi512ELi2EL20rocsparse_direction_0E21rocsparse_complex_numIfEliS3_S3_S3_EEv20rocsparse_operation_S4_16rocsparse_order_S5_T4_S6_S6_T3_NS_24const_host_device_scalarIT2_EEPKT5_lPKT6_lSA_PT7_PKS7_PKS6_21rocsparse_index_base_b ; -- Begin function _ZN9rocsparseL16sddmm_csx_kernelILi512ELi2EL20rocsparse_direction_0E21rocsparse_complex_numIfEliS3_S3_S3_EEv20rocsparse_operation_S4_16rocsparse_order_S5_T4_S6_S6_T3_NS_24const_host_device_scalarIT2_EEPKT5_lPKT6_lSA_PT7_PKS7_PKS6_21rocsparse_index_base_b
	.p2align	8
	.type	_ZN9rocsparseL16sddmm_csx_kernelILi512ELi2EL20rocsparse_direction_0E21rocsparse_complex_numIfEliS3_S3_S3_EEv20rocsparse_operation_S4_16rocsparse_order_S5_T4_S6_S6_T3_NS_24const_host_device_scalarIT2_EEPKT5_lPKT6_lSA_PT7_PKS7_PKS6_21rocsparse_index_base_b,@function
_ZN9rocsparseL16sddmm_csx_kernelILi512ELi2EL20rocsparse_direction_0E21rocsparse_complex_numIfEliS3_S3_S3_EEv20rocsparse_operation_S4_16rocsparse_order_S5_T4_S6_S6_T3_NS_24const_host_device_scalarIT2_EEPKT5_lPKT6_lSA_PT7_PKS7_PKS6_21rocsparse_index_base_b: ; @_ZN9rocsparseL16sddmm_csx_kernelILi512ELi2EL20rocsparse_direction_0E21rocsparse_complex_numIfEliS3_S3_S3_EEv20rocsparse_operation_S4_16rocsparse_order_S5_T4_S6_S6_T3_NS_24const_host_device_scalarIT2_EEPKT5_lPKT6_lSA_PT7_PKS7_PKS6_21rocsparse_index_base_b
; %bb.0:
	s_load_dwordx2 s[4:5], s[0:1], 0x28
	s_load_dwordx4 s[8:11], s[0:1], 0x48
	s_load_dwordx2 s[12:13], s[0:1], 0x70
	s_add_u32 s3, s0, 40
	s_addc_u32 s6, s1, 0
	s_add_u32 s7, s0, 0x50
	s_addc_u32 s14, s1, 0
	s_waitcnt lgkmcnt(0)
	s_bitcmp1_b32 s13, 0
	s_cselect_b32 s5, s6, s5
	s_cselect_b32 s3, s3, s4
	v_mov_b32_e32 v2, s3
	v_mov_b32_e32 v3, s5
	flat_load_dwordx2 v[6:7], v[2:3]
	s_cselect_b32 s3, s14, s11
	s_cselect_b32 s4, s7, s10
	v_mov_b32_e32 v2, s4
	v_mov_b32_e32 v3, s3
	flat_load_dwordx2 v[8:9], v[2:3]
	s_brev_b32 s3, -2
	s_mov_b64 s[4:5], -1
	s_waitcnt vmcnt(0) lgkmcnt(0)
	v_bitop3_b32 v1, v6, s3, v7 bitop3:0xc8
	v_cmp_eq_u32_e32 vcc, 0, v1
	s_and_saveexec_b64 s[6:7], vcc
; %bb.1:
	v_cmp_neq_f32_e32 vcc, 1.0, v8
	v_cmp_neq_f32_e64 s[4:5], 0, v9
	s_or_b64 s[4:5], vcc, s[4:5]
	s_orn2_b64 s[4:5], s[4:5], exec
; %bb.2:
	s_or_b64 exec, exec, s[6:7]
	s_and_saveexec_b64 s[6:7], s[4:5]
	s_cbranch_execz .LBB133_30
; %bb.3:
	s_load_dword s4, s[0:1], 0x10
	v_lshrrev_b32_e32 v10, 1, v0
	v_lshl_or_b32 v2, s2, 8, v10
	v_mov_b32_e32 v3, 0
	s_waitcnt lgkmcnt(0)
	s_ashr_i32 s5, s4, 31
	v_cmp_gt_i64_e32 vcc, s[4:5], v[2:3]
	s_and_b64 exec, exec, vcc
	s_cbranch_execz .LBB133_30
; %bb.4:
	s_load_dwordx4 s[4:7], s[0:1], 0x0
	s_load_dwordx2 s[10:11], s[0:1], 0x60
	s_load_dwordx2 s[2:3], s[0:1], 0x38
	s_waitcnt lgkmcnt(0)
	s_cmp_eq_u32 s6, 1
	s_cselect_b64 s[14:15], -1, 0
	s_cmpk_eq_i32 s4, 0x6f
	s_cselect_b64 s[16:17], -1, 0
	s_cmpk_lg_i32 s4, 0x6f
	s_cselect_b64 s[18:19], -1, 0
	s_cmp_lg_u32 s6, 1
	s_cbranch_scc0 .LBB133_8
; %bb.5:
	s_andn2_b64 vcc, exec, s[16:17]
	v_mov_b64_e32 v[12:13], v[2:3]
	s_cbranch_vccnz .LBB133_7
; %bb.6:
	v_mad_u64_u32 v[12:13], s[20:21], s2, v2, 0
	v_mov_b32_e32 v4, v13
	v_mad_u64_u32 v[4:5], s[20:21], s3, v2, v[4:5]
	v_mov_b32_e32 v13, v4
.LBB133_7:
	s_cbranch_execz .LBB133_9
	s_branch .LBB133_11
.LBB133_8:
                                        ; implicit-def: $vgpr12_vgpr13
.LBB133_9:
	s_andn2_b64 vcc, exec, s[18:19]
	v_mov_b64_e32 v[12:13], v[2:3]
	s_cbranch_vccnz .LBB133_11
; %bb.10:
	v_mad_u64_u32 v[12:13], s[18:19], s2, v2, 0
	v_mov_b32_e32 v4, v13
	v_mad_u64_u32 v[4:5], s[18:19], s3, v2, v[4:5]
	v_mov_b32_e32 v13, v4
.LBB133_11:
	v_lshl_add_u64 v[2:3], v[2:3], 3, s[10:11]
	global_load_dwordx4 v[2:5], v[2:3], off
	s_waitcnt vmcnt(0)
	v_cmp_lt_i64_e32 vcc, v[2:3], v[4:5]
	s_and_b64 exec, exec, vcc
	s_cbranch_execz .LBB133_30
; %bb.12:
	s_xor_b64 s[14:15], s[16:17], s[14:15]
	s_and_b64 s[14:15], s[14:15], exec
	s_cselect_b32 s19, 0, s3
	s_cselect_b32 s18, 1, s2
	s_cmp_lg_u32 s7, 1
	s_cselect_b64 s[14:15], -1, 0
	s_cmp_eq_u32 s7, 1
	s_cselect_b64 s[2:3], -1, 0
	s_cmpk_eq_i32 s5, 0x6f
	s_cselect_b64 s[6:7], -1, 0
	s_cmpk_lg_i32 s5, 0x6f
	s_cselect_b64 s[4:5], -1, 0
	s_xor_b64 s[2:3], s[6:7], s[2:3]
	s_load_dwordx2 s[20:21], s[0:1], 0x40
	s_load_dwordx2 s[16:17], s[0:1], 0x58
	s_load_dwordx2 s[22:23], s[0:1], 0x30
	s_load_dword s13, s[0:1], 0x18
	s_load_dwordx2 s[10:11], s[0:1], 0x68
	s_and_b64 s[2:3], s[2:3], exec
	v_and_b32_e32 v22, 1, v0
	v_cndmask_b32_e64 v16, 0, 1, s[6:7]
	s_cselect_b32 s7, s9, 0
	s_cselect_b32 s6, s8, 1
	v_subrev_co_u32_e32 v0, vcc, s12, v2
	v_mul_lo_u32 v15, s19, v22
	v_mul_lo_u32 v14, s18, v22
	v_lshlrev_b64 v[12:13], 3, v[12:13]
	v_subbrev_co_u32_e32 v1, vcc, 0, v3, vcc
	v_lshl_add_u64 v[12:13], v[14:15], 3, v[12:13]
	v_mul_lo_u32 v15, s7, v22
	v_mul_lo_u32 v14, s6, v22
	v_lshlrev_b32_e32 v23, 4, v10
	v_subrev_co_u32_e32 v4, vcc, s12, v4
	s_waitcnt lgkmcnt(0)
	v_lshl_add_u64 v[14:15], v[14:15], 3, s[20:21]
	v_cndmask_b32_e64 v17, 0, 1, s[4:5]
	v_cmp_gt_i32_e64 s[0:1], s13, v22
	v_lshl_or_b32 v24, v22, 3, v23
	v_cmp_eq_u32_e64 s[2:3], 0, v22
	v_xor_b32_e32 v2, 0x80000000, v7
	v_mov_b32_e32 v3, v6
	v_mov_b32_e32 v10, v8
	;; [unrolled: 1-line block ×4, first 2 shown]
	v_subbrev_co_u32_e32 v5, vcc, 0, v5, vcc
	v_lshl_add_u64 v[12:13], s[22:23], 0, v[12:13]
	s_lshl_b64 s[18:19], s[18:19], 4
	v_lshl_add_u64 v[14:15], v[14:15], 0, 4
	s_lshl_b64 s[20:21], s[6:7], 4
	s_mov_b64 s[22:23], 0
	v_cmp_ne_u32_e64 s[4:5], 1, v17
	v_cmp_ne_u32_e64 s[6:7], 1, v16
	s_branch .LBB133_14
.LBB133_13:                             ;   in Loop: Header=BB133_14 Depth=1
	s_or_b64 exec, exec, s[24:25]
	v_lshl_add_u64 v[0:1], v[0:1], 0, 1
	v_cmp_ge_i64_e32 vcc, v[0:1], v[4:5]
	s_or_b64 s[22:23], vcc, s[22:23]
	s_andn2_b64 exec, exec, s[22:23]
	s_cbranch_execz .LBB133_30
.LBB133_14:                             ; =>This Loop Header: Depth=1
                                        ;     Child Loop BB133_24 Depth 2
	v_lshl_add_u64 v[16:17], v[0:1], 2, s[10:11]
	global_load_dword v16, v[16:17], off
	s_mov_b64 s[24:25], -1
	s_and_b64 vcc, exec, s[14:15]
                                        ; implicit-def: $vgpr18_vgpr19
	s_waitcnt vmcnt(0)
	v_subrev_u32_e32 v16, s12, v16
	v_ashrrev_i32_e32 v17, 31, v16
	s_cbranch_vccnz .LBB133_17
; %bb.15:                               ;   in Loop: Header=BB133_14 Depth=1
	s_andn2_b64 vcc, exec, s[24:25]
	s_cbranch_vccz .LBB133_20
.LBB133_16:                             ;   in Loop: Header=BB133_14 Depth=1
	v_mov_b32_e32 v17, 0
	v_mov_b32_e32 v16, v17
	s_and_saveexec_b64 s[24:25], s[0:1]
	s_cbranch_execnz .LBB133_23
	s_branch .LBB133_26
.LBB133_17:                             ;   in Loop: Header=BB133_14 Depth=1
	s_and_b64 vcc, exec, s[4:5]
	v_mov_b64_e32 v[18:19], v[16:17]
	s_cbranch_vccnz .LBB133_19
; %bb.18:                               ;   in Loop: Header=BB133_14 Depth=1
	v_mul_lo_u32 v20, s9, v16
	v_mul_lo_u32 v21, s8, v17
	v_mad_u64_u32 v[18:19], s[24:25], s8, v16, 0
	v_add3_u32 v19, v19, v21, v20
.LBB133_19:                             ;   in Loop: Header=BB133_14 Depth=1
	s_cbranch_execnz .LBB133_16
.LBB133_20:                             ;   in Loop: Header=BB133_14 Depth=1
	s_and_b64 vcc, exec, s[6:7]
	s_cbranch_vccnz .LBB133_22
; %bb.21:                               ;   in Loop: Header=BB133_14 Depth=1
	v_mul_lo_u32 v18, s9, v16
	v_mul_lo_u32 v19, s8, v17
	v_mad_u64_u32 v[16:17], s[24:25], s8, v16, 0
	v_add3_u32 v17, v17, v19, v18
.LBB133_22:                             ;   in Loop: Header=BB133_14 Depth=1
	v_mov_b64_e32 v[18:19], v[16:17]
	v_mov_b32_e32 v17, 0
	v_mov_b32_e32 v16, v17
	s_and_saveexec_b64 s[24:25], s[0:1]
	s_cbranch_execz .LBB133_26
.LBB133_23:                             ;   in Loop: Header=BB133_14 Depth=1
	v_mov_b32_e32 v16, 0
	v_lshl_add_u64 v[18:19], v[18:19], 3, v[14:15]
	s_mov_b64 s[26:27], 0
	v_mov_b64_e32 v[20:21], v[12:13]
	v_mov_b32_e32 v25, v22
	v_mov_b32_e32 v17, v16
.LBB133_24:                             ;   Parent Loop BB133_14 Depth=1
                                        ; =>  This Inner Loop Header: Depth=2
	global_load_dwordx2 v[26:27], v[20:21], off
	global_load_dwordx2 v[28:29], v[18:19], off offset:-4
	v_add_u32_e32 v25, 2, v25
	v_cmp_le_i32_e32 vcc, s13, v25
	v_lshl_add_u64 v[20:21], v[20:21], 0, s[18:19]
	v_lshl_add_u64 v[18:19], v[18:19], 0, s[20:21]
	s_or_b64 s[26:27], vcc, s[26:27]
	s_waitcnt vmcnt(1)
	v_xor_b32_e32 v30, 0x80000000, v27
	v_mov_b32_e32 v31, v26
	s_waitcnt vmcnt(0)
	v_pk_mul_f32 v[30:31], v[28:29], v[30:31] op_sel:[1,0]
	s_nop 0
	v_pk_fma_f32 v[26:27], v[26:27], v[28:29], v[30:31] op_sel_hi:[1,0,1]
	s_nop 0
	v_pk_add_f32 v[16:17], v[16:17], v[26:27]
	s_andn2_b64 exec, exec, s[26:27]
	s_cbranch_execnz .LBB133_24
; %bb.25:                               ;   in Loop: Header=BB133_14 Depth=1
	s_or_b64 exec, exec, s[26:27]
.LBB133_26:                             ;   in Loop: Header=BB133_14 Depth=1
	s_or_b64 exec, exec, s[24:25]
	ds_write_b64 v24, v[16:17]
	s_waitcnt lgkmcnt(0)
	s_barrier
	s_and_saveexec_b64 s[24:25], s[2:3]
	s_cbranch_execz .LBB133_28
; %bb.27:                               ;   in Loop: Header=BB133_14 Depth=1
	ds_read_b64 v[16:17], v23 offset:8
	ds_read_b64 v[18:19], v24
	s_waitcnt lgkmcnt(0)
	v_pk_add_f32 v[16:17], v[16:17], v[18:19]
	ds_write_b64 v24, v[16:17]
.LBB133_28:                             ;   in Loop: Header=BB133_14 Depth=1
	s_or_b64 exec, exec, s[24:25]
	s_waitcnt lgkmcnt(0)
	s_barrier
	s_and_saveexec_b64 s[24:25], s[2:3]
	s_cbranch_execz .LBB133_13
; %bb.29:                               ;   in Loop: Header=BB133_14 Depth=1
	v_lshl_add_u64 v[16:17], v[0:1], 3, s[16:17]
	global_load_dwordx2 v[18:19], v[16:17], off
	ds_read_b64 v[20:21], v23
	s_waitcnt lgkmcnt(0)
	v_pk_mul_f32 v[26:27], v[20:21], v[2:3] op_sel:[1,0]
	s_nop 0
	v_pk_fma_f32 v[20:21], v[6:7], v[20:21], v[26:27] op_sel_hi:[1,0,1]
	s_waitcnt vmcnt(0)
	v_pk_mul_f32 v[28:29], v[8:9], v[18:19] op_sel:[0,1] op_sel_hi:[1,0] neg_lo:[0,1]
	s_nop 0
	v_pk_fma_f32 v[18:19], v[18:19], v[10:11], v[28:29]
	s_nop 0
	v_pk_add_f32 v[18:19], v[20:21], v[18:19]
	global_store_dwordx2 v[16:17], v[18:19], off
	s_branch .LBB133_13
.LBB133_30:
	s_endpgm
	.section	.rodata,"a",@progbits
	.p2align	6, 0x0
	.amdhsa_kernel _ZN9rocsparseL16sddmm_csx_kernelILi512ELi2EL20rocsparse_direction_0E21rocsparse_complex_numIfEliS3_S3_S3_EEv20rocsparse_operation_S4_16rocsparse_order_S5_T4_S6_S6_T3_NS_24const_host_device_scalarIT2_EEPKT5_lPKT6_lSA_PT7_PKS7_PKS6_21rocsparse_index_base_b
		.amdhsa_group_segment_fixed_size 4096
		.amdhsa_private_segment_fixed_size 0
		.amdhsa_kernarg_size 120
		.amdhsa_user_sgpr_count 2
		.amdhsa_user_sgpr_dispatch_ptr 0
		.amdhsa_user_sgpr_queue_ptr 0
		.amdhsa_user_sgpr_kernarg_segment_ptr 1
		.amdhsa_user_sgpr_dispatch_id 0
		.amdhsa_user_sgpr_kernarg_preload_length 0
		.amdhsa_user_sgpr_kernarg_preload_offset 0
		.amdhsa_user_sgpr_private_segment_size 0
		.amdhsa_uses_dynamic_stack 0
		.amdhsa_enable_private_segment 0
		.amdhsa_system_sgpr_workgroup_id_x 1
		.amdhsa_system_sgpr_workgroup_id_y 0
		.amdhsa_system_sgpr_workgroup_id_z 0
		.amdhsa_system_sgpr_workgroup_info 0
		.amdhsa_system_vgpr_workitem_id 0
		.amdhsa_next_free_vgpr 32
		.amdhsa_next_free_sgpr 28
		.amdhsa_accum_offset 32
		.amdhsa_reserve_vcc 1
		.amdhsa_float_round_mode_32 0
		.amdhsa_float_round_mode_16_64 0
		.amdhsa_float_denorm_mode_32 3
		.amdhsa_float_denorm_mode_16_64 3
		.amdhsa_dx10_clamp 1
		.amdhsa_ieee_mode 1
		.amdhsa_fp16_overflow 0
		.amdhsa_tg_split 0
		.amdhsa_exception_fp_ieee_invalid_op 0
		.amdhsa_exception_fp_denorm_src 0
		.amdhsa_exception_fp_ieee_div_zero 0
		.amdhsa_exception_fp_ieee_overflow 0
		.amdhsa_exception_fp_ieee_underflow 0
		.amdhsa_exception_fp_ieee_inexact 0
		.amdhsa_exception_int_div_zero 0
	.end_amdhsa_kernel
	.section	.text._ZN9rocsparseL16sddmm_csx_kernelILi512ELi2EL20rocsparse_direction_0E21rocsparse_complex_numIfEliS3_S3_S3_EEv20rocsparse_operation_S4_16rocsparse_order_S5_T4_S6_S6_T3_NS_24const_host_device_scalarIT2_EEPKT5_lPKT6_lSA_PT7_PKS7_PKS6_21rocsparse_index_base_b,"axG",@progbits,_ZN9rocsparseL16sddmm_csx_kernelILi512ELi2EL20rocsparse_direction_0E21rocsparse_complex_numIfEliS3_S3_S3_EEv20rocsparse_operation_S4_16rocsparse_order_S5_T4_S6_S6_T3_NS_24const_host_device_scalarIT2_EEPKT5_lPKT6_lSA_PT7_PKS7_PKS6_21rocsparse_index_base_b,comdat
.Lfunc_end133:
	.size	_ZN9rocsparseL16sddmm_csx_kernelILi512ELi2EL20rocsparse_direction_0E21rocsparse_complex_numIfEliS3_S3_S3_EEv20rocsparse_operation_S4_16rocsparse_order_S5_T4_S6_S6_T3_NS_24const_host_device_scalarIT2_EEPKT5_lPKT6_lSA_PT7_PKS7_PKS6_21rocsparse_index_base_b, .Lfunc_end133-_ZN9rocsparseL16sddmm_csx_kernelILi512ELi2EL20rocsparse_direction_0E21rocsparse_complex_numIfEliS3_S3_S3_EEv20rocsparse_operation_S4_16rocsparse_order_S5_T4_S6_S6_T3_NS_24const_host_device_scalarIT2_EEPKT5_lPKT6_lSA_PT7_PKS7_PKS6_21rocsparse_index_base_b
                                        ; -- End function
	.set _ZN9rocsparseL16sddmm_csx_kernelILi512ELi2EL20rocsparse_direction_0E21rocsparse_complex_numIfEliS3_S3_S3_EEv20rocsparse_operation_S4_16rocsparse_order_S5_T4_S6_S6_T3_NS_24const_host_device_scalarIT2_EEPKT5_lPKT6_lSA_PT7_PKS7_PKS6_21rocsparse_index_base_b.num_vgpr, 32
	.set _ZN9rocsparseL16sddmm_csx_kernelILi512ELi2EL20rocsparse_direction_0E21rocsparse_complex_numIfEliS3_S3_S3_EEv20rocsparse_operation_S4_16rocsparse_order_S5_T4_S6_S6_T3_NS_24const_host_device_scalarIT2_EEPKT5_lPKT6_lSA_PT7_PKS7_PKS6_21rocsparse_index_base_b.num_agpr, 0
	.set _ZN9rocsparseL16sddmm_csx_kernelILi512ELi2EL20rocsparse_direction_0E21rocsparse_complex_numIfEliS3_S3_S3_EEv20rocsparse_operation_S4_16rocsparse_order_S5_T4_S6_S6_T3_NS_24const_host_device_scalarIT2_EEPKT5_lPKT6_lSA_PT7_PKS7_PKS6_21rocsparse_index_base_b.numbered_sgpr, 28
	.set _ZN9rocsparseL16sddmm_csx_kernelILi512ELi2EL20rocsparse_direction_0E21rocsparse_complex_numIfEliS3_S3_S3_EEv20rocsparse_operation_S4_16rocsparse_order_S5_T4_S6_S6_T3_NS_24const_host_device_scalarIT2_EEPKT5_lPKT6_lSA_PT7_PKS7_PKS6_21rocsparse_index_base_b.num_named_barrier, 0
	.set _ZN9rocsparseL16sddmm_csx_kernelILi512ELi2EL20rocsparse_direction_0E21rocsparse_complex_numIfEliS3_S3_S3_EEv20rocsparse_operation_S4_16rocsparse_order_S5_T4_S6_S6_T3_NS_24const_host_device_scalarIT2_EEPKT5_lPKT6_lSA_PT7_PKS7_PKS6_21rocsparse_index_base_b.private_seg_size, 0
	.set _ZN9rocsparseL16sddmm_csx_kernelILi512ELi2EL20rocsparse_direction_0E21rocsparse_complex_numIfEliS3_S3_S3_EEv20rocsparse_operation_S4_16rocsparse_order_S5_T4_S6_S6_T3_NS_24const_host_device_scalarIT2_EEPKT5_lPKT6_lSA_PT7_PKS7_PKS6_21rocsparse_index_base_b.uses_vcc, 1
	.set _ZN9rocsparseL16sddmm_csx_kernelILi512ELi2EL20rocsparse_direction_0E21rocsparse_complex_numIfEliS3_S3_S3_EEv20rocsparse_operation_S4_16rocsparse_order_S5_T4_S6_S6_T3_NS_24const_host_device_scalarIT2_EEPKT5_lPKT6_lSA_PT7_PKS7_PKS6_21rocsparse_index_base_b.uses_flat_scratch, 0
	.set _ZN9rocsparseL16sddmm_csx_kernelILi512ELi2EL20rocsparse_direction_0E21rocsparse_complex_numIfEliS3_S3_S3_EEv20rocsparse_operation_S4_16rocsparse_order_S5_T4_S6_S6_T3_NS_24const_host_device_scalarIT2_EEPKT5_lPKT6_lSA_PT7_PKS7_PKS6_21rocsparse_index_base_b.has_dyn_sized_stack, 0
	.set _ZN9rocsparseL16sddmm_csx_kernelILi512ELi2EL20rocsparse_direction_0E21rocsparse_complex_numIfEliS3_S3_S3_EEv20rocsparse_operation_S4_16rocsparse_order_S5_T4_S6_S6_T3_NS_24const_host_device_scalarIT2_EEPKT5_lPKT6_lSA_PT7_PKS7_PKS6_21rocsparse_index_base_b.has_recursion, 0
	.set _ZN9rocsparseL16sddmm_csx_kernelILi512ELi2EL20rocsparse_direction_0E21rocsparse_complex_numIfEliS3_S3_S3_EEv20rocsparse_operation_S4_16rocsparse_order_S5_T4_S6_S6_T3_NS_24const_host_device_scalarIT2_EEPKT5_lPKT6_lSA_PT7_PKS7_PKS6_21rocsparse_index_base_b.has_indirect_call, 0
	.section	.AMDGPU.csdata,"",@progbits
; Kernel info:
; codeLenInByte = 1200
; TotalNumSgprs: 34
; NumVgprs: 32
; NumAgprs: 0
; TotalNumVgprs: 32
; ScratchSize: 0
; MemoryBound: 0
; FloatMode: 240
; IeeeMode: 1
; LDSByteSize: 4096 bytes/workgroup (compile time only)
; SGPRBlocks: 4
; VGPRBlocks: 3
; NumSGPRsForWavesPerEU: 34
; NumVGPRsForWavesPerEU: 32
; AccumOffset: 32
; Occupancy: 8
; WaveLimiterHint : 0
; COMPUTE_PGM_RSRC2:SCRATCH_EN: 0
; COMPUTE_PGM_RSRC2:USER_SGPR: 2
; COMPUTE_PGM_RSRC2:TRAP_HANDLER: 0
; COMPUTE_PGM_RSRC2:TGID_X_EN: 1
; COMPUTE_PGM_RSRC2:TGID_Y_EN: 0
; COMPUTE_PGM_RSRC2:TGID_Z_EN: 0
; COMPUTE_PGM_RSRC2:TIDIG_COMP_CNT: 0
; COMPUTE_PGM_RSRC3_GFX90A:ACCUM_OFFSET: 7
; COMPUTE_PGM_RSRC3_GFX90A:TG_SPLIT: 0
	.section	.text._ZN9rocsparseL16sddmm_csx_kernelILi512ELi1EL20rocsparse_direction_0E21rocsparse_complex_numIfEliS3_S3_S3_EEv20rocsparse_operation_S4_16rocsparse_order_S5_T4_S6_S6_T3_NS_24const_host_device_scalarIT2_EEPKT5_lPKT6_lSA_PT7_PKS7_PKS6_21rocsparse_index_base_b,"axG",@progbits,_ZN9rocsparseL16sddmm_csx_kernelILi512ELi1EL20rocsparse_direction_0E21rocsparse_complex_numIfEliS3_S3_S3_EEv20rocsparse_operation_S4_16rocsparse_order_S5_T4_S6_S6_T3_NS_24const_host_device_scalarIT2_EEPKT5_lPKT6_lSA_PT7_PKS7_PKS6_21rocsparse_index_base_b,comdat
	.globl	_ZN9rocsparseL16sddmm_csx_kernelILi512ELi1EL20rocsparse_direction_0E21rocsparse_complex_numIfEliS3_S3_S3_EEv20rocsparse_operation_S4_16rocsparse_order_S5_T4_S6_S6_T3_NS_24const_host_device_scalarIT2_EEPKT5_lPKT6_lSA_PT7_PKS7_PKS6_21rocsparse_index_base_b ; -- Begin function _ZN9rocsparseL16sddmm_csx_kernelILi512ELi1EL20rocsparse_direction_0E21rocsparse_complex_numIfEliS3_S3_S3_EEv20rocsparse_operation_S4_16rocsparse_order_S5_T4_S6_S6_T3_NS_24const_host_device_scalarIT2_EEPKT5_lPKT6_lSA_PT7_PKS7_PKS6_21rocsparse_index_base_b
	.p2align	8
	.type	_ZN9rocsparseL16sddmm_csx_kernelILi512ELi1EL20rocsparse_direction_0E21rocsparse_complex_numIfEliS3_S3_S3_EEv20rocsparse_operation_S4_16rocsparse_order_S5_T4_S6_S6_T3_NS_24const_host_device_scalarIT2_EEPKT5_lPKT6_lSA_PT7_PKS7_PKS6_21rocsparse_index_base_b,@function
_ZN9rocsparseL16sddmm_csx_kernelILi512ELi1EL20rocsparse_direction_0E21rocsparse_complex_numIfEliS3_S3_S3_EEv20rocsparse_operation_S4_16rocsparse_order_S5_T4_S6_S6_T3_NS_24const_host_device_scalarIT2_EEPKT5_lPKT6_lSA_PT7_PKS7_PKS6_21rocsparse_index_base_b: ; @_ZN9rocsparseL16sddmm_csx_kernelILi512ELi1EL20rocsparse_direction_0E21rocsparse_complex_numIfEliS3_S3_S3_EEv20rocsparse_operation_S4_16rocsparse_order_S5_T4_S6_S6_T3_NS_24const_host_device_scalarIT2_EEPKT5_lPKT6_lSA_PT7_PKS7_PKS6_21rocsparse_index_base_b
; %bb.0:
	s_load_dwordx2 s[4:5], s[0:1], 0x28
	s_load_dwordx4 s[8:11], s[0:1], 0x48
	s_load_dwordx2 s[12:13], s[0:1], 0x70
	s_add_u32 s3, s0, 40
	s_addc_u32 s6, s1, 0
	s_add_u32 s7, s0, 0x50
	s_addc_u32 s14, s1, 0
	s_waitcnt lgkmcnt(0)
	s_bitcmp1_b32 s13, 0
	s_cselect_b32 s5, s6, s5
	s_cselect_b32 s3, s3, s4
	v_mov_b32_e32 v2, s3
	v_mov_b32_e32 v3, s5
	flat_load_dwordx2 v[6:7], v[2:3]
	s_cselect_b32 s3, s14, s11
	s_cselect_b32 s4, s7, s10
	v_mov_b32_e32 v2, s4
	v_mov_b32_e32 v3, s3
	flat_load_dwordx2 v[8:9], v[2:3]
	s_brev_b32 s3, -2
	s_mov_b64 s[4:5], -1
	s_waitcnt vmcnt(0) lgkmcnt(0)
	v_bitop3_b32 v1, v6, s3, v7 bitop3:0xc8
	v_cmp_eq_u32_e32 vcc, 0, v1
	s_and_saveexec_b64 s[6:7], vcc
; %bb.1:
	v_cmp_neq_f32_e32 vcc, 1.0, v8
	v_cmp_neq_f32_e64 s[4:5], 0, v9
	s_or_b64 s[4:5], vcc, s[4:5]
	s_orn2_b64 s[4:5], s[4:5], exec
; %bb.2:
	s_or_b64 exec, exec, s[6:7]
	s_and_saveexec_b64 s[6:7], s[4:5]
	s_cbranch_execz .LBB134_26
; %bb.3:
	s_load_dword s4, s[0:1], 0x10
	v_lshl_or_b32 v2, s2, 9, v0
	v_mov_b32_e32 v3, 0
	s_waitcnt lgkmcnt(0)
	s_ashr_i32 s5, s4, 31
	v_cmp_gt_i64_e32 vcc, s[4:5], v[2:3]
	s_and_b64 exec, exec, vcc
	s_cbranch_execz .LBB134_26
; %bb.4:
	s_load_dwordx4 s[4:7], s[0:1], 0x0
	s_load_dwordx2 s[10:11], s[0:1], 0x60
	s_load_dwordx2 s[2:3], s[0:1], 0x38
	s_waitcnt lgkmcnt(0)
	s_cmp_eq_u32 s6, 1
	s_cselect_b64 s[16:17], -1, 0
	s_cmpk_eq_i32 s4, 0x6f
	s_cselect_b64 s[18:19], -1, 0
	s_cmpk_lg_i32 s4, 0x6f
	s_cselect_b64 s[14:15], -1, 0
	s_cmp_lg_u32 s6, 1
	s_cbranch_scc0 .LBB134_8
; %bb.5:
	s_andn2_b64 vcc, exec, s[18:19]
	v_mov_b64_e32 v[10:11], v[2:3]
	s_cbranch_vccnz .LBB134_7
; %bb.6:
	v_mad_u64_u32 v[10:11], s[20:21], s2, v2, 0
	v_mov_b32_e32 v4, v11
	v_mad_u64_u32 v[4:5], s[20:21], s3, v2, v[4:5]
	v_mov_b32_e32 v11, v4
.LBB134_7:
	s_cbranch_execz .LBB134_9
	s_branch .LBB134_11
.LBB134_8:
                                        ; implicit-def: $vgpr10_vgpr11
.LBB134_9:
	s_andn2_b64 vcc, exec, s[14:15]
	v_mov_b64_e32 v[10:11], v[2:3]
	s_cbranch_vccnz .LBB134_11
; %bb.10:
	v_mad_u64_u32 v[10:11], s[14:15], s2, v2, 0
	v_mov_b32_e32 v4, v11
	v_mad_u64_u32 v[4:5], s[14:15], s3, v2, v[4:5]
	v_mov_b32_e32 v11, v4
.LBB134_11:
	v_lshl_add_u64 v[2:3], v[2:3], 3, s[10:11]
	global_load_dwordx4 v[2:5], v[2:3], off
	s_waitcnt vmcnt(0)
	v_cmp_lt_i64_e32 vcc, v[2:3], v[4:5]
	s_and_b64 exec, exec, vcc
	s_cbranch_execz .LBB134_26
; %bb.12:
	s_load_dwordx2 s[20:21], s[0:1], 0x30
	s_load_dwordx2 s[10:11], s[0:1], 0x68
	;; [unrolled: 1-line block ×4, first 2 shown]
	s_load_dword s13, s[0:1], 0x18
	s_xor_b64 s[0:1], s[18:19], s[16:17]
	s_and_b64 s[0:1], s[0:1], exec
	s_cselect_b32 s1, 0, s3
	s_cselect_b32 s0, 1, s2
	s_cmp_lg_u32 s7, 1
	s_cselect_b64 s[16:17], -1, 0
	s_cmp_eq_u32 s7, 1
	s_cselect_b64 s[2:3], -1, 0
	s_cmpk_eq_i32 s5, 0x6f
	s_cselect_b64 s[6:7], -1, 0
	s_cmpk_lg_i32 s5, 0x6f
	s_cselect_b64 s[4:5], -1, 0
	s_xor_b64 s[2:3], s[6:7], s[2:3]
	s_and_b64 s[2:3], s[2:3], exec
	s_cselect_b32 s3, s9, 0
	s_cselect_b32 s2, s8, 1
	v_subrev_co_u32_e32 v2, vcc, s12, v2
	s_waitcnt lgkmcnt(0)
	s_cmp_gt_i32 s13, 0
	v_cndmask_b32_e64 v14, 0, 1, s[6:7]
	v_subbrev_co_u32_e32 v3, vcc, 0, v3, vcc
	s_cselect_b64 s[24:25], -1, 0
	s_lshl_b64 s[6:7], s[0:1], 3
	v_cndmask_b32_e64 v15, 0, 1, s[4:5]
	v_subrev_co_u32_e32 v4, vcc, s12, v4
	s_add_u32 s18, s22, 4
	v_cmp_ne_u32_e64 s[0:1], 1, v15
	v_cndmask_b32_e64 v15, 0, 1, s[24:25]
	v_lshl_add_u64 v[10:11], v[10:11], 3, s[20:21]
	v_lshlrev_b32_e32 v20, 3, v0
	v_xor_b32_e32 v0, 0x80000000, v7
	v_mov_b32_e32 v1, v6
	v_mov_b32_e32 v12, v8
	;; [unrolled: 1-line block ×4, first 2 shown]
	v_subbrev_co_u32_e32 v5, vcc, 0, v5, vcc
	s_addc_u32 s19, s23, 0
	s_lshl_b64 s[20:21], s[2:3], 3
	s_mov_b64 s[22:23], 0
	v_cmp_ne_u32_e64 s[2:3], 1, v14
	v_cmp_ne_u32_e64 s[4:5], 1, v15
	s_branch .LBB134_15
.LBB134_13:                             ;   in Loop: Header=BB134_15 Depth=1
	v_mov_b32_e32 v15, 0
	v_mov_b32_e32 v14, v15
.LBB134_14:                             ;   in Loop: Header=BB134_15 Depth=1
	ds_write_b64 v20, v[14:15]
	v_lshl_add_u64 v[14:15], v[2:3], 3, s[14:15]
	s_waitcnt lgkmcnt(0)
	s_barrier
	global_load_dwordx2 v[16:17], v[14:15], off
	ds_read_b64 v[18:19], v20
	v_lshl_add_u64 v[2:3], v[2:3], 0, 1
	v_cmp_ge_i64_e32 vcc, v[2:3], v[4:5]
	s_or_b64 s[22:23], vcc, s[22:23]
	s_waitcnt lgkmcnt(0)
	v_pk_mul_f32 v[22:23], v[18:19], v[0:1] op_sel:[1,0]
	s_nop 0
	v_pk_fma_f32 v[18:19], v[6:7], v[18:19], v[22:23] op_sel_hi:[1,0,1]
	s_waitcnt vmcnt(0)
	v_pk_mul_f32 v[22:23], v[8:9], v[16:17] op_sel:[0,1] op_sel_hi:[1,0] neg_lo:[0,1]
	s_nop 0
	v_pk_fma_f32 v[16:17], v[16:17], v[12:13], v[22:23]
	s_nop 0
	v_pk_add_f32 v[16:17], v[18:19], v[16:17]
	global_store_dwordx2 v[14:15], v[16:17], off
	s_andn2_b64 exec, exec, s[22:23]
	s_cbranch_execz .LBB134_26
.LBB134_15:                             ; =>This Loop Header: Depth=1
                                        ;     Child Loop BB134_25 Depth 2
	v_lshl_add_u64 v[14:15], v[2:3], 2, s[10:11]
	global_load_dword v14, v[14:15], off
	s_mov_b64 s[24:25], -1
	s_and_b64 vcc, exec, s[16:17]
                                        ; implicit-def: $vgpr16_vgpr17
	s_waitcnt vmcnt(0)
	v_subrev_u32_e32 v14, s12, v14
	v_ashrrev_i32_e32 v15, 31, v14
	s_cbranch_vccnz .LBB134_18
; %bb.16:                               ;   in Loop: Header=BB134_15 Depth=1
	s_andn2_b64 vcc, exec, s[24:25]
	s_cbranch_vccz .LBB134_21
.LBB134_17:                             ;   in Loop: Header=BB134_15 Depth=1
	s_and_b64 vcc, exec, s[4:5]
	s_cbranch_vccz .LBB134_24
	s_branch .LBB134_13
.LBB134_18:                             ;   in Loop: Header=BB134_15 Depth=1
	s_and_b64 vcc, exec, s[0:1]
	v_mov_b64_e32 v[16:17], v[14:15]
	s_cbranch_vccnz .LBB134_20
; %bb.19:                               ;   in Loop: Header=BB134_15 Depth=1
	v_mul_lo_u32 v18, s9, v14
	v_mul_lo_u32 v19, s8, v15
	v_mad_u64_u32 v[16:17], s[24:25], s8, v14, 0
	v_add3_u32 v17, v17, v19, v18
.LBB134_20:                             ;   in Loop: Header=BB134_15 Depth=1
	s_cbranch_execnz .LBB134_17
.LBB134_21:                             ;   in Loop: Header=BB134_15 Depth=1
	s_and_b64 vcc, exec, s[2:3]
	s_cbranch_vccnz .LBB134_23
; %bb.22:                               ;   in Loop: Header=BB134_15 Depth=1
	v_mul_lo_u32 v16, s9, v14
	v_mul_lo_u32 v17, s8, v15
	v_mad_u64_u32 v[14:15], s[24:25], s8, v14, 0
	v_add3_u32 v15, v15, v17, v16
.LBB134_23:                             ;   in Loop: Header=BB134_15 Depth=1
	v_mov_b64_e32 v[16:17], v[14:15]
	s_and_b64 vcc, exec, s[4:5]
	s_cbranch_vccnz .LBB134_13
.LBB134_24:                             ;   in Loop: Header=BB134_15 Depth=1
	v_mov_b32_e32 v14, 0
	v_lshl_add_u64 v[16:17], v[16:17], 3, s[18:19]
	v_mov_b64_e32 v[18:19], v[10:11]
	s_mov_b32 s24, s13
	v_mov_b32_e32 v15, v14
.LBB134_25:                             ;   Parent Loop BB134_15 Depth=1
                                        ; =>  This Inner Loop Header: Depth=2
	global_load_dwordx2 v[22:23], v[18:19], off
	global_load_dwordx2 v[24:25], v[16:17], off offset:-4
	s_add_i32 s24, s24, -1
	v_lshl_add_u64 v[18:19], v[18:19], 0, s[6:7]
	v_lshl_add_u64 v[16:17], v[16:17], 0, s[20:21]
	s_cmp_eq_u32 s24, 0
	s_waitcnt vmcnt(1)
	v_xor_b32_e32 v26, 0x80000000, v23
	v_mov_b32_e32 v27, v22
	s_waitcnt vmcnt(0)
	v_pk_mul_f32 v[26:27], v[24:25], v[26:27] op_sel:[1,0]
	s_nop 0
	v_pk_fma_f32 v[22:23], v[22:23], v[24:25], v[26:27] op_sel_hi:[1,0,1]
	s_nop 0
	v_pk_add_f32 v[14:15], v[14:15], v[22:23]
	s_cbranch_scc0 .LBB134_25
	s_branch .LBB134_14
.LBB134_26:
	s_endpgm
	.section	.rodata,"a",@progbits
	.p2align	6, 0x0
	.amdhsa_kernel _ZN9rocsparseL16sddmm_csx_kernelILi512ELi1EL20rocsparse_direction_0E21rocsparse_complex_numIfEliS3_S3_S3_EEv20rocsparse_operation_S4_16rocsparse_order_S5_T4_S6_S6_T3_NS_24const_host_device_scalarIT2_EEPKT5_lPKT6_lSA_PT7_PKS7_PKS6_21rocsparse_index_base_b
		.amdhsa_group_segment_fixed_size 4096
		.amdhsa_private_segment_fixed_size 0
		.amdhsa_kernarg_size 120
		.amdhsa_user_sgpr_count 2
		.amdhsa_user_sgpr_dispatch_ptr 0
		.amdhsa_user_sgpr_queue_ptr 0
		.amdhsa_user_sgpr_kernarg_segment_ptr 1
		.amdhsa_user_sgpr_dispatch_id 0
		.amdhsa_user_sgpr_kernarg_preload_length 0
		.amdhsa_user_sgpr_kernarg_preload_offset 0
		.amdhsa_user_sgpr_private_segment_size 0
		.amdhsa_uses_dynamic_stack 0
		.amdhsa_enable_private_segment 0
		.amdhsa_system_sgpr_workgroup_id_x 1
		.amdhsa_system_sgpr_workgroup_id_y 0
		.amdhsa_system_sgpr_workgroup_id_z 0
		.amdhsa_system_sgpr_workgroup_info 0
		.amdhsa_system_vgpr_workitem_id 0
		.amdhsa_next_free_vgpr 28
		.amdhsa_next_free_sgpr 26
		.amdhsa_accum_offset 28
		.amdhsa_reserve_vcc 1
		.amdhsa_float_round_mode_32 0
		.amdhsa_float_round_mode_16_64 0
		.amdhsa_float_denorm_mode_32 3
		.amdhsa_float_denorm_mode_16_64 3
		.amdhsa_dx10_clamp 1
		.amdhsa_ieee_mode 1
		.amdhsa_fp16_overflow 0
		.amdhsa_tg_split 0
		.amdhsa_exception_fp_ieee_invalid_op 0
		.amdhsa_exception_fp_denorm_src 0
		.amdhsa_exception_fp_ieee_div_zero 0
		.amdhsa_exception_fp_ieee_overflow 0
		.amdhsa_exception_fp_ieee_underflow 0
		.amdhsa_exception_fp_ieee_inexact 0
		.amdhsa_exception_int_div_zero 0
	.end_amdhsa_kernel
	.section	.text._ZN9rocsparseL16sddmm_csx_kernelILi512ELi1EL20rocsparse_direction_0E21rocsparse_complex_numIfEliS3_S3_S3_EEv20rocsparse_operation_S4_16rocsparse_order_S5_T4_S6_S6_T3_NS_24const_host_device_scalarIT2_EEPKT5_lPKT6_lSA_PT7_PKS7_PKS6_21rocsparse_index_base_b,"axG",@progbits,_ZN9rocsparseL16sddmm_csx_kernelILi512ELi1EL20rocsparse_direction_0E21rocsparse_complex_numIfEliS3_S3_S3_EEv20rocsparse_operation_S4_16rocsparse_order_S5_T4_S6_S6_T3_NS_24const_host_device_scalarIT2_EEPKT5_lPKT6_lSA_PT7_PKS7_PKS6_21rocsparse_index_base_b,comdat
.Lfunc_end134:
	.size	_ZN9rocsparseL16sddmm_csx_kernelILi512ELi1EL20rocsparse_direction_0E21rocsparse_complex_numIfEliS3_S3_S3_EEv20rocsparse_operation_S4_16rocsparse_order_S5_T4_S6_S6_T3_NS_24const_host_device_scalarIT2_EEPKT5_lPKT6_lSA_PT7_PKS7_PKS6_21rocsparse_index_base_b, .Lfunc_end134-_ZN9rocsparseL16sddmm_csx_kernelILi512ELi1EL20rocsparse_direction_0E21rocsparse_complex_numIfEliS3_S3_S3_EEv20rocsparse_operation_S4_16rocsparse_order_S5_T4_S6_S6_T3_NS_24const_host_device_scalarIT2_EEPKT5_lPKT6_lSA_PT7_PKS7_PKS6_21rocsparse_index_base_b
                                        ; -- End function
	.set _ZN9rocsparseL16sddmm_csx_kernelILi512ELi1EL20rocsparse_direction_0E21rocsparse_complex_numIfEliS3_S3_S3_EEv20rocsparse_operation_S4_16rocsparse_order_S5_T4_S6_S6_T3_NS_24const_host_device_scalarIT2_EEPKT5_lPKT6_lSA_PT7_PKS7_PKS6_21rocsparse_index_base_b.num_vgpr, 28
	.set _ZN9rocsparseL16sddmm_csx_kernelILi512ELi1EL20rocsparse_direction_0E21rocsparse_complex_numIfEliS3_S3_S3_EEv20rocsparse_operation_S4_16rocsparse_order_S5_T4_S6_S6_T3_NS_24const_host_device_scalarIT2_EEPKT5_lPKT6_lSA_PT7_PKS7_PKS6_21rocsparse_index_base_b.num_agpr, 0
	.set _ZN9rocsparseL16sddmm_csx_kernelILi512ELi1EL20rocsparse_direction_0E21rocsparse_complex_numIfEliS3_S3_S3_EEv20rocsparse_operation_S4_16rocsparse_order_S5_T4_S6_S6_T3_NS_24const_host_device_scalarIT2_EEPKT5_lPKT6_lSA_PT7_PKS7_PKS6_21rocsparse_index_base_b.numbered_sgpr, 26
	.set _ZN9rocsparseL16sddmm_csx_kernelILi512ELi1EL20rocsparse_direction_0E21rocsparse_complex_numIfEliS3_S3_S3_EEv20rocsparse_operation_S4_16rocsparse_order_S5_T4_S6_S6_T3_NS_24const_host_device_scalarIT2_EEPKT5_lPKT6_lSA_PT7_PKS7_PKS6_21rocsparse_index_base_b.num_named_barrier, 0
	.set _ZN9rocsparseL16sddmm_csx_kernelILi512ELi1EL20rocsparse_direction_0E21rocsparse_complex_numIfEliS3_S3_S3_EEv20rocsparse_operation_S4_16rocsparse_order_S5_T4_S6_S6_T3_NS_24const_host_device_scalarIT2_EEPKT5_lPKT6_lSA_PT7_PKS7_PKS6_21rocsparse_index_base_b.private_seg_size, 0
	.set _ZN9rocsparseL16sddmm_csx_kernelILi512ELi1EL20rocsparse_direction_0E21rocsparse_complex_numIfEliS3_S3_S3_EEv20rocsparse_operation_S4_16rocsparse_order_S5_T4_S6_S6_T3_NS_24const_host_device_scalarIT2_EEPKT5_lPKT6_lSA_PT7_PKS7_PKS6_21rocsparse_index_base_b.uses_vcc, 1
	.set _ZN9rocsparseL16sddmm_csx_kernelILi512ELi1EL20rocsparse_direction_0E21rocsparse_complex_numIfEliS3_S3_S3_EEv20rocsparse_operation_S4_16rocsparse_order_S5_T4_S6_S6_T3_NS_24const_host_device_scalarIT2_EEPKT5_lPKT6_lSA_PT7_PKS7_PKS6_21rocsparse_index_base_b.uses_flat_scratch, 0
	.set _ZN9rocsparseL16sddmm_csx_kernelILi512ELi1EL20rocsparse_direction_0E21rocsparse_complex_numIfEliS3_S3_S3_EEv20rocsparse_operation_S4_16rocsparse_order_S5_T4_S6_S6_T3_NS_24const_host_device_scalarIT2_EEPKT5_lPKT6_lSA_PT7_PKS7_PKS6_21rocsparse_index_base_b.has_dyn_sized_stack, 0
	.set _ZN9rocsparseL16sddmm_csx_kernelILi512ELi1EL20rocsparse_direction_0E21rocsparse_complex_numIfEliS3_S3_S3_EEv20rocsparse_operation_S4_16rocsparse_order_S5_T4_S6_S6_T3_NS_24const_host_device_scalarIT2_EEPKT5_lPKT6_lSA_PT7_PKS7_PKS6_21rocsparse_index_base_b.has_recursion, 0
	.set _ZN9rocsparseL16sddmm_csx_kernelILi512ELi1EL20rocsparse_direction_0E21rocsparse_complex_numIfEliS3_S3_S3_EEv20rocsparse_operation_S4_16rocsparse_order_S5_T4_S6_S6_T3_NS_24const_host_device_scalarIT2_EEPKT5_lPKT6_lSA_PT7_PKS7_PKS6_21rocsparse_index_base_b.has_indirect_call, 0
	.section	.AMDGPU.csdata,"",@progbits
; Kernel info:
; codeLenInByte = 1040
; TotalNumSgprs: 32
; NumVgprs: 28
; NumAgprs: 0
; TotalNumVgprs: 28
; ScratchSize: 0
; MemoryBound: 0
; FloatMode: 240
; IeeeMode: 1
; LDSByteSize: 4096 bytes/workgroup (compile time only)
; SGPRBlocks: 3
; VGPRBlocks: 3
; NumSGPRsForWavesPerEU: 32
; NumVGPRsForWavesPerEU: 28
; AccumOffset: 28
; Occupancy: 8
; WaveLimiterHint : 0
; COMPUTE_PGM_RSRC2:SCRATCH_EN: 0
; COMPUTE_PGM_RSRC2:USER_SGPR: 2
; COMPUTE_PGM_RSRC2:TRAP_HANDLER: 0
; COMPUTE_PGM_RSRC2:TGID_X_EN: 1
; COMPUTE_PGM_RSRC2:TGID_Y_EN: 0
; COMPUTE_PGM_RSRC2:TGID_Z_EN: 0
; COMPUTE_PGM_RSRC2:TIDIG_COMP_CNT: 0
; COMPUTE_PGM_RSRC3_GFX90A:ACCUM_OFFSET: 6
; COMPUTE_PGM_RSRC3_GFX90A:TG_SPLIT: 0
	.section	.text._ZN9rocsparseL16csr2dense_kernelILi16ELi32Eli21rocsparse_complex_numIdEEEviT2_S3_PKT3_PKT1_PKS3_PS4_l16rocsparse_order_,"axG",@progbits,_ZN9rocsparseL16csr2dense_kernelILi16ELi32Eli21rocsparse_complex_numIdEEEviT2_S3_PKT3_PKT1_PKS3_PS4_l16rocsparse_order_,comdat
	.globl	_ZN9rocsparseL16csr2dense_kernelILi16ELi32Eli21rocsparse_complex_numIdEEEviT2_S3_PKT3_PKT1_PKS3_PS4_l16rocsparse_order_ ; -- Begin function _ZN9rocsparseL16csr2dense_kernelILi16ELi32Eli21rocsparse_complex_numIdEEEviT2_S3_PKT3_PKT1_PKS3_PS4_l16rocsparse_order_
	.p2align	8
	.type	_ZN9rocsparseL16csr2dense_kernelILi16ELi32Eli21rocsparse_complex_numIdEEEviT2_S3_PKT3_PKT1_PKS3_PS4_l16rocsparse_order_,@function
_ZN9rocsparseL16csr2dense_kernelILi16ELi32Eli21rocsparse_complex_numIdEEEviT2_S3_PKT3_PKT1_PKS3_PS4_l16rocsparse_order_: ; @_ZN9rocsparseL16csr2dense_kernelILi16ELi32Eli21rocsparse_complex_numIdEEEviT2_S3_PKT3_PKT1_PKS3_PS4_l16rocsparse_order_
; %bb.0:
	s_load_dwordx2 s[4:5], s[0:1], 0x0
	v_lshrrev_b32_e32 v1, 5, v0
	v_lshl_or_b32 v8, s2, 4, v1
	s_waitcnt lgkmcnt(0)
	v_cmp_gt_i32_e32 vcc, s5, v8
	s_and_saveexec_b64 s[2:3], vcc
	s_cbranch_execz .LBB135_8
; %bb.1:
	s_load_dwordx2 s[2:3], s[0:1], 0x18
	v_ashrrev_i32_e32 v9, 31, v8
	v_and_b32_e32 v0, 31, v0
	v_mov_b32_e32 v1, 0
	s_waitcnt lgkmcnt(0)
	v_lshl_add_u64 v[2:3], v[8:9], 3, s[2:3]
	global_load_dwordx4 v[2:5], v[2:3], off
	s_waitcnt vmcnt(0)
	v_sub_co_u32_e32 v4, vcc, v4, v2
	s_nop 1
	v_subb_co_u32_e32 v5, vcc, v5, v3, vcc
	v_cmp_gt_i64_e32 vcc, v[4:5], v[0:1]
	s_and_b64 exec, exec, vcc
	s_cbranch_execz .LBB135_8
; %bb.2:
	s_load_dwordx4 s[8:11], s[0:1], 0x20
	s_load_dword s5, s[0:1], 0x38
	s_load_dwordx2 s[6:7], s[0:1], 0x10
	s_load_dwordx2 s[2:3], s[0:1], 0x30
	s_ashr_i32 s14, s4, 31
	s_waitcnt lgkmcnt(0)
	v_lshl_add_u64 v[6:7], v[8:9], 4, s[10:11]
	v_lshl_add_u64 v[2:3], v[2:3], 0, v[0:1]
	s_cmp_lg_u32 s5, 1
	v_mul_lo_u32 v10, s3, v8
	v_mul_lo_u32 v11, s2, v9
	v_mad_u64_u32 v[8:9], s[12:13], s2, v8, 0
	v_add3_u32 v9, v9, v11, v10
	v_mov_b32_e32 v11, s14
	v_subrev_co_u32_e32 v10, vcc, s4, v2
	s_cselect_b64 s[0:1], -1, 0
	s_nop 0
	v_subb_co_u32_e32 v11, vcc, v3, v11, vcc
	v_lshl_add_u64 v[8:9], v[8:9], 4, s[10:11]
	v_lshl_add_u64 v[2:3], v[10:11], 2, s[8:9]
	;; [unrolled: 1-line block ×3, first 2 shown]
	s_mov_b64 s[6:7], 0
	s_mov_b64 s[8:9], 0x80
	s_mov_b64 s[10:11], 0x200
	s_branch .LBB135_4
.LBB135_3:                              ;   in Loop: Header=BB135_4 Depth=1
	global_load_dwordx4 v[14:17], v[10:11], off
	v_lshl_add_u64 v[0:1], v[0:1], 0, 32
	v_cmp_ge_i64_e32 vcc, v[0:1], v[4:5]
	v_lshl_add_u64 v[2:3], v[2:3], 0, s[8:9]
	s_or_b64 s[6:7], vcc, s[6:7]
	v_lshl_add_u64 v[10:11], v[10:11], 0, s[10:11]
	s_waitcnt vmcnt(0)
	global_store_dwordx4 v[12:13], v[14:17], off
	s_andn2_b64 exec, exec, s[6:7]
	s_cbranch_execz .LBB135_8
.LBB135_4:                              ; =>This Inner Loop Header: Depth=1
	s_barrier
	global_load_dword v14, v[2:3], off
	s_mov_b64 s[12:13], -1
	s_and_b64 vcc, exec, s[0:1]
                                        ; implicit-def: $vgpr12_vgpr13
	s_waitcnt vmcnt(0)
	v_subrev_u32_e32 v14, s4, v14
	v_ashrrev_i32_e32 v15, 31, v14
	s_cbranch_vccz .LBB135_6
; %bb.5:                                ;   in Loop: Header=BB135_4 Depth=1
	v_lshl_add_u64 v[12:13], v[14:15], 4, v[8:9]
	s_mov_b64 s[12:13], 0
.LBB135_6:                              ;   in Loop: Header=BB135_4 Depth=1
	s_andn2_b64 vcc, exec, s[12:13]
	s_cbranch_vccnz .LBB135_3
; %bb.7:                                ;   in Loop: Header=BB135_4 Depth=1
	v_mul_lo_u32 v16, s3, v14
	v_mul_lo_u32 v15, s2, v15
	v_mad_u64_u32 v[12:13], s[12:13], s2, v14, 0
	v_add3_u32 v13, v13, v15, v16
	v_lshl_add_u64 v[12:13], v[12:13], 4, v[6:7]
	s_branch .LBB135_3
.LBB135_8:
	s_endpgm
	.section	.rodata,"a",@progbits
	.p2align	6, 0x0
	.amdhsa_kernel _ZN9rocsparseL16csr2dense_kernelILi16ELi32Eli21rocsparse_complex_numIdEEEviT2_S3_PKT3_PKT1_PKS3_PS4_l16rocsparse_order_
		.amdhsa_group_segment_fixed_size 0
		.amdhsa_private_segment_fixed_size 0
		.amdhsa_kernarg_size 60
		.amdhsa_user_sgpr_count 2
		.amdhsa_user_sgpr_dispatch_ptr 0
		.amdhsa_user_sgpr_queue_ptr 0
		.amdhsa_user_sgpr_kernarg_segment_ptr 1
		.amdhsa_user_sgpr_dispatch_id 0
		.amdhsa_user_sgpr_kernarg_preload_length 0
		.amdhsa_user_sgpr_kernarg_preload_offset 0
		.amdhsa_user_sgpr_private_segment_size 0
		.amdhsa_uses_dynamic_stack 0
		.amdhsa_enable_private_segment 0
		.amdhsa_system_sgpr_workgroup_id_x 1
		.amdhsa_system_sgpr_workgroup_id_y 0
		.amdhsa_system_sgpr_workgroup_id_z 0
		.amdhsa_system_sgpr_workgroup_info 0
		.amdhsa_system_vgpr_workitem_id 0
		.amdhsa_next_free_vgpr 18
		.amdhsa_next_free_sgpr 15
		.amdhsa_accum_offset 20
		.amdhsa_reserve_vcc 1
		.amdhsa_float_round_mode_32 0
		.amdhsa_float_round_mode_16_64 0
		.amdhsa_float_denorm_mode_32 3
		.amdhsa_float_denorm_mode_16_64 3
		.amdhsa_dx10_clamp 1
		.amdhsa_ieee_mode 1
		.amdhsa_fp16_overflow 0
		.amdhsa_tg_split 0
		.amdhsa_exception_fp_ieee_invalid_op 0
		.amdhsa_exception_fp_denorm_src 0
		.amdhsa_exception_fp_ieee_div_zero 0
		.amdhsa_exception_fp_ieee_overflow 0
		.amdhsa_exception_fp_ieee_underflow 0
		.amdhsa_exception_fp_ieee_inexact 0
		.amdhsa_exception_int_div_zero 0
	.end_amdhsa_kernel
	.section	.text._ZN9rocsparseL16csr2dense_kernelILi16ELi32Eli21rocsparse_complex_numIdEEEviT2_S3_PKT3_PKT1_PKS3_PS4_l16rocsparse_order_,"axG",@progbits,_ZN9rocsparseL16csr2dense_kernelILi16ELi32Eli21rocsparse_complex_numIdEEEviT2_S3_PKT3_PKT1_PKS3_PS4_l16rocsparse_order_,comdat
.Lfunc_end135:
	.size	_ZN9rocsparseL16csr2dense_kernelILi16ELi32Eli21rocsparse_complex_numIdEEEviT2_S3_PKT3_PKT1_PKS3_PS4_l16rocsparse_order_, .Lfunc_end135-_ZN9rocsparseL16csr2dense_kernelILi16ELi32Eli21rocsparse_complex_numIdEEEviT2_S3_PKT3_PKT1_PKS3_PS4_l16rocsparse_order_
                                        ; -- End function
	.set _ZN9rocsparseL16csr2dense_kernelILi16ELi32Eli21rocsparse_complex_numIdEEEviT2_S3_PKT3_PKT1_PKS3_PS4_l16rocsparse_order_.num_vgpr, 18
	.set _ZN9rocsparseL16csr2dense_kernelILi16ELi32Eli21rocsparse_complex_numIdEEEviT2_S3_PKT3_PKT1_PKS3_PS4_l16rocsparse_order_.num_agpr, 0
	.set _ZN9rocsparseL16csr2dense_kernelILi16ELi32Eli21rocsparse_complex_numIdEEEviT2_S3_PKT3_PKT1_PKS3_PS4_l16rocsparse_order_.numbered_sgpr, 15
	.set _ZN9rocsparseL16csr2dense_kernelILi16ELi32Eli21rocsparse_complex_numIdEEEviT2_S3_PKT3_PKT1_PKS3_PS4_l16rocsparse_order_.num_named_barrier, 0
	.set _ZN9rocsparseL16csr2dense_kernelILi16ELi32Eli21rocsparse_complex_numIdEEEviT2_S3_PKT3_PKT1_PKS3_PS4_l16rocsparse_order_.private_seg_size, 0
	.set _ZN9rocsparseL16csr2dense_kernelILi16ELi32Eli21rocsparse_complex_numIdEEEviT2_S3_PKT3_PKT1_PKS3_PS4_l16rocsparse_order_.uses_vcc, 1
	.set _ZN9rocsparseL16csr2dense_kernelILi16ELi32Eli21rocsparse_complex_numIdEEEviT2_S3_PKT3_PKT1_PKS3_PS4_l16rocsparse_order_.uses_flat_scratch, 0
	.set _ZN9rocsparseL16csr2dense_kernelILi16ELi32Eli21rocsparse_complex_numIdEEEviT2_S3_PKT3_PKT1_PKS3_PS4_l16rocsparse_order_.has_dyn_sized_stack, 0
	.set _ZN9rocsparseL16csr2dense_kernelILi16ELi32Eli21rocsparse_complex_numIdEEEviT2_S3_PKT3_PKT1_PKS3_PS4_l16rocsparse_order_.has_recursion, 0
	.set _ZN9rocsparseL16csr2dense_kernelILi16ELi32Eli21rocsparse_complex_numIdEEEviT2_S3_PKT3_PKT1_PKS3_PS4_l16rocsparse_order_.has_indirect_call, 0
	.section	.AMDGPU.csdata,"",@progbits
; Kernel info:
; codeLenInByte = 428
; TotalNumSgprs: 21
; NumVgprs: 18
; NumAgprs: 0
; TotalNumVgprs: 18
; ScratchSize: 0
; MemoryBound: 0
; FloatMode: 240
; IeeeMode: 1
; LDSByteSize: 0 bytes/workgroup (compile time only)
; SGPRBlocks: 2
; VGPRBlocks: 2
; NumSGPRsForWavesPerEU: 21
; NumVGPRsForWavesPerEU: 18
; AccumOffset: 20
; Occupancy: 8
; WaveLimiterHint : 0
; COMPUTE_PGM_RSRC2:SCRATCH_EN: 0
; COMPUTE_PGM_RSRC2:USER_SGPR: 2
; COMPUTE_PGM_RSRC2:TRAP_HANDLER: 0
; COMPUTE_PGM_RSRC2:TGID_X_EN: 1
; COMPUTE_PGM_RSRC2:TGID_Y_EN: 0
; COMPUTE_PGM_RSRC2:TGID_Z_EN: 0
; COMPUTE_PGM_RSRC2:TIDIG_COMP_CNT: 0
; COMPUTE_PGM_RSRC3_GFX90A:ACCUM_OFFSET: 4
; COMPUTE_PGM_RSRC3_GFX90A:TG_SPLIT: 0
	.section	.text._ZN9rocsparseL16csr2dense_kernelILi16ELi64Eli21rocsparse_complex_numIdEEEviT2_S3_PKT3_PKT1_PKS3_PS4_l16rocsparse_order_,"axG",@progbits,_ZN9rocsparseL16csr2dense_kernelILi16ELi64Eli21rocsparse_complex_numIdEEEviT2_S3_PKT3_PKT1_PKS3_PS4_l16rocsparse_order_,comdat
	.globl	_ZN9rocsparseL16csr2dense_kernelILi16ELi64Eli21rocsparse_complex_numIdEEEviT2_S3_PKT3_PKT1_PKS3_PS4_l16rocsparse_order_ ; -- Begin function _ZN9rocsparseL16csr2dense_kernelILi16ELi64Eli21rocsparse_complex_numIdEEEviT2_S3_PKT3_PKT1_PKS3_PS4_l16rocsparse_order_
	.p2align	8
	.type	_ZN9rocsparseL16csr2dense_kernelILi16ELi64Eli21rocsparse_complex_numIdEEEviT2_S3_PKT3_PKT1_PKS3_PS4_l16rocsparse_order_,@function
_ZN9rocsparseL16csr2dense_kernelILi16ELi64Eli21rocsparse_complex_numIdEEEviT2_S3_PKT3_PKT1_PKS3_PS4_l16rocsparse_order_: ; @_ZN9rocsparseL16csr2dense_kernelILi16ELi64Eli21rocsparse_complex_numIdEEEviT2_S3_PKT3_PKT1_PKS3_PS4_l16rocsparse_order_
; %bb.0:
	s_load_dwordx2 s[4:5], s[0:1], 0x0
	v_lshrrev_b32_e32 v1, 6, v0
	v_lshl_or_b32 v8, s2, 4, v1
	s_waitcnt lgkmcnt(0)
	v_cmp_gt_i32_e32 vcc, s5, v8
	s_and_saveexec_b64 s[2:3], vcc
	s_cbranch_execz .LBB136_8
; %bb.1:
	s_load_dwordx2 s[2:3], s[0:1], 0x18
	v_ashrrev_i32_e32 v9, 31, v8
	v_and_b32_e32 v0, 63, v0
	v_mov_b32_e32 v1, 0
	s_waitcnt lgkmcnt(0)
	v_lshl_add_u64 v[2:3], v[8:9], 3, s[2:3]
	global_load_dwordx4 v[2:5], v[2:3], off
	s_waitcnt vmcnt(0)
	v_sub_co_u32_e32 v4, vcc, v4, v2
	s_nop 1
	v_subb_co_u32_e32 v5, vcc, v5, v3, vcc
	v_cmp_gt_i64_e32 vcc, v[4:5], v[0:1]
	s_and_b64 exec, exec, vcc
	s_cbranch_execz .LBB136_8
; %bb.2:
	s_load_dwordx4 s[8:11], s[0:1], 0x20
	s_load_dword s5, s[0:1], 0x38
	s_load_dwordx2 s[6:7], s[0:1], 0x10
	s_load_dwordx2 s[2:3], s[0:1], 0x30
	s_ashr_i32 s14, s4, 31
	s_waitcnt lgkmcnt(0)
	v_lshl_add_u64 v[6:7], v[8:9], 4, s[10:11]
	v_lshl_add_u64 v[2:3], v[2:3], 0, v[0:1]
	s_cmp_lg_u32 s5, 1
	v_mul_lo_u32 v10, s3, v8
	v_mul_lo_u32 v11, s2, v9
	v_mad_u64_u32 v[8:9], s[12:13], s2, v8, 0
	v_add3_u32 v9, v9, v11, v10
	v_mov_b32_e32 v11, s14
	v_subrev_co_u32_e32 v10, vcc, s4, v2
	s_cselect_b64 s[0:1], -1, 0
	s_nop 0
	v_subb_co_u32_e32 v11, vcc, v3, v11, vcc
	v_lshl_add_u64 v[8:9], v[8:9], 4, s[10:11]
	v_lshl_add_u64 v[2:3], v[10:11], 2, s[8:9]
	;; [unrolled: 1-line block ×3, first 2 shown]
	s_mov_b64 s[6:7], 0
	s_mov_b64 s[8:9], 0x100
	;; [unrolled: 1-line block ×3, first 2 shown]
	s_branch .LBB136_4
.LBB136_3:                              ;   in Loop: Header=BB136_4 Depth=1
	global_load_dwordx4 v[14:17], v[10:11], off
	v_lshl_add_u64 v[0:1], v[0:1], 0, 64
	v_cmp_ge_i64_e32 vcc, v[0:1], v[4:5]
	v_lshl_add_u64 v[2:3], v[2:3], 0, s[8:9]
	s_or_b64 s[6:7], vcc, s[6:7]
	v_lshl_add_u64 v[10:11], v[10:11], 0, s[10:11]
	s_waitcnt vmcnt(0)
	global_store_dwordx4 v[12:13], v[14:17], off
	s_andn2_b64 exec, exec, s[6:7]
	s_cbranch_execz .LBB136_8
.LBB136_4:                              ; =>This Inner Loop Header: Depth=1
	s_barrier
	global_load_dword v14, v[2:3], off
	s_mov_b64 s[12:13], -1
	s_and_b64 vcc, exec, s[0:1]
                                        ; implicit-def: $vgpr12_vgpr13
	s_waitcnt vmcnt(0)
	v_subrev_u32_e32 v14, s4, v14
	v_ashrrev_i32_e32 v15, 31, v14
	s_cbranch_vccz .LBB136_6
; %bb.5:                                ;   in Loop: Header=BB136_4 Depth=1
	v_lshl_add_u64 v[12:13], v[14:15], 4, v[8:9]
	s_mov_b64 s[12:13], 0
.LBB136_6:                              ;   in Loop: Header=BB136_4 Depth=1
	s_andn2_b64 vcc, exec, s[12:13]
	s_cbranch_vccnz .LBB136_3
; %bb.7:                                ;   in Loop: Header=BB136_4 Depth=1
	v_mul_lo_u32 v16, s3, v14
	v_mul_lo_u32 v15, s2, v15
	v_mad_u64_u32 v[12:13], s[12:13], s2, v14, 0
	v_add3_u32 v13, v13, v15, v16
	v_lshl_add_u64 v[12:13], v[12:13], 4, v[6:7]
	s_branch .LBB136_3
.LBB136_8:
	s_endpgm
	.section	.rodata,"a",@progbits
	.p2align	6, 0x0
	.amdhsa_kernel _ZN9rocsparseL16csr2dense_kernelILi16ELi64Eli21rocsparse_complex_numIdEEEviT2_S3_PKT3_PKT1_PKS3_PS4_l16rocsparse_order_
		.amdhsa_group_segment_fixed_size 0
		.amdhsa_private_segment_fixed_size 0
		.amdhsa_kernarg_size 60
		.amdhsa_user_sgpr_count 2
		.amdhsa_user_sgpr_dispatch_ptr 0
		.amdhsa_user_sgpr_queue_ptr 0
		.amdhsa_user_sgpr_kernarg_segment_ptr 1
		.amdhsa_user_sgpr_dispatch_id 0
		.amdhsa_user_sgpr_kernarg_preload_length 0
		.amdhsa_user_sgpr_kernarg_preload_offset 0
		.amdhsa_user_sgpr_private_segment_size 0
		.amdhsa_uses_dynamic_stack 0
		.amdhsa_enable_private_segment 0
		.amdhsa_system_sgpr_workgroup_id_x 1
		.amdhsa_system_sgpr_workgroup_id_y 0
		.amdhsa_system_sgpr_workgroup_id_z 0
		.amdhsa_system_sgpr_workgroup_info 0
		.amdhsa_system_vgpr_workitem_id 0
		.amdhsa_next_free_vgpr 18
		.amdhsa_next_free_sgpr 15
		.amdhsa_accum_offset 20
		.amdhsa_reserve_vcc 1
		.amdhsa_float_round_mode_32 0
		.amdhsa_float_round_mode_16_64 0
		.amdhsa_float_denorm_mode_32 3
		.amdhsa_float_denorm_mode_16_64 3
		.amdhsa_dx10_clamp 1
		.amdhsa_ieee_mode 1
		.amdhsa_fp16_overflow 0
		.amdhsa_tg_split 0
		.amdhsa_exception_fp_ieee_invalid_op 0
		.amdhsa_exception_fp_denorm_src 0
		.amdhsa_exception_fp_ieee_div_zero 0
		.amdhsa_exception_fp_ieee_overflow 0
		.amdhsa_exception_fp_ieee_underflow 0
		.amdhsa_exception_fp_ieee_inexact 0
		.amdhsa_exception_int_div_zero 0
	.end_amdhsa_kernel
	.section	.text._ZN9rocsparseL16csr2dense_kernelILi16ELi64Eli21rocsparse_complex_numIdEEEviT2_S3_PKT3_PKT1_PKS3_PS4_l16rocsparse_order_,"axG",@progbits,_ZN9rocsparseL16csr2dense_kernelILi16ELi64Eli21rocsparse_complex_numIdEEEviT2_S3_PKT3_PKT1_PKS3_PS4_l16rocsparse_order_,comdat
.Lfunc_end136:
	.size	_ZN9rocsparseL16csr2dense_kernelILi16ELi64Eli21rocsparse_complex_numIdEEEviT2_S3_PKT3_PKT1_PKS3_PS4_l16rocsparse_order_, .Lfunc_end136-_ZN9rocsparseL16csr2dense_kernelILi16ELi64Eli21rocsparse_complex_numIdEEEviT2_S3_PKT3_PKT1_PKS3_PS4_l16rocsparse_order_
                                        ; -- End function
	.set _ZN9rocsparseL16csr2dense_kernelILi16ELi64Eli21rocsparse_complex_numIdEEEviT2_S3_PKT3_PKT1_PKS3_PS4_l16rocsparse_order_.num_vgpr, 18
	.set _ZN9rocsparseL16csr2dense_kernelILi16ELi64Eli21rocsparse_complex_numIdEEEviT2_S3_PKT3_PKT1_PKS3_PS4_l16rocsparse_order_.num_agpr, 0
	.set _ZN9rocsparseL16csr2dense_kernelILi16ELi64Eli21rocsparse_complex_numIdEEEviT2_S3_PKT3_PKT1_PKS3_PS4_l16rocsparse_order_.numbered_sgpr, 15
	.set _ZN9rocsparseL16csr2dense_kernelILi16ELi64Eli21rocsparse_complex_numIdEEEviT2_S3_PKT3_PKT1_PKS3_PS4_l16rocsparse_order_.num_named_barrier, 0
	.set _ZN9rocsparseL16csr2dense_kernelILi16ELi64Eli21rocsparse_complex_numIdEEEviT2_S3_PKT3_PKT1_PKS3_PS4_l16rocsparse_order_.private_seg_size, 0
	.set _ZN9rocsparseL16csr2dense_kernelILi16ELi64Eli21rocsparse_complex_numIdEEEviT2_S3_PKT3_PKT1_PKS3_PS4_l16rocsparse_order_.uses_vcc, 1
	.set _ZN9rocsparseL16csr2dense_kernelILi16ELi64Eli21rocsparse_complex_numIdEEEviT2_S3_PKT3_PKT1_PKS3_PS4_l16rocsparse_order_.uses_flat_scratch, 0
	.set _ZN9rocsparseL16csr2dense_kernelILi16ELi64Eli21rocsparse_complex_numIdEEEviT2_S3_PKT3_PKT1_PKS3_PS4_l16rocsparse_order_.has_dyn_sized_stack, 0
	.set _ZN9rocsparseL16csr2dense_kernelILi16ELi64Eli21rocsparse_complex_numIdEEEviT2_S3_PKT3_PKT1_PKS3_PS4_l16rocsparse_order_.has_recursion, 0
	.set _ZN9rocsparseL16csr2dense_kernelILi16ELi64Eli21rocsparse_complex_numIdEEEviT2_S3_PKT3_PKT1_PKS3_PS4_l16rocsparse_order_.has_indirect_call, 0
	.section	.AMDGPU.csdata,"",@progbits
; Kernel info:
; codeLenInByte = 428
; TotalNumSgprs: 21
; NumVgprs: 18
; NumAgprs: 0
; TotalNumVgprs: 18
; ScratchSize: 0
; MemoryBound: 0
; FloatMode: 240
; IeeeMode: 1
; LDSByteSize: 0 bytes/workgroup (compile time only)
; SGPRBlocks: 2
; VGPRBlocks: 2
; NumSGPRsForWavesPerEU: 21
; NumVGPRsForWavesPerEU: 18
; AccumOffset: 20
; Occupancy: 8
; WaveLimiterHint : 0
; COMPUTE_PGM_RSRC2:SCRATCH_EN: 0
; COMPUTE_PGM_RSRC2:USER_SGPR: 2
; COMPUTE_PGM_RSRC2:TRAP_HANDLER: 0
; COMPUTE_PGM_RSRC2:TGID_X_EN: 1
; COMPUTE_PGM_RSRC2:TGID_Y_EN: 0
; COMPUTE_PGM_RSRC2:TGID_Z_EN: 0
; COMPUTE_PGM_RSRC2:TIDIG_COMP_CNT: 0
; COMPUTE_PGM_RSRC3_GFX90A:ACCUM_OFFSET: 4
; COMPUTE_PGM_RSRC3_GFX90A:TG_SPLIT: 0
	.section	.text._ZN9rocsparseL16csc2dense_kernelILi16ELi32Eli21rocsparse_complex_numIdEEEviT2_S3_PKT3_PKT1_PKS3_PS4_l16rocsparse_order_,"axG",@progbits,_ZN9rocsparseL16csc2dense_kernelILi16ELi32Eli21rocsparse_complex_numIdEEEviT2_S3_PKT3_PKT1_PKS3_PS4_l16rocsparse_order_,comdat
	.globl	_ZN9rocsparseL16csc2dense_kernelILi16ELi32Eli21rocsparse_complex_numIdEEEviT2_S3_PKT3_PKT1_PKS3_PS4_l16rocsparse_order_ ; -- Begin function _ZN9rocsparseL16csc2dense_kernelILi16ELi32Eli21rocsparse_complex_numIdEEEviT2_S3_PKT3_PKT1_PKS3_PS4_l16rocsparse_order_
	.p2align	8
	.type	_ZN9rocsparseL16csc2dense_kernelILi16ELi32Eli21rocsparse_complex_numIdEEEviT2_S3_PKT3_PKT1_PKS3_PS4_l16rocsparse_order_,@function
_ZN9rocsparseL16csc2dense_kernelILi16ELi32Eli21rocsparse_complex_numIdEEEviT2_S3_PKT3_PKT1_PKS3_PS4_l16rocsparse_order_: ; @_ZN9rocsparseL16csc2dense_kernelILi16ELi32Eli21rocsparse_complex_numIdEEEviT2_S3_PKT3_PKT1_PKS3_PS4_l16rocsparse_order_
; %bb.0:
	s_load_dword s3, s[0:1], 0x8
	v_lshrrev_b32_e32 v1, 5, v0
	v_lshl_or_b32 v8, s2, 4, v1
	s_waitcnt lgkmcnt(0)
	v_cmp_gt_i32_e32 vcc, s3, v8
	s_and_saveexec_b64 s[2:3], vcc
	s_cbranch_execz .LBB137_8
; %bb.1:
	s_load_dwordx2 s[2:3], s[0:1], 0x18
	v_ashrrev_i32_e32 v9, 31, v8
	v_and_b32_e32 v0, 31, v0
	v_mov_b32_e32 v1, 0
	s_waitcnt lgkmcnt(0)
	v_lshl_add_u64 v[2:3], v[8:9], 3, s[2:3]
	global_load_dwordx4 v[2:5], v[2:3], off
	s_waitcnt vmcnt(0)
	v_sub_co_u32_e32 v4, vcc, v4, v2
	s_nop 1
	v_subb_co_u32_e32 v5, vcc, v5, v3, vcc
	v_cmp_gt_i64_e32 vcc, v[4:5], v[0:1]
	s_and_b64 exec, exec, vcc
	s_cbranch_execz .LBB137_8
; %bb.2:
	s_load_dword s12, s[0:1], 0x0
	s_load_dwordx4 s[4:7], s[0:1], 0x20
	s_load_dword s10, s[0:1], 0x38
	s_load_dwordx2 s[8:9], s[0:1], 0x10
	s_load_dwordx2 s[2:3], s[0:1], 0x30
	s_waitcnt lgkmcnt(0)
	s_ashr_i32 s13, s12, 31
	v_lshl_add_u64 v[6:7], v[8:9], 4, s[6:7]
	s_cmp_lg_u32 s10, 1
	v_lshl_add_u64 v[2:3], v[2:3], 0, v[0:1]
	v_mul_lo_u32 v10, s3, v8
	v_mul_lo_u32 v11, s2, v9
	v_mad_u64_u32 v[8:9], s[10:11], s2, v8, 0
	v_add3_u32 v9, v9, v11, v10
	v_mov_b32_e32 v11, s13
	v_subrev_co_u32_e32 v10, vcc, s12, v2
	s_cselect_b64 s[0:1], -1, 0
	s_nop 0
	v_subb_co_u32_e32 v11, vcc, v3, v11, vcc
	v_lshl_add_u64 v[8:9], v[8:9], 4, s[6:7]
	v_lshl_add_u64 v[2:3], v[10:11], 2, s[4:5]
	;; [unrolled: 1-line block ×3, first 2 shown]
	s_mov_b64 s[4:5], 0
	s_mov_b64 s[6:7], 0x80
	;; [unrolled: 1-line block ×3, first 2 shown]
	s_branch .LBB137_4
.LBB137_3:                              ;   in Loop: Header=BB137_4 Depth=1
	global_load_dwordx4 v[14:17], v[10:11], off
	v_lshl_add_u64 v[0:1], v[0:1], 0, 32
	v_cmp_ge_i64_e32 vcc, v[0:1], v[4:5]
	v_lshl_add_u64 v[2:3], v[2:3], 0, s[6:7]
	s_or_b64 s[4:5], vcc, s[4:5]
	v_lshl_add_u64 v[10:11], v[10:11], 0, s[8:9]
	s_waitcnt vmcnt(0)
	global_store_dwordx4 v[12:13], v[14:17], off
	s_andn2_b64 exec, exec, s[4:5]
	s_cbranch_execz .LBB137_8
.LBB137_4:                              ; =>This Inner Loop Header: Depth=1
	global_load_dword v14, v[2:3], off
	s_mov_b64 s[10:11], -1
	s_and_b64 vcc, exec, s[0:1]
                                        ; implicit-def: $vgpr12_vgpr13
	s_waitcnt vmcnt(0)
	v_subrev_u32_e32 v14, s12, v14
	v_ashrrev_i32_e32 v15, 31, v14
	s_cbranch_vccz .LBB137_6
; %bb.5:                                ;   in Loop: Header=BB137_4 Depth=1
	v_mul_lo_u32 v16, s3, v14
	v_mul_lo_u32 v17, s2, v15
	v_mad_u64_u32 v[12:13], s[10:11], s2, v14, 0
	v_add3_u32 v13, v13, v17, v16
	v_lshl_add_u64 v[12:13], v[12:13], 4, v[6:7]
	s_mov_b64 s[10:11], 0
.LBB137_6:                              ;   in Loop: Header=BB137_4 Depth=1
	s_andn2_b64 vcc, exec, s[10:11]
	s_cbranch_vccnz .LBB137_3
; %bb.7:                                ;   in Loop: Header=BB137_4 Depth=1
	v_lshl_add_u64 v[12:13], v[14:15], 4, v[8:9]
	s_branch .LBB137_3
.LBB137_8:
	s_endpgm
	.section	.rodata,"a",@progbits
	.p2align	6, 0x0
	.amdhsa_kernel _ZN9rocsparseL16csc2dense_kernelILi16ELi32Eli21rocsparse_complex_numIdEEEviT2_S3_PKT3_PKT1_PKS3_PS4_l16rocsparse_order_
		.amdhsa_group_segment_fixed_size 0
		.amdhsa_private_segment_fixed_size 0
		.amdhsa_kernarg_size 60
		.amdhsa_user_sgpr_count 2
		.amdhsa_user_sgpr_dispatch_ptr 0
		.amdhsa_user_sgpr_queue_ptr 0
		.amdhsa_user_sgpr_kernarg_segment_ptr 1
		.amdhsa_user_sgpr_dispatch_id 0
		.amdhsa_user_sgpr_kernarg_preload_length 0
		.amdhsa_user_sgpr_kernarg_preload_offset 0
		.amdhsa_user_sgpr_private_segment_size 0
		.amdhsa_uses_dynamic_stack 0
		.amdhsa_enable_private_segment 0
		.amdhsa_system_sgpr_workgroup_id_x 1
		.amdhsa_system_sgpr_workgroup_id_y 0
		.amdhsa_system_sgpr_workgroup_id_z 0
		.amdhsa_system_sgpr_workgroup_info 0
		.amdhsa_system_vgpr_workitem_id 0
		.amdhsa_next_free_vgpr 18
		.amdhsa_next_free_sgpr 14
		.amdhsa_accum_offset 20
		.amdhsa_reserve_vcc 1
		.amdhsa_float_round_mode_32 0
		.amdhsa_float_round_mode_16_64 0
		.amdhsa_float_denorm_mode_32 3
		.amdhsa_float_denorm_mode_16_64 3
		.amdhsa_dx10_clamp 1
		.amdhsa_ieee_mode 1
		.amdhsa_fp16_overflow 0
		.amdhsa_tg_split 0
		.amdhsa_exception_fp_ieee_invalid_op 0
		.amdhsa_exception_fp_denorm_src 0
		.amdhsa_exception_fp_ieee_div_zero 0
		.amdhsa_exception_fp_ieee_overflow 0
		.amdhsa_exception_fp_ieee_underflow 0
		.amdhsa_exception_fp_ieee_inexact 0
		.amdhsa_exception_int_div_zero 0
	.end_amdhsa_kernel
	.section	.text._ZN9rocsparseL16csc2dense_kernelILi16ELi32Eli21rocsparse_complex_numIdEEEviT2_S3_PKT3_PKT1_PKS3_PS4_l16rocsparse_order_,"axG",@progbits,_ZN9rocsparseL16csc2dense_kernelILi16ELi32Eli21rocsparse_complex_numIdEEEviT2_S3_PKT3_PKT1_PKS3_PS4_l16rocsparse_order_,comdat
.Lfunc_end137:
	.size	_ZN9rocsparseL16csc2dense_kernelILi16ELi32Eli21rocsparse_complex_numIdEEEviT2_S3_PKT3_PKT1_PKS3_PS4_l16rocsparse_order_, .Lfunc_end137-_ZN9rocsparseL16csc2dense_kernelILi16ELi32Eli21rocsparse_complex_numIdEEEviT2_S3_PKT3_PKT1_PKS3_PS4_l16rocsparse_order_
                                        ; -- End function
	.set _ZN9rocsparseL16csc2dense_kernelILi16ELi32Eli21rocsparse_complex_numIdEEEviT2_S3_PKT3_PKT1_PKS3_PS4_l16rocsparse_order_.num_vgpr, 18
	.set _ZN9rocsparseL16csc2dense_kernelILi16ELi32Eli21rocsparse_complex_numIdEEEviT2_S3_PKT3_PKT1_PKS3_PS4_l16rocsparse_order_.num_agpr, 0
	.set _ZN9rocsparseL16csc2dense_kernelILi16ELi32Eli21rocsparse_complex_numIdEEEviT2_S3_PKT3_PKT1_PKS3_PS4_l16rocsparse_order_.numbered_sgpr, 14
	.set _ZN9rocsparseL16csc2dense_kernelILi16ELi32Eli21rocsparse_complex_numIdEEEviT2_S3_PKT3_PKT1_PKS3_PS4_l16rocsparse_order_.num_named_barrier, 0
	.set _ZN9rocsparseL16csc2dense_kernelILi16ELi32Eli21rocsparse_complex_numIdEEEviT2_S3_PKT3_PKT1_PKS3_PS4_l16rocsparse_order_.private_seg_size, 0
	.set _ZN9rocsparseL16csc2dense_kernelILi16ELi32Eli21rocsparse_complex_numIdEEEviT2_S3_PKT3_PKT1_PKS3_PS4_l16rocsparse_order_.uses_vcc, 1
	.set _ZN9rocsparseL16csc2dense_kernelILi16ELi32Eli21rocsparse_complex_numIdEEEviT2_S3_PKT3_PKT1_PKS3_PS4_l16rocsparse_order_.uses_flat_scratch, 0
	.set _ZN9rocsparseL16csc2dense_kernelILi16ELi32Eli21rocsparse_complex_numIdEEEviT2_S3_PKT3_PKT1_PKS3_PS4_l16rocsparse_order_.has_dyn_sized_stack, 0
	.set _ZN9rocsparseL16csc2dense_kernelILi16ELi32Eli21rocsparse_complex_numIdEEEviT2_S3_PKT3_PKT1_PKS3_PS4_l16rocsparse_order_.has_recursion, 0
	.set _ZN9rocsparseL16csc2dense_kernelILi16ELi32Eli21rocsparse_complex_numIdEEEviT2_S3_PKT3_PKT1_PKS3_PS4_l16rocsparse_order_.has_indirect_call, 0
	.section	.AMDGPU.csdata,"",@progbits
; Kernel info:
; codeLenInByte = 432
; TotalNumSgprs: 20
; NumVgprs: 18
; NumAgprs: 0
; TotalNumVgprs: 18
; ScratchSize: 0
; MemoryBound: 0
; FloatMode: 240
; IeeeMode: 1
; LDSByteSize: 0 bytes/workgroup (compile time only)
; SGPRBlocks: 2
; VGPRBlocks: 2
; NumSGPRsForWavesPerEU: 20
; NumVGPRsForWavesPerEU: 18
; AccumOffset: 20
; Occupancy: 8
; WaveLimiterHint : 0
; COMPUTE_PGM_RSRC2:SCRATCH_EN: 0
; COMPUTE_PGM_RSRC2:USER_SGPR: 2
; COMPUTE_PGM_RSRC2:TRAP_HANDLER: 0
; COMPUTE_PGM_RSRC2:TGID_X_EN: 1
; COMPUTE_PGM_RSRC2:TGID_Y_EN: 0
; COMPUTE_PGM_RSRC2:TGID_Z_EN: 0
; COMPUTE_PGM_RSRC2:TIDIG_COMP_CNT: 0
; COMPUTE_PGM_RSRC3_GFX90A:ACCUM_OFFSET: 4
; COMPUTE_PGM_RSRC3_GFX90A:TG_SPLIT: 0
	.section	.text._ZN9rocsparseL16csc2dense_kernelILi16ELi64Eli21rocsparse_complex_numIdEEEviT2_S3_PKT3_PKT1_PKS3_PS4_l16rocsparse_order_,"axG",@progbits,_ZN9rocsparseL16csc2dense_kernelILi16ELi64Eli21rocsparse_complex_numIdEEEviT2_S3_PKT3_PKT1_PKS3_PS4_l16rocsparse_order_,comdat
	.globl	_ZN9rocsparseL16csc2dense_kernelILi16ELi64Eli21rocsparse_complex_numIdEEEviT2_S3_PKT3_PKT1_PKS3_PS4_l16rocsparse_order_ ; -- Begin function _ZN9rocsparseL16csc2dense_kernelILi16ELi64Eli21rocsparse_complex_numIdEEEviT2_S3_PKT3_PKT1_PKS3_PS4_l16rocsparse_order_
	.p2align	8
	.type	_ZN9rocsparseL16csc2dense_kernelILi16ELi64Eli21rocsparse_complex_numIdEEEviT2_S3_PKT3_PKT1_PKS3_PS4_l16rocsparse_order_,@function
_ZN9rocsparseL16csc2dense_kernelILi16ELi64Eli21rocsparse_complex_numIdEEEviT2_S3_PKT3_PKT1_PKS3_PS4_l16rocsparse_order_: ; @_ZN9rocsparseL16csc2dense_kernelILi16ELi64Eli21rocsparse_complex_numIdEEEviT2_S3_PKT3_PKT1_PKS3_PS4_l16rocsparse_order_
; %bb.0:
	s_load_dword s3, s[0:1], 0x8
	v_lshrrev_b32_e32 v1, 6, v0
	v_lshl_or_b32 v8, s2, 4, v1
	s_waitcnt lgkmcnt(0)
	v_cmp_gt_i32_e32 vcc, s3, v8
	s_and_saveexec_b64 s[2:3], vcc
	s_cbranch_execz .LBB138_8
; %bb.1:
	s_load_dwordx2 s[2:3], s[0:1], 0x18
	v_ashrrev_i32_e32 v9, 31, v8
	v_and_b32_e32 v0, 63, v0
	v_mov_b32_e32 v1, 0
	s_waitcnt lgkmcnt(0)
	v_lshl_add_u64 v[2:3], v[8:9], 3, s[2:3]
	global_load_dwordx4 v[2:5], v[2:3], off
	s_waitcnt vmcnt(0)
	v_sub_co_u32_e32 v4, vcc, v4, v2
	s_nop 1
	v_subb_co_u32_e32 v5, vcc, v5, v3, vcc
	v_cmp_gt_i64_e32 vcc, v[4:5], v[0:1]
	s_and_b64 exec, exec, vcc
	s_cbranch_execz .LBB138_8
; %bb.2:
	s_load_dword s12, s[0:1], 0x0
	s_load_dwordx4 s[4:7], s[0:1], 0x20
	s_load_dword s10, s[0:1], 0x38
	s_load_dwordx2 s[8:9], s[0:1], 0x10
	s_load_dwordx2 s[2:3], s[0:1], 0x30
	s_waitcnt lgkmcnt(0)
	s_ashr_i32 s13, s12, 31
	v_lshl_add_u64 v[6:7], v[8:9], 4, s[6:7]
	s_cmp_lg_u32 s10, 1
	v_lshl_add_u64 v[2:3], v[2:3], 0, v[0:1]
	v_mul_lo_u32 v10, s3, v8
	v_mul_lo_u32 v11, s2, v9
	v_mad_u64_u32 v[8:9], s[10:11], s2, v8, 0
	v_add3_u32 v9, v9, v11, v10
	v_mov_b32_e32 v11, s13
	v_subrev_co_u32_e32 v10, vcc, s12, v2
	s_cselect_b64 s[0:1], -1, 0
	s_nop 0
	v_subb_co_u32_e32 v11, vcc, v3, v11, vcc
	v_lshl_add_u64 v[8:9], v[8:9], 4, s[6:7]
	v_lshl_add_u64 v[2:3], v[10:11], 2, s[4:5]
	;; [unrolled: 1-line block ×3, first 2 shown]
	s_mov_b64 s[4:5], 0
	s_mov_b64 s[6:7], 0x100
	;; [unrolled: 1-line block ×3, first 2 shown]
	s_branch .LBB138_4
.LBB138_3:                              ;   in Loop: Header=BB138_4 Depth=1
	global_load_dwordx4 v[14:17], v[10:11], off
	v_lshl_add_u64 v[0:1], v[0:1], 0, 64
	v_cmp_ge_i64_e32 vcc, v[0:1], v[4:5]
	v_lshl_add_u64 v[2:3], v[2:3], 0, s[6:7]
	s_or_b64 s[4:5], vcc, s[4:5]
	v_lshl_add_u64 v[10:11], v[10:11], 0, s[8:9]
	s_waitcnt vmcnt(0)
	global_store_dwordx4 v[12:13], v[14:17], off
	s_andn2_b64 exec, exec, s[4:5]
	s_cbranch_execz .LBB138_8
.LBB138_4:                              ; =>This Inner Loop Header: Depth=1
	global_load_dword v14, v[2:3], off
	s_mov_b64 s[10:11], -1
	s_and_b64 vcc, exec, s[0:1]
                                        ; implicit-def: $vgpr12_vgpr13
	s_waitcnt vmcnt(0)
	v_subrev_u32_e32 v14, s12, v14
	v_ashrrev_i32_e32 v15, 31, v14
	s_cbranch_vccz .LBB138_6
; %bb.5:                                ;   in Loop: Header=BB138_4 Depth=1
	v_mul_lo_u32 v16, s3, v14
	v_mul_lo_u32 v17, s2, v15
	v_mad_u64_u32 v[12:13], s[10:11], s2, v14, 0
	v_add3_u32 v13, v13, v17, v16
	v_lshl_add_u64 v[12:13], v[12:13], 4, v[6:7]
	s_mov_b64 s[10:11], 0
.LBB138_6:                              ;   in Loop: Header=BB138_4 Depth=1
	s_andn2_b64 vcc, exec, s[10:11]
	s_cbranch_vccnz .LBB138_3
; %bb.7:                                ;   in Loop: Header=BB138_4 Depth=1
	v_lshl_add_u64 v[12:13], v[14:15], 4, v[8:9]
	s_branch .LBB138_3
.LBB138_8:
	s_endpgm
	.section	.rodata,"a",@progbits
	.p2align	6, 0x0
	.amdhsa_kernel _ZN9rocsparseL16csc2dense_kernelILi16ELi64Eli21rocsparse_complex_numIdEEEviT2_S3_PKT3_PKT1_PKS3_PS4_l16rocsparse_order_
		.amdhsa_group_segment_fixed_size 0
		.amdhsa_private_segment_fixed_size 0
		.amdhsa_kernarg_size 60
		.amdhsa_user_sgpr_count 2
		.amdhsa_user_sgpr_dispatch_ptr 0
		.amdhsa_user_sgpr_queue_ptr 0
		.amdhsa_user_sgpr_kernarg_segment_ptr 1
		.amdhsa_user_sgpr_dispatch_id 0
		.amdhsa_user_sgpr_kernarg_preload_length 0
		.amdhsa_user_sgpr_kernarg_preload_offset 0
		.amdhsa_user_sgpr_private_segment_size 0
		.amdhsa_uses_dynamic_stack 0
		.amdhsa_enable_private_segment 0
		.amdhsa_system_sgpr_workgroup_id_x 1
		.amdhsa_system_sgpr_workgroup_id_y 0
		.amdhsa_system_sgpr_workgroup_id_z 0
		.amdhsa_system_sgpr_workgroup_info 0
		.amdhsa_system_vgpr_workitem_id 0
		.amdhsa_next_free_vgpr 18
		.amdhsa_next_free_sgpr 14
		.amdhsa_accum_offset 20
		.amdhsa_reserve_vcc 1
		.amdhsa_float_round_mode_32 0
		.amdhsa_float_round_mode_16_64 0
		.amdhsa_float_denorm_mode_32 3
		.amdhsa_float_denorm_mode_16_64 3
		.amdhsa_dx10_clamp 1
		.amdhsa_ieee_mode 1
		.amdhsa_fp16_overflow 0
		.amdhsa_tg_split 0
		.amdhsa_exception_fp_ieee_invalid_op 0
		.amdhsa_exception_fp_denorm_src 0
		.amdhsa_exception_fp_ieee_div_zero 0
		.amdhsa_exception_fp_ieee_overflow 0
		.amdhsa_exception_fp_ieee_underflow 0
		.amdhsa_exception_fp_ieee_inexact 0
		.amdhsa_exception_int_div_zero 0
	.end_amdhsa_kernel
	.section	.text._ZN9rocsparseL16csc2dense_kernelILi16ELi64Eli21rocsparse_complex_numIdEEEviT2_S3_PKT3_PKT1_PKS3_PS4_l16rocsparse_order_,"axG",@progbits,_ZN9rocsparseL16csc2dense_kernelILi16ELi64Eli21rocsparse_complex_numIdEEEviT2_S3_PKT3_PKT1_PKS3_PS4_l16rocsparse_order_,comdat
.Lfunc_end138:
	.size	_ZN9rocsparseL16csc2dense_kernelILi16ELi64Eli21rocsparse_complex_numIdEEEviT2_S3_PKT3_PKT1_PKS3_PS4_l16rocsparse_order_, .Lfunc_end138-_ZN9rocsparseL16csc2dense_kernelILi16ELi64Eli21rocsparse_complex_numIdEEEviT2_S3_PKT3_PKT1_PKS3_PS4_l16rocsparse_order_
                                        ; -- End function
	.set _ZN9rocsparseL16csc2dense_kernelILi16ELi64Eli21rocsparse_complex_numIdEEEviT2_S3_PKT3_PKT1_PKS3_PS4_l16rocsparse_order_.num_vgpr, 18
	.set _ZN9rocsparseL16csc2dense_kernelILi16ELi64Eli21rocsparse_complex_numIdEEEviT2_S3_PKT3_PKT1_PKS3_PS4_l16rocsparse_order_.num_agpr, 0
	.set _ZN9rocsparseL16csc2dense_kernelILi16ELi64Eli21rocsparse_complex_numIdEEEviT2_S3_PKT3_PKT1_PKS3_PS4_l16rocsparse_order_.numbered_sgpr, 14
	.set _ZN9rocsparseL16csc2dense_kernelILi16ELi64Eli21rocsparse_complex_numIdEEEviT2_S3_PKT3_PKT1_PKS3_PS4_l16rocsparse_order_.num_named_barrier, 0
	.set _ZN9rocsparseL16csc2dense_kernelILi16ELi64Eli21rocsparse_complex_numIdEEEviT2_S3_PKT3_PKT1_PKS3_PS4_l16rocsparse_order_.private_seg_size, 0
	.set _ZN9rocsparseL16csc2dense_kernelILi16ELi64Eli21rocsparse_complex_numIdEEEviT2_S3_PKT3_PKT1_PKS3_PS4_l16rocsparse_order_.uses_vcc, 1
	.set _ZN9rocsparseL16csc2dense_kernelILi16ELi64Eli21rocsparse_complex_numIdEEEviT2_S3_PKT3_PKT1_PKS3_PS4_l16rocsparse_order_.uses_flat_scratch, 0
	.set _ZN9rocsparseL16csc2dense_kernelILi16ELi64Eli21rocsparse_complex_numIdEEEviT2_S3_PKT3_PKT1_PKS3_PS4_l16rocsparse_order_.has_dyn_sized_stack, 0
	.set _ZN9rocsparseL16csc2dense_kernelILi16ELi64Eli21rocsparse_complex_numIdEEEviT2_S3_PKT3_PKT1_PKS3_PS4_l16rocsparse_order_.has_recursion, 0
	.set _ZN9rocsparseL16csc2dense_kernelILi16ELi64Eli21rocsparse_complex_numIdEEEviT2_S3_PKT3_PKT1_PKS3_PS4_l16rocsparse_order_.has_indirect_call, 0
	.section	.AMDGPU.csdata,"",@progbits
; Kernel info:
; codeLenInByte = 432
; TotalNumSgprs: 20
; NumVgprs: 18
; NumAgprs: 0
; TotalNumVgprs: 18
; ScratchSize: 0
; MemoryBound: 0
; FloatMode: 240
; IeeeMode: 1
; LDSByteSize: 0 bytes/workgroup (compile time only)
; SGPRBlocks: 2
; VGPRBlocks: 2
; NumSGPRsForWavesPerEU: 20
; NumVGPRsForWavesPerEU: 18
; AccumOffset: 20
; Occupancy: 8
; WaveLimiterHint : 0
; COMPUTE_PGM_RSRC2:SCRATCH_EN: 0
; COMPUTE_PGM_RSRC2:USER_SGPR: 2
; COMPUTE_PGM_RSRC2:TRAP_HANDLER: 0
; COMPUTE_PGM_RSRC2:TGID_X_EN: 1
; COMPUTE_PGM_RSRC2:TGID_Y_EN: 0
; COMPUTE_PGM_RSRC2:TGID_Z_EN: 0
; COMPUTE_PGM_RSRC2:TIDIG_COMP_CNT: 0
; COMPUTE_PGM_RSRC3_GFX90A:ACCUM_OFFSET: 4
; COMPUTE_PGM_RSRC3_GFX90A:TG_SPLIT: 0
	.section	.text._ZN9rocsparseL23sddmm_csx_sample_kernelILi512ELi64EL20rocsparse_direction_1E21rocsparse_complex_numIdEliS3_EEvT4_S4_T3_PKT5_S4_PS6_PKS5_PKS4_21rocsparse_index_base_,"axG",@progbits,_ZN9rocsparseL23sddmm_csx_sample_kernelILi512ELi64EL20rocsparse_direction_1E21rocsparse_complex_numIdEliS3_EEvT4_S4_T3_PKT5_S4_PS6_PKS5_PKS4_21rocsparse_index_base_,comdat
	.globl	_ZN9rocsparseL23sddmm_csx_sample_kernelILi512ELi64EL20rocsparse_direction_1E21rocsparse_complex_numIdEliS3_EEvT4_S4_T3_PKT5_S4_PS6_PKS5_PKS4_21rocsparse_index_base_ ; -- Begin function _ZN9rocsparseL23sddmm_csx_sample_kernelILi512ELi64EL20rocsparse_direction_1E21rocsparse_complex_numIdEliS3_EEvT4_S4_T3_PKT5_S4_PS6_PKS5_PKS4_21rocsparse_index_base_
	.p2align	8
	.type	_ZN9rocsparseL23sddmm_csx_sample_kernelILi512ELi64EL20rocsparse_direction_1E21rocsparse_complex_numIdEliS3_EEvT4_S4_T3_PKT5_S4_PS6_PKS5_PKS4_21rocsparse_index_base_,@function
_ZN9rocsparseL23sddmm_csx_sample_kernelILi512ELi64EL20rocsparse_direction_1E21rocsparse_complex_numIdEliS3_EEvT4_S4_T3_PKT5_S4_PS6_PKS5_PKS4_21rocsparse_index_base_: ; @_ZN9rocsparseL23sddmm_csx_sample_kernelILi512ELi64EL20rocsparse_direction_1E21rocsparse_complex_numIdEliS3_EEvT4_S4_T3_PKT5_S4_PS6_PKS5_PKS4_21rocsparse_index_base_
; %bb.0:
	s_load_dword s3, s[0:1], 0x4
	v_lshrrev_b32_e32 v1, 6, v0
	v_lshl_or_b32 v4, s2, 3, v1
	s_waitcnt lgkmcnt(0)
	v_cmp_gt_u32_e32 vcc, s3, v4
	s_and_saveexec_b64 s[2:3], vcc
	s_cbranch_execz .LBB139_4
; %bb.1:
	s_load_dwordx2 s[2:3], s[0:1], 0x28
	s_load_dword s4, s[0:1], 0x38
	v_mov_b32_e32 v5, 0
	v_and_b32_e32 v0, 63, v0
	s_waitcnt lgkmcnt(0)
	v_lshl_add_u64 v[2:3], v[4:5], 3, s[2:3]
	global_load_dwordx4 v[6:9], v[2:3], off
	v_subrev_co_u32_e32 v0, vcc, s4, v0
	s_nop 1
	v_subb_co_u32_e64 v1, s[2:3], 0, 0, vcc
	s_waitcnt vmcnt(0)
	v_subrev_co_u32_e32 v2, vcc, s4, v8
	v_lshl_add_u64 v[0:1], v[0:1], 0, v[6:7]
	s_nop 0
	v_subbrev_co_u32_e32 v3, vcc, 0, v9, vcc
	v_cmp_lt_i64_e32 vcc, v[0:1], v[2:3]
	s_and_b64 exec, exec, vcc
	s_cbranch_execz .LBB139_4
; %bb.2:
	s_load_dwordx2 s[6:7], s[0:1], 0x30
	s_load_dword s5, s[0:1], 0x18
	s_load_dwordx2 s[8:9], s[0:1], 0x20
	s_load_dwordx2 s[2:3], s[0:1], 0x10
	s_mov_b64 s[0:1], 0
	s_waitcnt lgkmcnt(0)
	v_mul_lo_u32 v6, s5, v4
	v_lshl_add_u64 v[4:5], v[0:1], 4, s[8:9]
	v_subrev_u32_e32 v8, s4, v6
	v_lshl_add_u64 v[6:7], v[0:1], 2, s[6:7]
	s_mov_b64 s[4:5], 0x400
	s_mov_b64 s[6:7], 0x100
.LBB139_3:                              ; =>This Inner Loop Header: Depth=1
	global_load_dword v9, v[6:7], off
	v_lshl_add_u64 v[0:1], v[0:1], 0, 64
	v_cmp_ge_i64_e32 vcc, v[0:1], v[2:3]
	v_lshl_add_u64 v[6:7], v[6:7], 0, s[6:7]
	s_or_b64 s[0:1], vcc, s[0:1]
	s_waitcnt vmcnt(0)
	v_add_u32_e32 v10, v8, v9
	v_ashrrev_i32_e32 v11, 31, v10
	v_lshl_add_u64 v[10:11], v[10:11], 4, s[2:3]
	global_load_dwordx4 v[10:13], v[10:11], off
	s_waitcnt vmcnt(0)
	global_store_dwordx4 v[4:5], v[10:13], off
	v_lshl_add_u64 v[4:5], v[4:5], 0, s[4:5]
	s_andn2_b64 exec, exec, s[0:1]
	s_cbranch_execnz .LBB139_3
.LBB139_4:
	s_endpgm
	.section	.rodata,"a",@progbits
	.p2align	6, 0x0
	.amdhsa_kernel _ZN9rocsparseL23sddmm_csx_sample_kernelILi512ELi64EL20rocsparse_direction_1E21rocsparse_complex_numIdEliS3_EEvT4_S4_T3_PKT5_S4_PS6_PKS5_PKS4_21rocsparse_index_base_
		.amdhsa_group_segment_fixed_size 0
		.amdhsa_private_segment_fixed_size 0
		.amdhsa_kernarg_size 60
		.amdhsa_user_sgpr_count 2
		.amdhsa_user_sgpr_dispatch_ptr 0
		.amdhsa_user_sgpr_queue_ptr 0
		.amdhsa_user_sgpr_kernarg_segment_ptr 1
		.amdhsa_user_sgpr_dispatch_id 0
		.amdhsa_user_sgpr_kernarg_preload_length 0
		.amdhsa_user_sgpr_kernarg_preload_offset 0
		.amdhsa_user_sgpr_private_segment_size 0
		.amdhsa_uses_dynamic_stack 0
		.amdhsa_enable_private_segment 0
		.amdhsa_system_sgpr_workgroup_id_x 1
		.amdhsa_system_sgpr_workgroup_id_y 0
		.amdhsa_system_sgpr_workgroup_id_z 0
		.amdhsa_system_sgpr_workgroup_info 0
		.amdhsa_system_vgpr_workitem_id 0
		.amdhsa_next_free_vgpr 14
		.amdhsa_next_free_sgpr 10
		.amdhsa_accum_offset 16
		.amdhsa_reserve_vcc 1
		.amdhsa_float_round_mode_32 0
		.amdhsa_float_round_mode_16_64 0
		.amdhsa_float_denorm_mode_32 3
		.amdhsa_float_denorm_mode_16_64 3
		.amdhsa_dx10_clamp 1
		.amdhsa_ieee_mode 1
		.amdhsa_fp16_overflow 0
		.amdhsa_tg_split 0
		.amdhsa_exception_fp_ieee_invalid_op 0
		.amdhsa_exception_fp_denorm_src 0
		.amdhsa_exception_fp_ieee_div_zero 0
		.amdhsa_exception_fp_ieee_overflow 0
		.amdhsa_exception_fp_ieee_underflow 0
		.amdhsa_exception_fp_ieee_inexact 0
		.amdhsa_exception_int_div_zero 0
	.end_amdhsa_kernel
	.section	.text._ZN9rocsparseL23sddmm_csx_sample_kernelILi512ELi64EL20rocsparse_direction_1E21rocsparse_complex_numIdEliS3_EEvT4_S4_T3_PKT5_S4_PS6_PKS5_PKS4_21rocsparse_index_base_,"axG",@progbits,_ZN9rocsparseL23sddmm_csx_sample_kernelILi512ELi64EL20rocsparse_direction_1E21rocsparse_complex_numIdEliS3_EEvT4_S4_T3_PKT5_S4_PS6_PKS5_PKS4_21rocsparse_index_base_,comdat
.Lfunc_end139:
	.size	_ZN9rocsparseL23sddmm_csx_sample_kernelILi512ELi64EL20rocsparse_direction_1E21rocsparse_complex_numIdEliS3_EEvT4_S4_T3_PKT5_S4_PS6_PKS5_PKS4_21rocsparse_index_base_, .Lfunc_end139-_ZN9rocsparseL23sddmm_csx_sample_kernelILi512ELi64EL20rocsparse_direction_1E21rocsparse_complex_numIdEliS3_EEvT4_S4_T3_PKT5_S4_PS6_PKS5_PKS4_21rocsparse_index_base_
                                        ; -- End function
	.set _ZN9rocsparseL23sddmm_csx_sample_kernelILi512ELi64EL20rocsparse_direction_1E21rocsparse_complex_numIdEliS3_EEvT4_S4_T3_PKT5_S4_PS6_PKS5_PKS4_21rocsparse_index_base_.num_vgpr, 14
	.set _ZN9rocsparseL23sddmm_csx_sample_kernelILi512ELi64EL20rocsparse_direction_1E21rocsparse_complex_numIdEliS3_EEvT4_S4_T3_PKT5_S4_PS6_PKS5_PKS4_21rocsparse_index_base_.num_agpr, 0
	.set _ZN9rocsparseL23sddmm_csx_sample_kernelILi512ELi64EL20rocsparse_direction_1E21rocsparse_complex_numIdEliS3_EEvT4_S4_T3_PKT5_S4_PS6_PKS5_PKS4_21rocsparse_index_base_.numbered_sgpr, 10
	.set _ZN9rocsparseL23sddmm_csx_sample_kernelILi512ELi64EL20rocsparse_direction_1E21rocsparse_complex_numIdEliS3_EEvT4_S4_T3_PKT5_S4_PS6_PKS5_PKS4_21rocsparse_index_base_.num_named_barrier, 0
	.set _ZN9rocsparseL23sddmm_csx_sample_kernelILi512ELi64EL20rocsparse_direction_1E21rocsparse_complex_numIdEliS3_EEvT4_S4_T3_PKT5_S4_PS6_PKS5_PKS4_21rocsparse_index_base_.private_seg_size, 0
	.set _ZN9rocsparseL23sddmm_csx_sample_kernelILi512ELi64EL20rocsparse_direction_1E21rocsparse_complex_numIdEliS3_EEvT4_S4_T3_PKT5_S4_PS6_PKS5_PKS4_21rocsparse_index_base_.uses_vcc, 1
	.set _ZN9rocsparseL23sddmm_csx_sample_kernelILi512ELi64EL20rocsparse_direction_1E21rocsparse_complex_numIdEliS3_EEvT4_S4_T3_PKT5_S4_PS6_PKS5_PKS4_21rocsparse_index_base_.uses_flat_scratch, 0
	.set _ZN9rocsparseL23sddmm_csx_sample_kernelILi512ELi64EL20rocsparse_direction_1E21rocsparse_complex_numIdEliS3_EEvT4_S4_T3_PKT5_S4_PS6_PKS5_PKS4_21rocsparse_index_base_.has_dyn_sized_stack, 0
	.set _ZN9rocsparseL23sddmm_csx_sample_kernelILi512ELi64EL20rocsparse_direction_1E21rocsparse_complex_numIdEliS3_EEvT4_S4_T3_PKT5_S4_PS6_PKS5_PKS4_21rocsparse_index_base_.has_recursion, 0
	.set _ZN9rocsparseL23sddmm_csx_sample_kernelILi512ELi64EL20rocsparse_direction_1E21rocsparse_complex_numIdEliS3_EEvT4_S4_T3_PKT5_S4_PS6_PKS5_PKS4_21rocsparse_index_base_.has_indirect_call, 0
	.section	.AMDGPU.csdata,"",@progbits
; Kernel info:
; codeLenInByte = 308
; TotalNumSgprs: 16
; NumVgprs: 14
; NumAgprs: 0
; TotalNumVgprs: 14
; ScratchSize: 0
; MemoryBound: 0
; FloatMode: 240
; IeeeMode: 1
; LDSByteSize: 0 bytes/workgroup (compile time only)
; SGPRBlocks: 1
; VGPRBlocks: 1
; NumSGPRsForWavesPerEU: 16
; NumVGPRsForWavesPerEU: 14
; AccumOffset: 16
; Occupancy: 8
; WaveLimiterHint : 0
; COMPUTE_PGM_RSRC2:SCRATCH_EN: 0
; COMPUTE_PGM_RSRC2:USER_SGPR: 2
; COMPUTE_PGM_RSRC2:TRAP_HANDLER: 0
; COMPUTE_PGM_RSRC2:TGID_X_EN: 1
; COMPUTE_PGM_RSRC2:TGID_Y_EN: 0
; COMPUTE_PGM_RSRC2:TGID_Z_EN: 0
; COMPUTE_PGM_RSRC2:TIDIG_COMP_CNT: 0
; COMPUTE_PGM_RSRC3_GFX90A:ACCUM_OFFSET: 3
; COMPUTE_PGM_RSRC3_GFX90A:TG_SPLIT: 0
	.section	.text._ZN9rocsparseL23sddmm_csx_sample_kernelILi512ELi32EL20rocsparse_direction_1E21rocsparse_complex_numIdEliS3_EEvT4_S4_T3_PKT5_S4_PS6_PKS5_PKS4_21rocsparse_index_base_,"axG",@progbits,_ZN9rocsparseL23sddmm_csx_sample_kernelILi512ELi32EL20rocsparse_direction_1E21rocsparse_complex_numIdEliS3_EEvT4_S4_T3_PKT5_S4_PS6_PKS5_PKS4_21rocsparse_index_base_,comdat
	.globl	_ZN9rocsparseL23sddmm_csx_sample_kernelILi512ELi32EL20rocsparse_direction_1E21rocsparse_complex_numIdEliS3_EEvT4_S4_T3_PKT5_S4_PS6_PKS5_PKS4_21rocsparse_index_base_ ; -- Begin function _ZN9rocsparseL23sddmm_csx_sample_kernelILi512ELi32EL20rocsparse_direction_1E21rocsparse_complex_numIdEliS3_EEvT4_S4_T3_PKT5_S4_PS6_PKS5_PKS4_21rocsparse_index_base_
	.p2align	8
	.type	_ZN9rocsparseL23sddmm_csx_sample_kernelILi512ELi32EL20rocsparse_direction_1E21rocsparse_complex_numIdEliS3_EEvT4_S4_T3_PKT5_S4_PS6_PKS5_PKS4_21rocsparse_index_base_,@function
_ZN9rocsparseL23sddmm_csx_sample_kernelILi512ELi32EL20rocsparse_direction_1E21rocsparse_complex_numIdEliS3_EEvT4_S4_T3_PKT5_S4_PS6_PKS5_PKS4_21rocsparse_index_base_: ; @_ZN9rocsparseL23sddmm_csx_sample_kernelILi512ELi32EL20rocsparse_direction_1E21rocsparse_complex_numIdEliS3_EEvT4_S4_T3_PKT5_S4_PS6_PKS5_PKS4_21rocsparse_index_base_
; %bb.0:
	s_load_dword s3, s[0:1], 0x4
	v_lshrrev_b32_e32 v1, 5, v0
	v_lshl_or_b32 v4, s2, 4, v1
	s_waitcnt lgkmcnt(0)
	v_cmp_gt_u32_e32 vcc, s3, v4
	s_and_saveexec_b64 s[2:3], vcc
	s_cbranch_execz .LBB140_4
; %bb.1:
	s_load_dwordx2 s[2:3], s[0:1], 0x28
	s_load_dword s4, s[0:1], 0x38
	v_mov_b32_e32 v5, 0
	v_and_b32_e32 v0, 31, v0
	s_waitcnt lgkmcnt(0)
	v_lshl_add_u64 v[2:3], v[4:5], 3, s[2:3]
	global_load_dwordx4 v[6:9], v[2:3], off
	v_subrev_co_u32_e32 v0, vcc, s4, v0
	s_nop 1
	v_subb_co_u32_e64 v1, s[2:3], 0, 0, vcc
	s_waitcnt vmcnt(0)
	v_subrev_co_u32_e32 v2, vcc, s4, v8
	v_lshl_add_u64 v[0:1], v[0:1], 0, v[6:7]
	s_nop 0
	v_subbrev_co_u32_e32 v3, vcc, 0, v9, vcc
	v_cmp_lt_i64_e32 vcc, v[0:1], v[2:3]
	s_and_b64 exec, exec, vcc
	s_cbranch_execz .LBB140_4
; %bb.2:
	s_load_dwordx2 s[6:7], s[0:1], 0x30
	s_load_dword s5, s[0:1], 0x18
	s_load_dwordx2 s[8:9], s[0:1], 0x20
	s_load_dwordx2 s[2:3], s[0:1], 0x10
	s_mov_b64 s[0:1], 0
	s_waitcnt lgkmcnt(0)
	v_mul_lo_u32 v6, s5, v4
	v_lshl_add_u64 v[4:5], v[0:1], 4, s[8:9]
	v_subrev_u32_e32 v8, s4, v6
	v_lshl_add_u64 v[6:7], v[0:1], 2, s[6:7]
	s_mov_b64 s[4:5], 0x200
	s_mov_b64 s[6:7], 0x80
.LBB140_3:                              ; =>This Inner Loop Header: Depth=1
	global_load_dword v9, v[6:7], off
	v_lshl_add_u64 v[0:1], v[0:1], 0, 32
	v_cmp_ge_i64_e32 vcc, v[0:1], v[2:3]
	v_lshl_add_u64 v[6:7], v[6:7], 0, s[6:7]
	s_or_b64 s[0:1], vcc, s[0:1]
	s_waitcnt vmcnt(0)
	v_add_u32_e32 v10, v8, v9
	v_ashrrev_i32_e32 v11, 31, v10
	v_lshl_add_u64 v[10:11], v[10:11], 4, s[2:3]
	global_load_dwordx4 v[10:13], v[10:11], off
	s_waitcnt vmcnt(0)
	global_store_dwordx4 v[4:5], v[10:13], off
	v_lshl_add_u64 v[4:5], v[4:5], 0, s[4:5]
	s_andn2_b64 exec, exec, s[0:1]
	s_cbranch_execnz .LBB140_3
.LBB140_4:
	s_endpgm
	.section	.rodata,"a",@progbits
	.p2align	6, 0x0
	.amdhsa_kernel _ZN9rocsparseL23sddmm_csx_sample_kernelILi512ELi32EL20rocsparse_direction_1E21rocsparse_complex_numIdEliS3_EEvT4_S4_T3_PKT5_S4_PS6_PKS5_PKS4_21rocsparse_index_base_
		.amdhsa_group_segment_fixed_size 0
		.amdhsa_private_segment_fixed_size 0
		.amdhsa_kernarg_size 60
		.amdhsa_user_sgpr_count 2
		.amdhsa_user_sgpr_dispatch_ptr 0
		.amdhsa_user_sgpr_queue_ptr 0
		.amdhsa_user_sgpr_kernarg_segment_ptr 1
		.amdhsa_user_sgpr_dispatch_id 0
		.amdhsa_user_sgpr_kernarg_preload_length 0
		.amdhsa_user_sgpr_kernarg_preload_offset 0
		.amdhsa_user_sgpr_private_segment_size 0
		.amdhsa_uses_dynamic_stack 0
		.amdhsa_enable_private_segment 0
		.amdhsa_system_sgpr_workgroup_id_x 1
		.amdhsa_system_sgpr_workgroup_id_y 0
		.amdhsa_system_sgpr_workgroup_id_z 0
		.amdhsa_system_sgpr_workgroup_info 0
		.amdhsa_system_vgpr_workitem_id 0
		.amdhsa_next_free_vgpr 14
		.amdhsa_next_free_sgpr 10
		.amdhsa_accum_offset 16
		.amdhsa_reserve_vcc 1
		.amdhsa_float_round_mode_32 0
		.amdhsa_float_round_mode_16_64 0
		.amdhsa_float_denorm_mode_32 3
		.amdhsa_float_denorm_mode_16_64 3
		.amdhsa_dx10_clamp 1
		.amdhsa_ieee_mode 1
		.amdhsa_fp16_overflow 0
		.amdhsa_tg_split 0
		.amdhsa_exception_fp_ieee_invalid_op 0
		.amdhsa_exception_fp_denorm_src 0
		.amdhsa_exception_fp_ieee_div_zero 0
		.amdhsa_exception_fp_ieee_overflow 0
		.amdhsa_exception_fp_ieee_underflow 0
		.amdhsa_exception_fp_ieee_inexact 0
		.amdhsa_exception_int_div_zero 0
	.end_amdhsa_kernel
	.section	.text._ZN9rocsparseL23sddmm_csx_sample_kernelILi512ELi32EL20rocsparse_direction_1E21rocsparse_complex_numIdEliS3_EEvT4_S4_T3_PKT5_S4_PS6_PKS5_PKS4_21rocsparse_index_base_,"axG",@progbits,_ZN9rocsparseL23sddmm_csx_sample_kernelILi512ELi32EL20rocsparse_direction_1E21rocsparse_complex_numIdEliS3_EEvT4_S4_T3_PKT5_S4_PS6_PKS5_PKS4_21rocsparse_index_base_,comdat
.Lfunc_end140:
	.size	_ZN9rocsparseL23sddmm_csx_sample_kernelILi512ELi32EL20rocsparse_direction_1E21rocsparse_complex_numIdEliS3_EEvT4_S4_T3_PKT5_S4_PS6_PKS5_PKS4_21rocsparse_index_base_, .Lfunc_end140-_ZN9rocsparseL23sddmm_csx_sample_kernelILi512ELi32EL20rocsparse_direction_1E21rocsparse_complex_numIdEliS3_EEvT4_S4_T3_PKT5_S4_PS6_PKS5_PKS4_21rocsparse_index_base_
                                        ; -- End function
	.set _ZN9rocsparseL23sddmm_csx_sample_kernelILi512ELi32EL20rocsparse_direction_1E21rocsparse_complex_numIdEliS3_EEvT4_S4_T3_PKT5_S4_PS6_PKS5_PKS4_21rocsparse_index_base_.num_vgpr, 14
	.set _ZN9rocsparseL23sddmm_csx_sample_kernelILi512ELi32EL20rocsparse_direction_1E21rocsparse_complex_numIdEliS3_EEvT4_S4_T3_PKT5_S4_PS6_PKS5_PKS4_21rocsparse_index_base_.num_agpr, 0
	.set _ZN9rocsparseL23sddmm_csx_sample_kernelILi512ELi32EL20rocsparse_direction_1E21rocsparse_complex_numIdEliS3_EEvT4_S4_T3_PKT5_S4_PS6_PKS5_PKS4_21rocsparse_index_base_.numbered_sgpr, 10
	.set _ZN9rocsparseL23sddmm_csx_sample_kernelILi512ELi32EL20rocsparse_direction_1E21rocsparse_complex_numIdEliS3_EEvT4_S4_T3_PKT5_S4_PS6_PKS5_PKS4_21rocsparse_index_base_.num_named_barrier, 0
	.set _ZN9rocsparseL23sddmm_csx_sample_kernelILi512ELi32EL20rocsparse_direction_1E21rocsparse_complex_numIdEliS3_EEvT4_S4_T3_PKT5_S4_PS6_PKS5_PKS4_21rocsparse_index_base_.private_seg_size, 0
	.set _ZN9rocsparseL23sddmm_csx_sample_kernelILi512ELi32EL20rocsparse_direction_1E21rocsparse_complex_numIdEliS3_EEvT4_S4_T3_PKT5_S4_PS6_PKS5_PKS4_21rocsparse_index_base_.uses_vcc, 1
	.set _ZN9rocsparseL23sddmm_csx_sample_kernelILi512ELi32EL20rocsparse_direction_1E21rocsparse_complex_numIdEliS3_EEvT4_S4_T3_PKT5_S4_PS6_PKS5_PKS4_21rocsparse_index_base_.uses_flat_scratch, 0
	.set _ZN9rocsparseL23sddmm_csx_sample_kernelILi512ELi32EL20rocsparse_direction_1E21rocsparse_complex_numIdEliS3_EEvT4_S4_T3_PKT5_S4_PS6_PKS5_PKS4_21rocsparse_index_base_.has_dyn_sized_stack, 0
	.set _ZN9rocsparseL23sddmm_csx_sample_kernelILi512ELi32EL20rocsparse_direction_1E21rocsparse_complex_numIdEliS3_EEvT4_S4_T3_PKT5_S4_PS6_PKS5_PKS4_21rocsparse_index_base_.has_recursion, 0
	.set _ZN9rocsparseL23sddmm_csx_sample_kernelILi512ELi32EL20rocsparse_direction_1E21rocsparse_complex_numIdEliS3_EEvT4_S4_T3_PKT5_S4_PS6_PKS5_PKS4_21rocsparse_index_base_.has_indirect_call, 0
	.section	.AMDGPU.csdata,"",@progbits
; Kernel info:
; codeLenInByte = 308
; TotalNumSgprs: 16
; NumVgprs: 14
; NumAgprs: 0
; TotalNumVgprs: 14
; ScratchSize: 0
; MemoryBound: 0
; FloatMode: 240
; IeeeMode: 1
; LDSByteSize: 0 bytes/workgroup (compile time only)
; SGPRBlocks: 1
; VGPRBlocks: 1
; NumSGPRsForWavesPerEU: 16
; NumVGPRsForWavesPerEU: 14
; AccumOffset: 16
; Occupancy: 8
; WaveLimiterHint : 0
; COMPUTE_PGM_RSRC2:SCRATCH_EN: 0
; COMPUTE_PGM_RSRC2:USER_SGPR: 2
; COMPUTE_PGM_RSRC2:TRAP_HANDLER: 0
; COMPUTE_PGM_RSRC2:TGID_X_EN: 1
; COMPUTE_PGM_RSRC2:TGID_Y_EN: 0
; COMPUTE_PGM_RSRC2:TGID_Z_EN: 0
; COMPUTE_PGM_RSRC2:TIDIG_COMP_CNT: 0
; COMPUTE_PGM_RSRC3_GFX90A:ACCUM_OFFSET: 3
; COMPUTE_PGM_RSRC3_GFX90A:TG_SPLIT: 0
	.section	.text._ZN9rocsparseL23sddmm_csx_sample_kernelILi512ELi16EL20rocsparse_direction_1E21rocsparse_complex_numIdEliS3_EEvT4_S4_T3_PKT5_S4_PS6_PKS5_PKS4_21rocsparse_index_base_,"axG",@progbits,_ZN9rocsparseL23sddmm_csx_sample_kernelILi512ELi16EL20rocsparse_direction_1E21rocsparse_complex_numIdEliS3_EEvT4_S4_T3_PKT5_S4_PS6_PKS5_PKS4_21rocsparse_index_base_,comdat
	.globl	_ZN9rocsparseL23sddmm_csx_sample_kernelILi512ELi16EL20rocsparse_direction_1E21rocsparse_complex_numIdEliS3_EEvT4_S4_T3_PKT5_S4_PS6_PKS5_PKS4_21rocsparse_index_base_ ; -- Begin function _ZN9rocsparseL23sddmm_csx_sample_kernelILi512ELi16EL20rocsparse_direction_1E21rocsparse_complex_numIdEliS3_EEvT4_S4_T3_PKT5_S4_PS6_PKS5_PKS4_21rocsparse_index_base_
	.p2align	8
	.type	_ZN9rocsparseL23sddmm_csx_sample_kernelILi512ELi16EL20rocsparse_direction_1E21rocsparse_complex_numIdEliS3_EEvT4_S4_T3_PKT5_S4_PS6_PKS5_PKS4_21rocsparse_index_base_,@function
_ZN9rocsparseL23sddmm_csx_sample_kernelILi512ELi16EL20rocsparse_direction_1E21rocsparse_complex_numIdEliS3_EEvT4_S4_T3_PKT5_S4_PS6_PKS5_PKS4_21rocsparse_index_base_: ; @_ZN9rocsparseL23sddmm_csx_sample_kernelILi512ELi16EL20rocsparse_direction_1E21rocsparse_complex_numIdEliS3_EEvT4_S4_T3_PKT5_S4_PS6_PKS5_PKS4_21rocsparse_index_base_
; %bb.0:
	s_load_dword s3, s[0:1], 0x4
	v_lshrrev_b32_e32 v1, 4, v0
	v_lshl_or_b32 v4, s2, 5, v1
	s_waitcnt lgkmcnt(0)
	v_cmp_gt_u32_e32 vcc, s3, v4
	s_and_saveexec_b64 s[2:3], vcc
	s_cbranch_execz .LBB141_4
; %bb.1:
	s_load_dwordx2 s[2:3], s[0:1], 0x28
	s_load_dword s4, s[0:1], 0x38
	v_mov_b32_e32 v5, 0
	v_and_b32_e32 v0, 15, v0
	s_waitcnt lgkmcnt(0)
	v_lshl_add_u64 v[2:3], v[4:5], 3, s[2:3]
	global_load_dwordx4 v[6:9], v[2:3], off
	v_subrev_co_u32_e32 v0, vcc, s4, v0
	s_nop 1
	v_subb_co_u32_e64 v1, s[2:3], 0, 0, vcc
	s_waitcnt vmcnt(0)
	v_subrev_co_u32_e32 v2, vcc, s4, v8
	v_lshl_add_u64 v[0:1], v[0:1], 0, v[6:7]
	s_nop 0
	v_subbrev_co_u32_e32 v3, vcc, 0, v9, vcc
	v_cmp_lt_i64_e32 vcc, v[0:1], v[2:3]
	s_and_b64 exec, exec, vcc
	s_cbranch_execz .LBB141_4
; %bb.2:
	s_load_dwordx2 s[6:7], s[0:1], 0x30
	s_load_dword s5, s[0:1], 0x18
	s_load_dwordx2 s[8:9], s[0:1], 0x20
	s_load_dwordx2 s[2:3], s[0:1], 0x10
	s_mov_b64 s[0:1], 0
	s_waitcnt lgkmcnt(0)
	v_mul_lo_u32 v6, s5, v4
	v_lshl_add_u64 v[4:5], v[0:1], 4, s[8:9]
	v_subrev_u32_e32 v8, s4, v6
	v_lshl_add_u64 v[6:7], v[0:1], 2, s[6:7]
	s_mov_b64 s[4:5], 0x100
.LBB141_3:                              ; =>This Inner Loop Header: Depth=1
	global_load_dword v9, v[6:7], off
	v_lshl_add_u64 v[0:1], v[0:1], 0, 16
	v_cmp_ge_i64_e32 vcc, v[0:1], v[2:3]
	v_lshl_add_u64 v[6:7], v[6:7], 0, 64
	s_or_b64 s[0:1], vcc, s[0:1]
	s_waitcnt vmcnt(0)
	v_add_u32_e32 v10, v8, v9
	v_ashrrev_i32_e32 v11, 31, v10
	v_lshl_add_u64 v[10:11], v[10:11], 4, s[2:3]
	global_load_dwordx4 v[10:13], v[10:11], off
	s_waitcnt vmcnt(0)
	global_store_dwordx4 v[4:5], v[10:13], off
	v_lshl_add_u64 v[4:5], v[4:5], 0, s[4:5]
	s_andn2_b64 exec, exec, s[0:1]
	s_cbranch_execnz .LBB141_3
.LBB141_4:
	s_endpgm
	.section	.rodata,"a",@progbits
	.p2align	6, 0x0
	.amdhsa_kernel _ZN9rocsparseL23sddmm_csx_sample_kernelILi512ELi16EL20rocsparse_direction_1E21rocsparse_complex_numIdEliS3_EEvT4_S4_T3_PKT5_S4_PS6_PKS5_PKS4_21rocsparse_index_base_
		.amdhsa_group_segment_fixed_size 0
		.amdhsa_private_segment_fixed_size 0
		.amdhsa_kernarg_size 60
		.amdhsa_user_sgpr_count 2
		.amdhsa_user_sgpr_dispatch_ptr 0
		.amdhsa_user_sgpr_queue_ptr 0
		.amdhsa_user_sgpr_kernarg_segment_ptr 1
		.amdhsa_user_sgpr_dispatch_id 0
		.amdhsa_user_sgpr_kernarg_preload_length 0
		.amdhsa_user_sgpr_kernarg_preload_offset 0
		.amdhsa_user_sgpr_private_segment_size 0
		.amdhsa_uses_dynamic_stack 0
		.amdhsa_enable_private_segment 0
		.amdhsa_system_sgpr_workgroup_id_x 1
		.amdhsa_system_sgpr_workgroup_id_y 0
		.amdhsa_system_sgpr_workgroup_id_z 0
		.amdhsa_system_sgpr_workgroup_info 0
		.amdhsa_system_vgpr_workitem_id 0
		.amdhsa_next_free_vgpr 14
		.amdhsa_next_free_sgpr 10
		.amdhsa_accum_offset 16
		.amdhsa_reserve_vcc 1
		.amdhsa_float_round_mode_32 0
		.amdhsa_float_round_mode_16_64 0
		.amdhsa_float_denorm_mode_32 3
		.amdhsa_float_denorm_mode_16_64 3
		.amdhsa_dx10_clamp 1
		.amdhsa_ieee_mode 1
		.amdhsa_fp16_overflow 0
		.amdhsa_tg_split 0
		.amdhsa_exception_fp_ieee_invalid_op 0
		.amdhsa_exception_fp_denorm_src 0
		.amdhsa_exception_fp_ieee_div_zero 0
		.amdhsa_exception_fp_ieee_overflow 0
		.amdhsa_exception_fp_ieee_underflow 0
		.amdhsa_exception_fp_ieee_inexact 0
		.amdhsa_exception_int_div_zero 0
	.end_amdhsa_kernel
	.section	.text._ZN9rocsparseL23sddmm_csx_sample_kernelILi512ELi16EL20rocsparse_direction_1E21rocsparse_complex_numIdEliS3_EEvT4_S4_T3_PKT5_S4_PS6_PKS5_PKS4_21rocsparse_index_base_,"axG",@progbits,_ZN9rocsparseL23sddmm_csx_sample_kernelILi512ELi16EL20rocsparse_direction_1E21rocsparse_complex_numIdEliS3_EEvT4_S4_T3_PKT5_S4_PS6_PKS5_PKS4_21rocsparse_index_base_,comdat
.Lfunc_end141:
	.size	_ZN9rocsparseL23sddmm_csx_sample_kernelILi512ELi16EL20rocsparse_direction_1E21rocsparse_complex_numIdEliS3_EEvT4_S4_T3_PKT5_S4_PS6_PKS5_PKS4_21rocsparse_index_base_, .Lfunc_end141-_ZN9rocsparseL23sddmm_csx_sample_kernelILi512ELi16EL20rocsparse_direction_1E21rocsparse_complex_numIdEliS3_EEvT4_S4_T3_PKT5_S4_PS6_PKS5_PKS4_21rocsparse_index_base_
                                        ; -- End function
	.set _ZN9rocsparseL23sddmm_csx_sample_kernelILi512ELi16EL20rocsparse_direction_1E21rocsparse_complex_numIdEliS3_EEvT4_S4_T3_PKT5_S4_PS6_PKS5_PKS4_21rocsparse_index_base_.num_vgpr, 14
	.set _ZN9rocsparseL23sddmm_csx_sample_kernelILi512ELi16EL20rocsparse_direction_1E21rocsparse_complex_numIdEliS3_EEvT4_S4_T3_PKT5_S4_PS6_PKS5_PKS4_21rocsparse_index_base_.num_agpr, 0
	.set _ZN9rocsparseL23sddmm_csx_sample_kernelILi512ELi16EL20rocsparse_direction_1E21rocsparse_complex_numIdEliS3_EEvT4_S4_T3_PKT5_S4_PS6_PKS5_PKS4_21rocsparse_index_base_.numbered_sgpr, 10
	.set _ZN9rocsparseL23sddmm_csx_sample_kernelILi512ELi16EL20rocsparse_direction_1E21rocsparse_complex_numIdEliS3_EEvT4_S4_T3_PKT5_S4_PS6_PKS5_PKS4_21rocsparse_index_base_.num_named_barrier, 0
	.set _ZN9rocsparseL23sddmm_csx_sample_kernelILi512ELi16EL20rocsparse_direction_1E21rocsparse_complex_numIdEliS3_EEvT4_S4_T3_PKT5_S4_PS6_PKS5_PKS4_21rocsparse_index_base_.private_seg_size, 0
	.set _ZN9rocsparseL23sddmm_csx_sample_kernelILi512ELi16EL20rocsparse_direction_1E21rocsparse_complex_numIdEliS3_EEvT4_S4_T3_PKT5_S4_PS6_PKS5_PKS4_21rocsparse_index_base_.uses_vcc, 1
	.set _ZN9rocsparseL23sddmm_csx_sample_kernelILi512ELi16EL20rocsparse_direction_1E21rocsparse_complex_numIdEliS3_EEvT4_S4_T3_PKT5_S4_PS6_PKS5_PKS4_21rocsparse_index_base_.uses_flat_scratch, 0
	.set _ZN9rocsparseL23sddmm_csx_sample_kernelILi512ELi16EL20rocsparse_direction_1E21rocsparse_complex_numIdEliS3_EEvT4_S4_T3_PKT5_S4_PS6_PKS5_PKS4_21rocsparse_index_base_.has_dyn_sized_stack, 0
	.set _ZN9rocsparseL23sddmm_csx_sample_kernelILi512ELi16EL20rocsparse_direction_1E21rocsparse_complex_numIdEliS3_EEvT4_S4_T3_PKT5_S4_PS6_PKS5_PKS4_21rocsparse_index_base_.has_recursion, 0
	.set _ZN9rocsparseL23sddmm_csx_sample_kernelILi512ELi16EL20rocsparse_direction_1E21rocsparse_complex_numIdEliS3_EEvT4_S4_T3_PKT5_S4_PS6_PKS5_PKS4_21rocsparse_index_base_.has_indirect_call, 0
	.section	.AMDGPU.csdata,"",@progbits
; Kernel info:
; codeLenInByte = 300
; TotalNumSgprs: 16
; NumVgprs: 14
; NumAgprs: 0
; TotalNumVgprs: 14
; ScratchSize: 0
; MemoryBound: 0
; FloatMode: 240
; IeeeMode: 1
; LDSByteSize: 0 bytes/workgroup (compile time only)
; SGPRBlocks: 1
; VGPRBlocks: 1
; NumSGPRsForWavesPerEU: 16
; NumVGPRsForWavesPerEU: 14
; AccumOffset: 16
; Occupancy: 8
; WaveLimiterHint : 0
; COMPUTE_PGM_RSRC2:SCRATCH_EN: 0
; COMPUTE_PGM_RSRC2:USER_SGPR: 2
; COMPUTE_PGM_RSRC2:TRAP_HANDLER: 0
; COMPUTE_PGM_RSRC2:TGID_X_EN: 1
; COMPUTE_PGM_RSRC2:TGID_Y_EN: 0
; COMPUTE_PGM_RSRC2:TGID_Z_EN: 0
; COMPUTE_PGM_RSRC2:TIDIG_COMP_CNT: 0
; COMPUTE_PGM_RSRC3_GFX90A:ACCUM_OFFSET: 3
; COMPUTE_PGM_RSRC3_GFX90A:TG_SPLIT: 0
	.section	.text._ZN9rocsparseL23sddmm_csx_sample_kernelILi512ELi8EL20rocsparse_direction_1E21rocsparse_complex_numIdEliS3_EEvT4_S4_T3_PKT5_S4_PS6_PKS5_PKS4_21rocsparse_index_base_,"axG",@progbits,_ZN9rocsparseL23sddmm_csx_sample_kernelILi512ELi8EL20rocsparse_direction_1E21rocsparse_complex_numIdEliS3_EEvT4_S4_T3_PKT5_S4_PS6_PKS5_PKS4_21rocsparse_index_base_,comdat
	.globl	_ZN9rocsparseL23sddmm_csx_sample_kernelILi512ELi8EL20rocsparse_direction_1E21rocsparse_complex_numIdEliS3_EEvT4_S4_T3_PKT5_S4_PS6_PKS5_PKS4_21rocsparse_index_base_ ; -- Begin function _ZN9rocsparseL23sddmm_csx_sample_kernelILi512ELi8EL20rocsparse_direction_1E21rocsparse_complex_numIdEliS3_EEvT4_S4_T3_PKT5_S4_PS6_PKS5_PKS4_21rocsparse_index_base_
	.p2align	8
	.type	_ZN9rocsparseL23sddmm_csx_sample_kernelILi512ELi8EL20rocsparse_direction_1E21rocsparse_complex_numIdEliS3_EEvT4_S4_T3_PKT5_S4_PS6_PKS5_PKS4_21rocsparse_index_base_,@function
_ZN9rocsparseL23sddmm_csx_sample_kernelILi512ELi8EL20rocsparse_direction_1E21rocsparse_complex_numIdEliS3_EEvT4_S4_T3_PKT5_S4_PS6_PKS5_PKS4_21rocsparse_index_base_: ; @_ZN9rocsparseL23sddmm_csx_sample_kernelILi512ELi8EL20rocsparse_direction_1E21rocsparse_complex_numIdEliS3_EEvT4_S4_T3_PKT5_S4_PS6_PKS5_PKS4_21rocsparse_index_base_
; %bb.0:
	s_load_dword s3, s[0:1], 0x4
	v_lshrrev_b32_e32 v1, 3, v0
	v_lshl_or_b32 v4, s2, 6, v1
	s_waitcnt lgkmcnt(0)
	v_cmp_gt_u32_e32 vcc, s3, v4
	s_and_saveexec_b64 s[2:3], vcc
	s_cbranch_execz .LBB142_4
; %bb.1:
	s_load_dwordx2 s[2:3], s[0:1], 0x28
	s_load_dword s4, s[0:1], 0x38
	v_mov_b32_e32 v5, 0
	v_and_b32_e32 v0, 7, v0
	s_waitcnt lgkmcnt(0)
	v_lshl_add_u64 v[2:3], v[4:5], 3, s[2:3]
	global_load_dwordx4 v[6:9], v[2:3], off
	v_subrev_co_u32_e32 v0, vcc, s4, v0
	s_nop 1
	v_subb_co_u32_e64 v1, s[2:3], 0, 0, vcc
	s_waitcnt vmcnt(0)
	v_subrev_co_u32_e32 v2, vcc, s4, v8
	v_lshl_add_u64 v[0:1], v[0:1], 0, v[6:7]
	s_nop 0
	v_subbrev_co_u32_e32 v3, vcc, 0, v9, vcc
	v_cmp_lt_i64_e32 vcc, v[0:1], v[2:3]
	s_and_b64 exec, exec, vcc
	s_cbranch_execz .LBB142_4
; %bb.2:
	s_load_dwordx2 s[6:7], s[0:1], 0x30
	s_load_dword s5, s[0:1], 0x18
	s_load_dwordx2 s[8:9], s[0:1], 0x20
	s_load_dwordx2 s[2:3], s[0:1], 0x10
	s_mov_b64 s[0:1], 0
	s_waitcnt lgkmcnt(0)
	v_mul_lo_u32 v6, s5, v4
	v_lshl_add_u64 v[4:5], v[0:1], 4, s[8:9]
	v_subrev_u32_e32 v8, s4, v6
	v_lshl_add_u64 v[6:7], v[0:1], 2, s[6:7]
	s_mov_b64 s[4:5], 0x80
.LBB142_3:                              ; =>This Inner Loop Header: Depth=1
	global_load_dword v9, v[6:7], off
	v_lshl_add_u64 v[0:1], v[0:1], 0, 8
	v_cmp_ge_i64_e32 vcc, v[0:1], v[2:3]
	v_lshl_add_u64 v[6:7], v[6:7], 0, 32
	s_or_b64 s[0:1], vcc, s[0:1]
	s_waitcnt vmcnt(0)
	v_add_u32_e32 v10, v8, v9
	v_ashrrev_i32_e32 v11, 31, v10
	v_lshl_add_u64 v[10:11], v[10:11], 4, s[2:3]
	global_load_dwordx4 v[10:13], v[10:11], off
	s_waitcnt vmcnt(0)
	global_store_dwordx4 v[4:5], v[10:13], off
	v_lshl_add_u64 v[4:5], v[4:5], 0, s[4:5]
	s_andn2_b64 exec, exec, s[0:1]
	s_cbranch_execnz .LBB142_3
.LBB142_4:
	s_endpgm
	.section	.rodata,"a",@progbits
	.p2align	6, 0x0
	.amdhsa_kernel _ZN9rocsparseL23sddmm_csx_sample_kernelILi512ELi8EL20rocsparse_direction_1E21rocsparse_complex_numIdEliS3_EEvT4_S4_T3_PKT5_S4_PS6_PKS5_PKS4_21rocsparse_index_base_
		.amdhsa_group_segment_fixed_size 0
		.amdhsa_private_segment_fixed_size 0
		.amdhsa_kernarg_size 60
		.amdhsa_user_sgpr_count 2
		.amdhsa_user_sgpr_dispatch_ptr 0
		.amdhsa_user_sgpr_queue_ptr 0
		.amdhsa_user_sgpr_kernarg_segment_ptr 1
		.amdhsa_user_sgpr_dispatch_id 0
		.amdhsa_user_sgpr_kernarg_preload_length 0
		.amdhsa_user_sgpr_kernarg_preload_offset 0
		.amdhsa_user_sgpr_private_segment_size 0
		.amdhsa_uses_dynamic_stack 0
		.amdhsa_enable_private_segment 0
		.amdhsa_system_sgpr_workgroup_id_x 1
		.amdhsa_system_sgpr_workgroup_id_y 0
		.amdhsa_system_sgpr_workgroup_id_z 0
		.amdhsa_system_sgpr_workgroup_info 0
		.amdhsa_system_vgpr_workitem_id 0
		.amdhsa_next_free_vgpr 14
		.amdhsa_next_free_sgpr 10
		.amdhsa_accum_offset 16
		.amdhsa_reserve_vcc 1
		.amdhsa_float_round_mode_32 0
		.amdhsa_float_round_mode_16_64 0
		.amdhsa_float_denorm_mode_32 3
		.amdhsa_float_denorm_mode_16_64 3
		.amdhsa_dx10_clamp 1
		.amdhsa_ieee_mode 1
		.amdhsa_fp16_overflow 0
		.amdhsa_tg_split 0
		.amdhsa_exception_fp_ieee_invalid_op 0
		.amdhsa_exception_fp_denorm_src 0
		.amdhsa_exception_fp_ieee_div_zero 0
		.amdhsa_exception_fp_ieee_overflow 0
		.amdhsa_exception_fp_ieee_underflow 0
		.amdhsa_exception_fp_ieee_inexact 0
		.amdhsa_exception_int_div_zero 0
	.end_amdhsa_kernel
	.section	.text._ZN9rocsparseL23sddmm_csx_sample_kernelILi512ELi8EL20rocsparse_direction_1E21rocsparse_complex_numIdEliS3_EEvT4_S4_T3_PKT5_S4_PS6_PKS5_PKS4_21rocsparse_index_base_,"axG",@progbits,_ZN9rocsparseL23sddmm_csx_sample_kernelILi512ELi8EL20rocsparse_direction_1E21rocsparse_complex_numIdEliS3_EEvT4_S4_T3_PKT5_S4_PS6_PKS5_PKS4_21rocsparse_index_base_,comdat
.Lfunc_end142:
	.size	_ZN9rocsparseL23sddmm_csx_sample_kernelILi512ELi8EL20rocsparse_direction_1E21rocsparse_complex_numIdEliS3_EEvT4_S4_T3_PKT5_S4_PS6_PKS5_PKS4_21rocsparse_index_base_, .Lfunc_end142-_ZN9rocsparseL23sddmm_csx_sample_kernelILi512ELi8EL20rocsparse_direction_1E21rocsparse_complex_numIdEliS3_EEvT4_S4_T3_PKT5_S4_PS6_PKS5_PKS4_21rocsparse_index_base_
                                        ; -- End function
	.set _ZN9rocsparseL23sddmm_csx_sample_kernelILi512ELi8EL20rocsparse_direction_1E21rocsparse_complex_numIdEliS3_EEvT4_S4_T3_PKT5_S4_PS6_PKS5_PKS4_21rocsparse_index_base_.num_vgpr, 14
	.set _ZN9rocsparseL23sddmm_csx_sample_kernelILi512ELi8EL20rocsparse_direction_1E21rocsparse_complex_numIdEliS3_EEvT4_S4_T3_PKT5_S4_PS6_PKS5_PKS4_21rocsparse_index_base_.num_agpr, 0
	.set _ZN9rocsparseL23sddmm_csx_sample_kernelILi512ELi8EL20rocsparse_direction_1E21rocsparse_complex_numIdEliS3_EEvT4_S4_T3_PKT5_S4_PS6_PKS5_PKS4_21rocsparse_index_base_.numbered_sgpr, 10
	.set _ZN9rocsparseL23sddmm_csx_sample_kernelILi512ELi8EL20rocsparse_direction_1E21rocsparse_complex_numIdEliS3_EEvT4_S4_T3_PKT5_S4_PS6_PKS5_PKS4_21rocsparse_index_base_.num_named_barrier, 0
	.set _ZN9rocsparseL23sddmm_csx_sample_kernelILi512ELi8EL20rocsparse_direction_1E21rocsparse_complex_numIdEliS3_EEvT4_S4_T3_PKT5_S4_PS6_PKS5_PKS4_21rocsparse_index_base_.private_seg_size, 0
	.set _ZN9rocsparseL23sddmm_csx_sample_kernelILi512ELi8EL20rocsparse_direction_1E21rocsparse_complex_numIdEliS3_EEvT4_S4_T3_PKT5_S4_PS6_PKS5_PKS4_21rocsparse_index_base_.uses_vcc, 1
	.set _ZN9rocsparseL23sddmm_csx_sample_kernelILi512ELi8EL20rocsparse_direction_1E21rocsparse_complex_numIdEliS3_EEvT4_S4_T3_PKT5_S4_PS6_PKS5_PKS4_21rocsparse_index_base_.uses_flat_scratch, 0
	.set _ZN9rocsparseL23sddmm_csx_sample_kernelILi512ELi8EL20rocsparse_direction_1E21rocsparse_complex_numIdEliS3_EEvT4_S4_T3_PKT5_S4_PS6_PKS5_PKS4_21rocsparse_index_base_.has_dyn_sized_stack, 0
	.set _ZN9rocsparseL23sddmm_csx_sample_kernelILi512ELi8EL20rocsparse_direction_1E21rocsparse_complex_numIdEliS3_EEvT4_S4_T3_PKT5_S4_PS6_PKS5_PKS4_21rocsparse_index_base_.has_recursion, 0
	.set _ZN9rocsparseL23sddmm_csx_sample_kernelILi512ELi8EL20rocsparse_direction_1E21rocsparse_complex_numIdEliS3_EEvT4_S4_T3_PKT5_S4_PS6_PKS5_PKS4_21rocsparse_index_base_.has_indirect_call, 0
	.section	.AMDGPU.csdata,"",@progbits
; Kernel info:
; codeLenInByte = 300
; TotalNumSgprs: 16
; NumVgprs: 14
; NumAgprs: 0
; TotalNumVgprs: 14
; ScratchSize: 0
; MemoryBound: 0
; FloatMode: 240
; IeeeMode: 1
; LDSByteSize: 0 bytes/workgroup (compile time only)
; SGPRBlocks: 1
; VGPRBlocks: 1
; NumSGPRsForWavesPerEU: 16
; NumVGPRsForWavesPerEU: 14
; AccumOffset: 16
; Occupancy: 8
; WaveLimiterHint : 0
; COMPUTE_PGM_RSRC2:SCRATCH_EN: 0
; COMPUTE_PGM_RSRC2:USER_SGPR: 2
; COMPUTE_PGM_RSRC2:TRAP_HANDLER: 0
; COMPUTE_PGM_RSRC2:TGID_X_EN: 1
; COMPUTE_PGM_RSRC2:TGID_Y_EN: 0
; COMPUTE_PGM_RSRC2:TGID_Z_EN: 0
; COMPUTE_PGM_RSRC2:TIDIG_COMP_CNT: 0
; COMPUTE_PGM_RSRC3_GFX90A:ACCUM_OFFSET: 3
; COMPUTE_PGM_RSRC3_GFX90A:TG_SPLIT: 0
	.section	.text._ZN9rocsparseL23sddmm_csx_sample_kernelILi512ELi4EL20rocsparse_direction_1E21rocsparse_complex_numIdEliS3_EEvT4_S4_T3_PKT5_S4_PS6_PKS5_PKS4_21rocsparse_index_base_,"axG",@progbits,_ZN9rocsparseL23sddmm_csx_sample_kernelILi512ELi4EL20rocsparse_direction_1E21rocsparse_complex_numIdEliS3_EEvT4_S4_T3_PKT5_S4_PS6_PKS5_PKS4_21rocsparse_index_base_,comdat
	.globl	_ZN9rocsparseL23sddmm_csx_sample_kernelILi512ELi4EL20rocsparse_direction_1E21rocsparse_complex_numIdEliS3_EEvT4_S4_T3_PKT5_S4_PS6_PKS5_PKS4_21rocsparse_index_base_ ; -- Begin function _ZN9rocsparseL23sddmm_csx_sample_kernelILi512ELi4EL20rocsparse_direction_1E21rocsparse_complex_numIdEliS3_EEvT4_S4_T3_PKT5_S4_PS6_PKS5_PKS4_21rocsparse_index_base_
	.p2align	8
	.type	_ZN9rocsparseL23sddmm_csx_sample_kernelILi512ELi4EL20rocsparse_direction_1E21rocsparse_complex_numIdEliS3_EEvT4_S4_T3_PKT5_S4_PS6_PKS5_PKS4_21rocsparse_index_base_,@function
_ZN9rocsparseL23sddmm_csx_sample_kernelILi512ELi4EL20rocsparse_direction_1E21rocsparse_complex_numIdEliS3_EEvT4_S4_T3_PKT5_S4_PS6_PKS5_PKS4_21rocsparse_index_base_: ; @_ZN9rocsparseL23sddmm_csx_sample_kernelILi512ELi4EL20rocsparse_direction_1E21rocsparse_complex_numIdEliS3_EEvT4_S4_T3_PKT5_S4_PS6_PKS5_PKS4_21rocsparse_index_base_
; %bb.0:
	s_load_dword s3, s[0:1], 0x4
	v_lshrrev_b32_e32 v1, 2, v0
	v_lshl_or_b32 v4, s2, 7, v1
	s_waitcnt lgkmcnt(0)
	v_cmp_gt_u32_e32 vcc, s3, v4
	s_and_saveexec_b64 s[2:3], vcc
	s_cbranch_execz .LBB143_4
; %bb.1:
	s_load_dwordx2 s[2:3], s[0:1], 0x28
	s_load_dword s4, s[0:1], 0x38
	v_mov_b32_e32 v5, 0
	v_and_b32_e32 v0, 3, v0
	s_waitcnt lgkmcnt(0)
	v_lshl_add_u64 v[2:3], v[4:5], 3, s[2:3]
	global_load_dwordx4 v[6:9], v[2:3], off
	v_subrev_co_u32_e32 v0, vcc, s4, v0
	s_nop 1
	v_subb_co_u32_e64 v1, s[2:3], 0, 0, vcc
	s_waitcnt vmcnt(0)
	v_subrev_co_u32_e32 v2, vcc, s4, v8
	v_lshl_add_u64 v[0:1], v[0:1], 0, v[6:7]
	s_nop 0
	v_subbrev_co_u32_e32 v3, vcc, 0, v9, vcc
	v_cmp_lt_i64_e32 vcc, v[0:1], v[2:3]
	s_and_b64 exec, exec, vcc
	s_cbranch_execz .LBB143_4
; %bb.2:
	s_load_dwordx2 s[6:7], s[0:1], 0x30
	s_load_dword s5, s[0:1], 0x18
	s_load_dwordx2 s[8:9], s[0:1], 0x20
	s_load_dwordx2 s[2:3], s[0:1], 0x10
	s_mov_b64 s[0:1], 0
	s_waitcnt lgkmcnt(0)
	v_mul_lo_u32 v6, s5, v4
	v_lshl_add_u64 v[4:5], v[0:1], 4, s[8:9]
	v_subrev_u32_e32 v8, s4, v6
	v_lshl_add_u64 v[6:7], v[0:1], 2, s[6:7]
.LBB143_3:                              ; =>This Inner Loop Header: Depth=1
	global_load_dword v9, v[6:7], off
	v_lshl_add_u64 v[0:1], v[0:1], 0, 4
	v_cmp_ge_i64_e32 vcc, v[0:1], v[2:3]
	v_lshl_add_u64 v[6:7], v[6:7], 0, 16
	s_or_b64 s[0:1], vcc, s[0:1]
	s_waitcnt vmcnt(0)
	v_add_u32_e32 v10, v8, v9
	v_ashrrev_i32_e32 v11, 31, v10
	v_lshl_add_u64 v[10:11], v[10:11], 4, s[2:3]
	global_load_dwordx4 v[10:13], v[10:11], off
	s_waitcnt vmcnt(0)
	global_store_dwordx4 v[4:5], v[10:13], off
	v_lshl_add_u64 v[4:5], v[4:5], 0, 64
	s_andn2_b64 exec, exec, s[0:1]
	s_cbranch_execnz .LBB143_3
.LBB143_4:
	s_endpgm
	.section	.rodata,"a",@progbits
	.p2align	6, 0x0
	.amdhsa_kernel _ZN9rocsparseL23sddmm_csx_sample_kernelILi512ELi4EL20rocsparse_direction_1E21rocsparse_complex_numIdEliS3_EEvT4_S4_T3_PKT5_S4_PS6_PKS5_PKS4_21rocsparse_index_base_
		.amdhsa_group_segment_fixed_size 0
		.amdhsa_private_segment_fixed_size 0
		.amdhsa_kernarg_size 60
		.amdhsa_user_sgpr_count 2
		.amdhsa_user_sgpr_dispatch_ptr 0
		.amdhsa_user_sgpr_queue_ptr 0
		.amdhsa_user_sgpr_kernarg_segment_ptr 1
		.amdhsa_user_sgpr_dispatch_id 0
		.amdhsa_user_sgpr_kernarg_preload_length 0
		.amdhsa_user_sgpr_kernarg_preload_offset 0
		.amdhsa_user_sgpr_private_segment_size 0
		.amdhsa_uses_dynamic_stack 0
		.amdhsa_enable_private_segment 0
		.amdhsa_system_sgpr_workgroup_id_x 1
		.amdhsa_system_sgpr_workgroup_id_y 0
		.amdhsa_system_sgpr_workgroup_id_z 0
		.amdhsa_system_sgpr_workgroup_info 0
		.amdhsa_system_vgpr_workitem_id 0
		.amdhsa_next_free_vgpr 14
		.amdhsa_next_free_sgpr 10
		.amdhsa_accum_offset 16
		.amdhsa_reserve_vcc 1
		.amdhsa_float_round_mode_32 0
		.amdhsa_float_round_mode_16_64 0
		.amdhsa_float_denorm_mode_32 3
		.amdhsa_float_denorm_mode_16_64 3
		.amdhsa_dx10_clamp 1
		.amdhsa_ieee_mode 1
		.amdhsa_fp16_overflow 0
		.amdhsa_tg_split 0
		.amdhsa_exception_fp_ieee_invalid_op 0
		.amdhsa_exception_fp_denorm_src 0
		.amdhsa_exception_fp_ieee_div_zero 0
		.amdhsa_exception_fp_ieee_overflow 0
		.amdhsa_exception_fp_ieee_underflow 0
		.amdhsa_exception_fp_ieee_inexact 0
		.amdhsa_exception_int_div_zero 0
	.end_amdhsa_kernel
	.section	.text._ZN9rocsparseL23sddmm_csx_sample_kernelILi512ELi4EL20rocsparse_direction_1E21rocsparse_complex_numIdEliS3_EEvT4_S4_T3_PKT5_S4_PS6_PKS5_PKS4_21rocsparse_index_base_,"axG",@progbits,_ZN9rocsparseL23sddmm_csx_sample_kernelILi512ELi4EL20rocsparse_direction_1E21rocsparse_complex_numIdEliS3_EEvT4_S4_T3_PKT5_S4_PS6_PKS5_PKS4_21rocsparse_index_base_,comdat
.Lfunc_end143:
	.size	_ZN9rocsparseL23sddmm_csx_sample_kernelILi512ELi4EL20rocsparse_direction_1E21rocsparse_complex_numIdEliS3_EEvT4_S4_T3_PKT5_S4_PS6_PKS5_PKS4_21rocsparse_index_base_, .Lfunc_end143-_ZN9rocsparseL23sddmm_csx_sample_kernelILi512ELi4EL20rocsparse_direction_1E21rocsparse_complex_numIdEliS3_EEvT4_S4_T3_PKT5_S4_PS6_PKS5_PKS4_21rocsparse_index_base_
                                        ; -- End function
	.set _ZN9rocsparseL23sddmm_csx_sample_kernelILi512ELi4EL20rocsparse_direction_1E21rocsparse_complex_numIdEliS3_EEvT4_S4_T3_PKT5_S4_PS6_PKS5_PKS4_21rocsparse_index_base_.num_vgpr, 14
	.set _ZN9rocsparseL23sddmm_csx_sample_kernelILi512ELi4EL20rocsparse_direction_1E21rocsparse_complex_numIdEliS3_EEvT4_S4_T3_PKT5_S4_PS6_PKS5_PKS4_21rocsparse_index_base_.num_agpr, 0
	.set _ZN9rocsparseL23sddmm_csx_sample_kernelILi512ELi4EL20rocsparse_direction_1E21rocsparse_complex_numIdEliS3_EEvT4_S4_T3_PKT5_S4_PS6_PKS5_PKS4_21rocsparse_index_base_.numbered_sgpr, 10
	.set _ZN9rocsparseL23sddmm_csx_sample_kernelILi512ELi4EL20rocsparse_direction_1E21rocsparse_complex_numIdEliS3_EEvT4_S4_T3_PKT5_S4_PS6_PKS5_PKS4_21rocsparse_index_base_.num_named_barrier, 0
	.set _ZN9rocsparseL23sddmm_csx_sample_kernelILi512ELi4EL20rocsparse_direction_1E21rocsparse_complex_numIdEliS3_EEvT4_S4_T3_PKT5_S4_PS6_PKS5_PKS4_21rocsparse_index_base_.private_seg_size, 0
	.set _ZN9rocsparseL23sddmm_csx_sample_kernelILi512ELi4EL20rocsparse_direction_1E21rocsparse_complex_numIdEliS3_EEvT4_S4_T3_PKT5_S4_PS6_PKS5_PKS4_21rocsparse_index_base_.uses_vcc, 1
	.set _ZN9rocsparseL23sddmm_csx_sample_kernelILi512ELi4EL20rocsparse_direction_1E21rocsparse_complex_numIdEliS3_EEvT4_S4_T3_PKT5_S4_PS6_PKS5_PKS4_21rocsparse_index_base_.uses_flat_scratch, 0
	.set _ZN9rocsparseL23sddmm_csx_sample_kernelILi512ELi4EL20rocsparse_direction_1E21rocsparse_complex_numIdEliS3_EEvT4_S4_T3_PKT5_S4_PS6_PKS5_PKS4_21rocsparse_index_base_.has_dyn_sized_stack, 0
	.set _ZN9rocsparseL23sddmm_csx_sample_kernelILi512ELi4EL20rocsparse_direction_1E21rocsparse_complex_numIdEliS3_EEvT4_S4_T3_PKT5_S4_PS6_PKS5_PKS4_21rocsparse_index_base_.has_recursion, 0
	.set _ZN9rocsparseL23sddmm_csx_sample_kernelILi512ELi4EL20rocsparse_direction_1E21rocsparse_complex_numIdEliS3_EEvT4_S4_T3_PKT5_S4_PS6_PKS5_PKS4_21rocsparse_index_base_.has_indirect_call, 0
	.section	.AMDGPU.csdata,"",@progbits
; Kernel info:
; codeLenInByte = 292
; TotalNumSgprs: 16
; NumVgprs: 14
; NumAgprs: 0
; TotalNumVgprs: 14
; ScratchSize: 0
; MemoryBound: 0
; FloatMode: 240
; IeeeMode: 1
; LDSByteSize: 0 bytes/workgroup (compile time only)
; SGPRBlocks: 1
; VGPRBlocks: 1
; NumSGPRsForWavesPerEU: 16
; NumVGPRsForWavesPerEU: 14
; AccumOffset: 16
; Occupancy: 8
; WaveLimiterHint : 0
; COMPUTE_PGM_RSRC2:SCRATCH_EN: 0
; COMPUTE_PGM_RSRC2:USER_SGPR: 2
; COMPUTE_PGM_RSRC2:TRAP_HANDLER: 0
; COMPUTE_PGM_RSRC2:TGID_X_EN: 1
; COMPUTE_PGM_RSRC2:TGID_Y_EN: 0
; COMPUTE_PGM_RSRC2:TGID_Z_EN: 0
; COMPUTE_PGM_RSRC2:TIDIG_COMP_CNT: 0
; COMPUTE_PGM_RSRC3_GFX90A:ACCUM_OFFSET: 3
; COMPUTE_PGM_RSRC3_GFX90A:TG_SPLIT: 0
	.section	.text._ZN9rocsparseL23sddmm_csx_sample_kernelILi512ELi2EL20rocsparse_direction_1E21rocsparse_complex_numIdEliS3_EEvT4_S4_T3_PKT5_S4_PS6_PKS5_PKS4_21rocsparse_index_base_,"axG",@progbits,_ZN9rocsparseL23sddmm_csx_sample_kernelILi512ELi2EL20rocsparse_direction_1E21rocsparse_complex_numIdEliS3_EEvT4_S4_T3_PKT5_S4_PS6_PKS5_PKS4_21rocsparse_index_base_,comdat
	.globl	_ZN9rocsparseL23sddmm_csx_sample_kernelILi512ELi2EL20rocsparse_direction_1E21rocsparse_complex_numIdEliS3_EEvT4_S4_T3_PKT5_S4_PS6_PKS5_PKS4_21rocsparse_index_base_ ; -- Begin function _ZN9rocsparseL23sddmm_csx_sample_kernelILi512ELi2EL20rocsparse_direction_1E21rocsparse_complex_numIdEliS3_EEvT4_S4_T3_PKT5_S4_PS6_PKS5_PKS4_21rocsparse_index_base_
	.p2align	8
	.type	_ZN9rocsparseL23sddmm_csx_sample_kernelILi512ELi2EL20rocsparse_direction_1E21rocsparse_complex_numIdEliS3_EEvT4_S4_T3_PKT5_S4_PS6_PKS5_PKS4_21rocsparse_index_base_,@function
_ZN9rocsparseL23sddmm_csx_sample_kernelILi512ELi2EL20rocsparse_direction_1E21rocsparse_complex_numIdEliS3_EEvT4_S4_T3_PKT5_S4_PS6_PKS5_PKS4_21rocsparse_index_base_: ; @_ZN9rocsparseL23sddmm_csx_sample_kernelILi512ELi2EL20rocsparse_direction_1E21rocsparse_complex_numIdEliS3_EEvT4_S4_T3_PKT5_S4_PS6_PKS5_PKS4_21rocsparse_index_base_
; %bb.0:
	s_load_dword s3, s[0:1], 0x4
	v_lshrrev_b32_e32 v1, 1, v0
	v_lshl_or_b32 v4, s2, 8, v1
	s_waitcnt lgkmcnt(0)
	v_cmp_gt_u32_e32 vcc, s3, v4
	s_and_saveexec_b64 s[2:3], vcc
	s_cbranch_execz .LBB144_4
; %bb.1:
	s_load_dwordx2 s[2:3], s[0:1], 0x28
	s_load_dword s4, s[0:1], 0x38
	v_mov_b32_e32 v5, 0
	v_and_b32_e32 v0, 1, v0
	s_waitcnt lgkmcnt(0)
	v_lshl_add_u64 v[2:3], v[4:5], 3, s[2:3]
	global_load_dwordx4 v[6:9], v[2:3], off
	v_subrev_co_u32_e32 v0, vcc, s4, v0
	s_nop 1
	v_subb_co_u32_e64 v1, s[2:3], 0, 0, vcc
	s_waitcnt vmcnt(0)
	v_subrev_co_u32_e32 v2, vcc, s4, v8
	v_lshl_add_u64 v[0:1], v[0:1], 0, v[6:7]
	s_nop 0
	v_subbrev_co_u32_e32 v3, vcc, 0, v9, vcc
	v_cmp_lt_i64_e32 vcc, v[0:1], v[2:3]
	s_and_b64 exec, exec, vcc
	s_cbranch_execz .LBB144_4
; %bb.2:
	s_load_dwordx2 s[6:7], s[0:1], 0x30
	s_load_dword s5, s[0:1], 0x18
	s_load_dwordx2 s[8:9], s[0:1], 0x20
	s_load_dwordx2 s[2:3], s[0:1], 0x10
	s_mov_b64 s[0:1], 0
	s_waitcnt lgkmcnt(0)
	v_mul_lo_u32 v6, s5, v4
	v_lshl_add_u64 v[4:5], v[0:1], 4, s[8:9]
	v_subrev_u32_e32 v8, s4, v6
	v_lshl_add_u64 v[6:7], v[0:1], 2, s[6:7]
.LBB144_3:                              ; =>This Inner Loop Header: Depth=1
	global_load_dword v9, v[6:7], off
	v_lshl_add_u64 v[0:1], v[0:1], 0, 2
	v_cmp_ge_i64_e32 vcc, v[0:1], v[2:3]
	v_lshl_add_u64 v[6:7], v[6:7], 0, 8
	s_or_b64 s[0:1], vcc, s[0:1]
	s_waitcnt vmcnt(0)
	v_add_u32_e32 v10, v8, v9
	v_ashrrev_i32_e32 v11, 31, v10
	v_lshl_add_u64 v[10:11], v[10:11], 4, s[2:3]
	global_load_dwordx4 v[10:13], v[10:11], off
	s_waitcnt vmcnt(0)
	global_store_dwordx4 v[4:5], v[10:13], off
	v_lshl_add_u64 v[4:5], v[4:5], 0, 32
	s_andn2_b64 exec, exec, s[0:1]
	s_cbranch_execnz .LBB144_3
.LBB144_4:
	s_endpgm
	.section	.rodata,"a",@progbits
	.p2align	6, 0x0
	.amdhsa_kernel _ZN9rocsparseL23sddmm_csx_sample_kernelILi512ELi2EL20rocsparse_direction_1E21rocsparse_complex_numIdEliS3_EEvT4_S4_T3_PKT5_S4_PS6_PKS5_PKS4_21rocsparse_index_base_
		.amdhsa_group_segment_fixed_size 0
		.amdhsa_private_segment_fixed_size 0
		.amdhsa_kernarg_size 60
		.amdhsa_user_sgpr_count 2
		.amdhsa_user_sgpr_dispatch_ptr 0
		.amdhsa_user_sgpr_queue_ptr 0
		.amdhsa_user_sgpr_kernarg_segment_ptr 1
		.amdhsa_user_sgpr_dispatch_id 0
		.amdhsa_user_sgpr_kernarg_preload_length 0
		.amdhsa_user_sgpr_kernarg_preload_offset 0
		.amdhsa_user_sgpr_private_segment_size 0
		.amdhsa_uses_dynamic_stack 0
		.amdhsa_enable_private_segment 0
		.amdhsa_system_sgpr_workgroup_id_x 1
		.amdhsa_system_sgpr_workgroup_id_y 0
		.amdhsa_system_sgpr_workgroup_id_z 0
		.amdhsa_system_sgpr_workgroup_info 0
		.amdhsa_system_vgpr_workitem_id 0
		.amdhsa_next_free_vgpr 14
		.amdhsa_next_free_sgpr 10
		.amdhsa_accum_offset 16
		.amdhsa_reserve_vcc 1
		.amdhsa_float_round_mode_32 0
		.amdhsa_float_round_mode_16_64 0
		.amdhsa_float_denorm_mode_32 3
		.amdhsa_float_denorm_mode_16_64 3
		.amdhsa_dx10_clamp 1
		.amdhsa_ieee_mode 1
		.amdhsa_fp16_overflow 0
		.amdhsa_tg_split 0
		.amdhsa_exception_fp_ieee_invalid_op 0
		.amdhsa_exception_fp_denorm_src 0
		.amdhsa_exception_fp_ieee_div_zero 0
		.amdhsa_exception_fp_ieee_overflow 0
		.amdhsa_exception_fp_ieee_underflow 0
		.amdhsa_exception_fp_ieee_inexact 0
		.amdhsa_exception_int_div_zero 0
	.end_amdhsa_kernel
	.section	.text._ZN9rocsparseL23sddmm_csx_sample_kernelILi512ELi2EL20rocsparse_direction_1E21rocsparse_complex_numIdEliS3_EEvT4_S4_T3_PKT5_S4_PS6_PKS5_PKS4_21rocsparse_index_base_,"axG",@progbits,_ZN9rocsparseL23sddmm_csx_sample_kernelILi512ELi2EL20rocsparse_direction_1E21rocsparse_complex_numIdEliS3_EEvT4_S4_T3_PKT5_S4_PS6_PKS5_PKS4_21rocsparse_index_base_,comdat
.Lfunc_end144:
	.size	_ZN9rocsparseL23sddmm_csx_sample_kernelILi512ELi2EL20rocsparse_direction_1E21rocsparse_complex_numIdEliS3_EEvT4_S4_T3_PKT5_S4_PS6_PKS5_PKS4_21rocsparse_index_base_, .Lfunc_end144-_ZN9rocsparseL23sddmm_csx_sample_kernelILi512ELi2EL20rocsparse_direction_1E21rocsparse_complex_numIdEliS3_EEvT4_S4_T3_PKT5_S4_PS6_PKS5_PKS4_21rocsparse_index_base_
                                        ; -- End function
	.set _ZN9rocsparseL23sddmm_csx_sample_kernelILi512ELi2EL20rocsparse_direction_1E21rocsparse_complex_numIdEliS3_EEvT4_S4_T3_PKT5_S4_PS6_PKS5_PKS4_21rocsparse_index_base_.num_vgpr, 14
	.set _ZN9rocsparseL23sddmm_csx_sample_kernelILi512ELi2EL20rocsparse_direction_1E21rocsparse_complex_numIdEliS3_EEvT4_S4_T3_PKT5_S4_PS6_PKS5_PKS4_21rocsparse_index_base_.num_agpr, 0
	.set _ZN9rocsparseL23sddmm_csx_sample_kernelILi512ELi2EL20rocsparse_direction_1E21rocsparse_complex_numIdEliS3_EEvT4_S4_T3_PKT5_S4_PS6_PKS5_PKS4_21rocsparse_index_base_.numbered_sgpr, 10
	.set _ZN9rocsparseL23sddmm_csx_sample_kernelILi512ELi2EL20rocsparse_direction_1E21rocsparse_complex_numIdEliS3_EEvT4_S4_T3_PKT5_S4_PS6_PKS5_PKS4_21rocsparse_index_base_.num_named_barrier, 0
	.set _ZN9rocsparseL23sddmm_csx_sample_kernelILi512ELi2EL20rocsparse_direction_1E21rocsparse_complex_numIdEliS3_EEvT4_S4_T3_PKT5_S4_PS6_PKS5_PKS4_21rocsparse_index_base_.private_seg_size, 0
	.set _ZN9rocsparseL23sddmm_csx_sample_kernelILi512ELi2EL20rocsparse_direction_1E21rocsparse_complex_numIdEliS3_EEvT4_S4_T3_PKT5_S4_PS6_PKS5_PKS4_21rocsparse_index_base_.uses_vcc, 1
	.set _ZN9rocsparseL23sddmm_csx_sample_kernelILi512ELi2EL20rocsparse_direction_1E21rocsparse_complex_numIdEliS3_EEvT4_S4_T3_PKT5_S4_PS6_PKS5_PKS4_21rocsparse_index_base_.uses_flat_scratch, 0
	.set _ZN9rocsparseL23sddmm_csx_sample_kernelILi512ELi2EL20rocsparse_direction_1E21rocsparse_complex_numIdEliS3_EEvT4_S4_T3_PKT5_S4_PS6_PKS5_PKS4_21rocsparse_index_base_.has_dyn_sized_stack, 0
	.set _ZN9rocsparseL23sddmm_csx_sample_kernelILi512ELi2EL20rocsparse_direction_1E21rocsparse_complex_numIdEliS3_EEvT4_S4_T3_PKT5_S4_PS6_PKS5_PKS4_21rocsparse_index_base_.has_recursion, 0
	.set _ZN9rocsparseL23sddmm_csx_sample_kernelILi512ELi2EL20rocsparse_direction_1E21rocsparse_complex_numIdEliS3_EEvT4_S4_T3_PKT5_S4_PS6_PKS5_PKS4_21rocsparse_index_base_.has_indirect_call, 0
	.section	.AMDGPU.csdata,"",@progbits
; Kernel info:
; codeLenInByte = 292
; TotalNumSgprs: 16
; NumVgprs: 14
; NumAgprs: 0
; TotalNumVgprs: 14
; ScratchSize: 0
; MemoryBound: 0
; FloatMode: 240
; IeeeMode: 1
; LDSByteSize: 0 bytes/workgroup (compile time only)
; SGPRBlocks: 1
; VGPRBlocks: 1
; NumSGPRsForWavesPerEU: 16
; NumVGPRsForWavesPerEU: 14
; AccumOffset: 16
; Occupancy: 8
; WaveLimiterHint : 0
; COMPUTE_PGM_RSRC2:SCRATCH_EN: 0
; COMPUTE_PGM_RSRC2:USER_SGPR: 2
; COMPUTE_PGM_RSRC2:TRAP_HANDLER: 0
; COMPUTE_PGM_RSRC2:TGID_X_EN: 1
; COMPUTE_PGM_RSRC2:TGID_Y_EN: 0
; COMPUTE_PGM_RSRC2:TGID_Z_EN: 0
; COMPUTE_PGM_RSRC2:TIDIG_COMP_CNT: 0
; COMPUTE_PGM_RSRC3_GFX90A:ACCUM_OFFSET: 3
; COMPUTE_PGM_RSRC3_GFX90A:TG_SPLIT: 0
	.section	.text._ZN9rocsparseL23sddmm_csx_sample_kernelILi512ELi1EL20rocsparse_direction_1E21rocsparse_complex_numIdEliS3_EEvT4_S4_T3_PKT5_S4_PS6_PKS5_PKS4_21rocsparse_index_base_,"axG",@progbits,_ZN9rocsparseL23sddmm_csx_sample_kernelILi512ELi1EL20rocsparse_direction_1E21rocsparse_complex_numIdEliS3_EEvT4_S4_T3_PKT5_S4_PS6_PKS5_PKS4_21rocsparse_index_base_,comdat
	.globl	_ZN9rocsparseL23sddmm_csx_sample_kernelILi512ELi1EL20rocsparse_direction_1E21rocsparse_complex_numIdEliS3_EEvT4_S4_T3_PKT5_S4_PS6_PKS5_PKS4_21rocsparse_index_base_ ; -- Begin function _ZN9rocsparseL23sddmm_csx_sample_kernelILi512ELi1EL20rocsparse_direction_1E21rocsparse_complex_numIdEliS3_EEvT4_S4_T3_PKT5_S4_PS6_PKS5_PKS4_21rocsparse_index_base_
	.p2align	8
	.type	_ZN9rocsparseL23sddmm_csx_sample_kernelILi512ELi1EL20rocsparse_direction_1E21rocsparse_complex_numIdEliS3_EEvT4_S4_T3_PKT5_S4_PS6_PKS5_PKS4_21rocsparse_index_base_,@function
_ZN9rocsparseL23sddmm_csx_sample_kernelILi512ELi1EL20rocsparse_direction_1E21rocsparse_complex_numIdEliS3_EEvT4_S4_T3_PKT5_S4_PS6_PKS5_PKS4_21rocsparse_index_base_: ; @_ZN9rocsparseL23sddmm_csx_sample_kernelILi512ELi1EL20rocsparse_direction_1E21rocsparse_complex_numIdEliS3_EEvT4_S4_T3_PKT5_S4_PS6_PKS5_PKS4_21rocsparse_index_base_
; %bb.0:
	s_load_dword s3, s[0:1], 0x4
	v_lshl_or_b32 v6, s2, 9, v0
	s_waitcnt lgkmcnt(0)
	v_cmp_gt_u32_e32 vcc, s3, v6
	s_and_saveexec_b64 s[2:3], vcc
	s_cbranch_execz .LBB145_4
; %bb.1:
	s_load_dwordx2 s[2:3], s[0:1], 0x28
	v_mov_b32_e32 v7, 0
	s_waitcnt lgkmcnt(0)
	v_lshl_add_u64 v[0:1], v[6:7], 3, s[2:3]
	global_load_dwordx4 v[0:3], v[0:1], off
	s_waitcnt vmcnt(0)
	v_cmp_lt_i64_e32 vcc, v[0:1], v[2:3]
	s_and_b64 exec, exec, vcc
	s_cbranch_execz .LBB145_4
; %bb.2:
	s_load_dword s4, s[0:1], 0x38
	s_load_dwordx2 s[2:3], s[0:1], 0x10
	s_load_dwordx2 s[6:7], s[0:1], 0x20
	;; [unrolled: 1-line block ×3, first 2 shown]
	s_load_dword s10, s[0:1], 0x18
	s_waitcnt lgkmcnt(0)
	v_subrev_co_u32_e32 v2, vcc, s4, v2
	s_mov_b32 s5, 0
	s_nop 0
	v_subbrev_co_u32_e32 v3, vcc, 0, v3, vcc
	v_subrev_co_u32_e32 v4, vcc, s4, v0
	v_mul_lo_u32 v6, s10, v6
	s_nop 0
	v_subbrev_co_u32_e32 v5, vcc, 0, v1, vcc
	v_subrev_u32_e32 v8, s4, v6
	v_lshlrev_b64 v[6:7], 4, v[0:1]
	s_lshl_b64 s[0:1], s[4:5], 4
	v_mov_b32_e32 v9, s1
	v_subrev_co_u32_e32 v6, vcc, s0, v6
	v_lshlrev_b64 v[0:1], 2, v[0:1]
	s_nop 0
	v_subb_co_u32_e32 v7, vcc, v7, v9, vcc
	s_lshl_b64 s[0:1], s[4:5], 2
	v_mov_b32_e32 v9, s1
	v_subrev_co_u32_e32 v0, vcc, s0, v0
	v_lshl_add_u64 v[6:7], s[6:7], 0, v[6:7]
	s_nop 0
	v_subb_co_u32_e32 v1, vcc, v1, v9, vcc
	v_lshl_add_u64 v[0:1], s[8:9], 0, v[0:1]
	s_mov_b64 s[0:1], 0
.LBB145_3:                              ; =>This Inner Loop Header: Depth=1
	global_load_dword v9, v[0:1], off
	v_lshl_add_u64 v[4:5], v[4:5], 0, 1
	v_cmp_ge_i64_e32 vcc, v[4:5], v[2:3]
	v_lshl_add_u64 v[0:1], v[0:1], 0, 4
	s_or_b64 s[0:1], vcc, s[0:1]
	s_waitcnt vmcnt(0)
	v_add_u32_e32 v10, v8, v9
	v_ashrrev_i32_e32 v11, 31, v10
	v_lshl_add_u64 v[10:11], v[10:11], 4, s[2:3]
	global_load_dwordx4 v[10:13], v[10:11], off
	s_waitcnt vmcnt(0)
	global_store_dwordx4 v[6:7], v[10:13], off
	v_lshl_add_u64 v[6:7], v[6:7], 0, 16
	s_andn2_b64 exec, exec, s[0:1]
	s_cbranch_execnz .LBB145_3
.LBB145_4:
	s_endpgm
	.section	.rodata,"a",@progbits
	.p2align	6, 0x0
	.amdhsa_kernel _ZN9rocsparseL23sddmm_csx_sample_kernelILi512ELi1EL20rocsparse_direction_1E21rocsparse_complex_numIdEliS3_EEvT4_S4_T3_PKT5_S4_PS6_PKS5_PKS4_21rocsparse_index_base_
		.amdhsa_group_segment_fixed_size 0
		.amdhsa_private_segment_fixed_size 0
		.amdhsa_kernarg_size 60
		.amdhsa_user_sgpr_count 2
		.amdhsa_user_sgpr_dispatch_ptr 0
		.amdhsa_user_sgpr_queue_ptr 0
		.amdhsa_user_sgpr_kernarg_segment_ptr 1
		.amdhsa_user_sgpr_dispatch_id 0
		.amdhsa_user_sgpr_kernarg_preload_length 0
		.amdhsa_user_sgpr_kernarg_preload_offset 0
		.amdhsa_user_sgpr_private_segment_size 0
		.amdhsa_uses_dynamic_stack 0
		.amdhsa_enable_private_segment 0
		.amdhsa_system_sgpr_workgroup_id_x 1
		.amdhsa_system_sgpr_workgroup_id_y 0
		.amdhsa_system_sgpr_workgroup_id_z 0
		.amdhsa_system_sgpr_workgroup_info 0
		.amdhsa_system_vgpr_workitem_id 0
		.amdhsa_next_free_vgpr 14
		.amdhsa_next_free_sgpr 11
		.amdhsa_accum_offset 16
		.amdhsa_reserve_vcc 1
		.amdhsa_float_round_mode_32 0
		.amdhsa_float_round_mode_16_64 0
		.amdhsa_float_denorm_mode_32 3
		.amdhsa_float_denorm_mode_16_64 3
		.amdhsa_dx10_clamp 1
		.amdhsa_ieee_mode 1
		.amdhsa_fp16_overflow 0
		.amdhsa_tg_split 0
		.amdhsa_exception_fp_ieee_invalid_op 0
		.amdhsa_exception_fp_denorm_src 0
		.amdhsa_exception_fp_ieee_div_zero 0
		.amdhsa_exception_fp_ieee_overflow 0
		.amdhsa_exception_fp_ieee_underflow 0
		.amdhsa_exception_fp_ieee_inexact 0
		.amdhsa_exception_int_div_zero 0
	.end_amdhsa_kernel
	.section	.text._ZN9rocsparseL23sddmm_csx_sample_kernelILi512ELi1EL20rocsparse_direction_1E21rocsparse_complex_numIdEliS3_EEvT4_S4_T3_PKT5_S4_PS6_PKS5_PKS4_21rocsparse_index_base_,"axG",@progbits,_ZN9rocsparseL23sddmm_csx_sample_kernelILi512ELi1EL20rocsparse_direction_1E21rocsparse_complex_numIdEliS3_EEvT4_S4_T3_PKT5_S4_PS6_PKS5_PKS4_21rocsparse_index_base_,comdat
.Lfunc_end145:
	.size	_ZN9rocsparseL23sddmm_csx_sample_kernelILi512ELi1EL20rocsparse_direction_1E21rocsparse_complex_numIdEliS3_EEvT4_S4_T3_PKT5_S4_PS6_PKS5_PKS4_21rocsparse_index_base_, .Lfunc_end145-_ZN9rocsparseL23sddmm_csx_sample_kernelILi512ELi1EL20rocsparse_direction_1E21rocsparse_complex_numIdEliS3_EEvT4_S4_T3_PKT5_S4_PS6_PKS5_PKS4_21rocsparse_index_base_
                                        ; -- End function
	.set _ZN9rocsparseL23sddmm_csx_sample_kernelILi512ELi1EL20rocsparse_direction_1E21rocsparse_complex_numIdEliS3_EEvT4_S4_T3_PKT5_S4_PS6_PKS5_PKS4_21rocsparse_index_base_.num_vgpr, 14
	.set _ZN9rocsparseL23sddmm_csx_sample_kernelILi512ELi1EL20rocsparse_direction_1E21rocsparse_complex_numIdEliS3_EEvT4_S4_T3_PKT5_S4_PS6_PKS5_PKS4_21rocsparse_index_base_.num_agpr, 0
	.set _ZN9rocsparseL23sddmm_csx_sample_kernelILi512ELi1EL20rocsparse_direction_1E21rocsparse_complex_numIdEliS3_EEvT4_S4_T3_PKT5_S4_PS6_PKS5_PKS4_21rocsparse_index_base_.numbered_sgpr, 11
	.set _ZN9rocsparseL23sddmm_csx_sample_kernelILi512ELi1EL20rocsparse_direction_1E21rocsparse_complex_numIdEliS3_EEvT4_S4_T3_PKT5_S4_PS6_PKS5_PKS4_21rocsparse_index_base_.num_named_barrier, 0
	.set _ZN9rocsparseL23sddmm_csx_sample_kernelILi512ELi1EL20rocsparse_direction_1E21rocsparse_complex_numIdEliS3_EEvT4_S4_T3_PKT5_S4_PS6_PKS5_PKS4_21rocsparse_index_base_.private_seg_size, 0
	.set _ZN9rocsparseL23sddmm_csx_sample_kernelILi512ELi1EL20rocsparse_direction_1E21rocsparse_complex_numIdEliS3_EEvT4_S4_T3_PKT5_S4_PS6_PKS5_PKS4_21rocsparse_index_base_.uses_vcc, 1
	.set _ZN9rocsparseL23sddmm_csx_sample_kernelILi512ELi1EL20rocsparse_direction_1E21rocsparse_complex_numIdEliS3_EEvT4_S4_T3_PKT5_S4_PS6_PKS5_PKS4_21rocsparse_index_base_.uses_flat_scratch, 0
	.set _ZN9rocsparseL23sddmm_csx_sample_kernelILi512ELi1EL20rocsparse_direction_1E21rocsparse_complex_numIdEliS3_EEvT4_S4_T3_PKT5_S4_PS6_PKS5_PKS4_21rocsparse_index_base_.has_dyn_sized_stack, 0
	.set _ZN9rocsparseL23sddmm_csx_sample_kernelILi512ELi1EL20rocsparse_direction_1E21rocsparse_complex_numIdEliS3_EEvT4_S4_T3_PKT5_S4_PS6_PKS5_PKS4_21rocsparse_index_base_.has_recursion, 0
	.set _ZN9rocsparseL23sddmm_csx_sample_kernelILi512ELi1EL20rocsparse_direction_1E21rocsparse_complex_numIdEliS3_EEvT4_S4_T3_PKT5_S4_PS6_PKS5_PKS4_21rocsparse_index_base_.has_indirect_call, 0
	.section	.AMDGPU.csdata,"",@progbits
; Kernel info:
; codeLenInByte = 332
; TotalNumSgprs: 17
; NumVgprs: 14
; NumAgprs: 0
; TotalNumVgprs: 14
; ScratchSize: 0
; MemoryBound: 0
; FloatMode: 240
; IeeeMode: 1
; LDSByteSize: 0 bytes/workgroup (compile time only)
; SGPRBlocks: 2
; VGPRBlocks: 1
; NumSGPRsForWavesPerEU: 17
; NumVGPRsForWavesPerEU: 14
; AccumOffset: 16
; Occupancy: 8
; WaveLimiterHint : 0
; COMPUTE_PGM_RSRC2:SCRATCH_EN: 0
; COMPUTE_PGM_RSRC2:USER_SGPR: 2
; COMPUTE_PGM_RSRC2:TRAP_HANDLER: 0
; COMPUTE_PGM_RSRC2:TGID_X_EN: 1
; COMPUTE_PGM_RSRC2:TGID_Y_EN: 0
; COMPUTE_PGM_RSRC2:TGID_Z_EN: 0
; COMPUTE_PGM_RSRC2:TIDIG_COMP_CNT: 0
; COMPUTE_PGM_RSRC3_GFX90A:ACCUM_OFFSET: 3
; COMPUTE_PGM_RSRC3_GFX90A:TG_SPLIT: 0
	.section	.text._ZN9rocsparseL16sddmm_csx_kernelILi512ELi8EL20rocsparse_direction_0E21rocsparse_complex_numIdEliS3_S3_S3_EEv20rocsparse_operation_S4_16rocsparse_order_S5_T4_S6_S6_T3_NS_24const_host_device_scalarIT2_EEPKT5_lPKT6_lSA_PT7_PKS7_PKS6_21rocsparse_index_base_b,"axG",@progbits,_ZN9rocsparseL16sddmm_csx_kernelILi512ELi8EL20rocsparse_direction_0E21rocsparse_complex_numIdEliS3_S3_S3_EEv20rocsparse_operation_S4_16rocsparse_order_S5_T4_S6_S6_T3_NS_24const_host_device_scalarIT2_EEPKT5_lPKT6_lSA_PT7_PKS7_PKS6_21rocsparse_index_base_b,comdat
	.globl	_ZN9rocsparseL16sddmm_csx_kernelILi512ELi8EL20rocsparse_direction_0E21rocsparse_complex_numIdEliS3_S3_S3_EEv20rocsparse_operation_S4_16rocsparse_order_S5_T4_S6_S6_T3_NS_24const_host_device_scalarIT2_EEPKT5_lPKT6_lSA_PT7_PKS7_PKS6_21rocsparse_index_base_b ; -- Begin function _ZN9rocsparseL16sddmm_csx_kernelILi512ELi8EL20rocsparse_direction_0E21rocsparse_complex_numIdEliS3_S3_S3_EEv20rocsparse_operation_S4_16rocsparse_order_S5_T4_S6_S6_T3_NS_24const_host_device_scalarIT2_EEPKT5_lPKT6_lSA_PT7_PKS7_PKS6_21rocsparse_index_base_b
	.p2align	8
	.type	_ZN9rocsparseL16sddmm_csx_kernelILi512ELi8EL20rocsparse_direction_0E21rocsparse_complex_numIdEliS3_S3_S3_EEv20rocsparse_operation_S4_16rocsparse_order_S5_T4_S6_S6_T3_NS_24const_host_device_scalarIT2_EEPKT5_lPKT6_lSA_PT7_PKS7_PKS6_21rocsparse_index_base_b,@function
_ZN9rocsparseL16sddmm_csx_kernelILi512ELi8EL20rocsparse_direction_0E21rocsparse_complex_numIdEliS3_S3_S3_EEv20rocsparse_operation_S4_16rocsparse_order_S5_T4_S6_S6_T3_NS_24const_host_device_scalarIT2_EEPKT5_lPKT6_lSA_PT7_PKS7_PKS6_21rocsparse_index_base_b: ; @_ZN9rocsparseL16sddmm_csx_kernelILi512ELi8EL20rocsparse_direction_0E21rocsparse_complex_numIdEliS3_S3_S3_EEv20rocsparse_operation_S4_16rocsparse_order_S5_T4_S6_S6_T3_NS_24const_host_device_scalarIT2_EEPKT5_lPKT6_lSA_PT7_PKS7_PKS6_21rocsparse_index_base_b
; %bb.0:
	s_load_dwordx2 s[4:5], s[0:1], 0x28
	s_load_dwordx4 s[12:15], s[0:1], 0x50
	s_load_dwordx2 s[16:17], s[0:1], 0x80
	s_add_u32 s3, s0, 40
	s_addc_u32 s6, s1, 0
	s_add_u32 s7, s0, 0x58
	s_addc_u32 s8, s1, 0
	s_waitcnt lgkmcnt(0)
	s_bitcmp1_b32 s17, 0
	s_cselect_b32 s5, s6, s5
	s_cselect_b32 s3, s3, s4
	v_mov_b32_e32 v2, s3
	v_mov_b32_e32 v3, s5
	flat_load_dwordx4 v[2:5], v[2:3]
	s_cselect_b32 s3, s8, s15
	s_cselect_b32 s4, s7, s14
	v_mov_b32_e32 v6, s4
	v_mov_b32_e32 v7, s3
	flat_load_dwordx4 v[6:9], v[6:7]
	s_waitcnt vmcnt(0) lgkmcnt(0)
	v_cmp_eq_f64_e32 vcc, 0, v[2:3]
	v_cmp_eq_f64_e64 s[4:5], 0, v[4:5]
	s_and_b64 s[8:9], vcc, s[4:5]
	s_mov_b64 s[4:5], -1
	s_and_saveexec_b64 s[6:7], s[8:9]
; %bb.1:
	v_cmp_neq_f64_e32 vcc, 1.0, v[6:7]
	v_cmp_neq_f64_e64 s[4:5], 0, v[8:9]
	s_or_b64 s[4:5], vcc, s[4:5]
	s_orn2_b64 s[4:5], s[4:5], exec
; %bb.2:
	s_or_b64 exec, exec, s[6:7]
	s_and_saveexec_b64 s[6:7], s[4:5]
	s_cbranch_execz .LBB146_34
; %bb.3:
	s_load_dword s4, s[0:1], 0x10
	v_lshrrev_b32_e32 v14, 3, v0
	v_lshl_or_b32 v10, s2, 6, v14
	v_mov_b32_e32 v11, 0
	s_waitcnt lgkmcnt(0)
	s_ashr_i32 s5, s4, 31
	v_cmp_gt_i64_e32 vcc, s[4:5], v[10:11]
	s_and_b64 exec, exec, vcc
	s_cbranch_execz .LBB146_34
; %bb.4:
	s_load_dwordx4 s[4:7], s[0:1], 0x0
	s_load_dwordx2 s[14:15], s[0:1], 0x70
	s_load_dwordx2 s[2:3], s[0:1], 0x40
	s_waitcnt lgkmcnt(0)
	s_cmp_eq_u32 s6, 1
	s_cselect_b64 s[8:9], -1, 0
	s_cmpk_eq_i32 s4, 0x6f
	s_cselect_b64 s[10:11], -1, 0
	s_cmpk_lg_i32 s4, 0x6f
	s_cselect_b64 s[18:19], -1, 0
	s_cmp_lg_u32 s6, 1
	s_cbranch_scc0 .LBB146_8
; %bb.5:
	s_andn2_b64 vcc, exec, s[10:11]
	v_mov_b64_e32 v[18:19], v[10:11]
	s_cbranch_vccnz .LBB146_7
; %bb.6:
	v_mad_u64_u32 v[18:19], s[20:21], s2, v10, 0
	v_mov_b32_e32 v12, v19
	v_mad_u64_u32 v[12:13], s[20:21], s3, v10, v[12:13]
	v_mov_b32_e32 v19, v12
.LBB146_7:
	s_cbranch_execz .LBB146_9
	s_branch .LBB146_11
.LBB146_8:
                                        ; implicit-def: $vgpr18_vgpr19
.LBB146_9:
	s_andn2_b64 vcc, exec, s[18:19]
	v_mov_b64_e32 v[18:19], v[10:11]
	s_cbranch_vccnz .LBB146_11
; %bb.10:
	v_mad_u64_u32 v[18:19], s[18:19], s2, v10, 0
	v_mov_b32_e32 v12, v19
	v_mad_u64_u32 v[12:13], s[18:19], s3, v10, v[12:13]
	v_mov_b32_e32 v19, v12
.LBB146_11:
	v_lshl_add_u64 v[10:11], v[10:11], 3, s[14:15]
	global_load_dwordx4 v[10:13], v[10:11], off
	s_waitcnt vmcnt(0)
	v_cmp_lt_i64_e32 vcc, v[10:11], v[12:13]
	s_and_b64 exec, exec, vcc
	s_cbranch_execz .LBB146_34
; %bb.12:
	s_xor_b64 s[8:9], s[10:11], s[8:9]
	s_and_b64 s[8:9], s[8:9], exec
	s_cselect_b32 s9, 0, s3
	s_cselect_b32 s8, 1, s2
	s_cmp_lg_u32 s7, 1
	s_cselect_b64 s[18:19], -1, 0
	s_cmp_eq_u32 s7, 1
	s_cselect_b64 s[2:3], -1, 0
	s_cmpk_eq_i32 s5, 0x6f
	s_cselect_b64 s[6:7], -1, 0
	s_cmpk_lg_i32 s5, 0x6f
	s_cselect_b64 s[10:11], -1, 0
	s_xor_b64 s[2:3], s[6:7], s[2:3]
	s_and_b64 s[2:3], s[2:3], exec
	s_cselect_b32 s22, s12, 1
	v_and_b32_e32 v24, 7, v0
	v_subrev_co_u32_e32 v0, vcc, s16, v10
	s_cselect_b32 s23, s13, 0
	s_nop 0
	v_subbrev_co_u32_e32 v1, vcc, 0, v11, vcc
	v_mad_u64_u32 v[10:11], s[28:29], s22, v24, 0
	s_load_dwordx2 s[20:21], s[0:1], 0x68
	s_load_dwordx2 s[24:25], s[0:1], 0x48
	;; [unrolled: 1-line block ×3, first 2 shown]
	s_load_dword s17, s[0:1], 0x18
	v_lshlrev_b32_e32 v25, 7, v14
	v_subrev_co_u32_e32 v14, vcc, s16, v12
	v_mov_b32_e32 v12, v11
	s_nop 0
	v_subbrev_co_u32_e32 v15, vcc, 0, v13, vcc
	v_mad_u64_u32 v[12:13], s[28:29], s23, v24, v[12:13]
	v_mov_b32_e32 v11, v12
	s_waitcnt lgkmcnt(0)
	v_lshl_add_u64 v[10:11], v[10:11], 4, s[24:25]
	v_lshl_add_u64 v[16:17], v[10:11], 0, 8
	v_mad_u64_u32 v[10:11], s[24:25], s8, v24, 0
	v_mov_b32_e32 v12, v11
	v_mad_u64_u32 v[12:13], s[24:25], s9, v24, v[12:13]
	s_load_dwordx2 s[14:15], s[0:1], 0x78
	v_mov_b32_e32 v11, v12
	v_lshlrev_b64 v[12:13], 4, v[18:19]
	v_lshl_add_u64 v[10:11], v[10:11], 4, v[12:13]
	v_lshl_add_u64 v[10:11], s[26:27], 0, v[10:11]
	v_cndmask_b32_e64 v20, 0, 1, s[6:7]
	v_lshl_add_u64 v[18:19], v[10:11], 0, 8
	v_cndmask_b32_e64 v10, 0, 1, s[10:11]
	v_cmp_gt_i32_e64 s[0:1], s17, v24
	v_lshl_or_b32 v26, v24, 4, v25
	v_cmp_eq_u32_e64 s[2:3], 0, v24
	v_cmp_gt_u32_e64 s[4:5], 4, v24
	v_cmp_gt_u32_e64 s[6:7], 2, v24
	s_lshl_b64 s[22:23], s[22:23], 7
	s_lshl_b64 s[24:25], s[8:9], 7
	s_mov_b64 s[26:27], 0
	v_cmp_ne_u32_e64 s[8:9], 1, v10
	v_cmp_ne_u32_e64 s[10:11], 1, v20
	s_branch .LBB146_14
.LBB146_13:                             ;   in Loop: Header=BB146_14 Depth=1
	s_or_b64 exec, exec, s[28:29]
	v_lshl_add_u64 v[0:1], v[0:1], 0, 1
	v_cmp_ge_i64_e32 vcc, v[0:1], v[14:15]
	s_or_b64 s[26:27], vcc, s[26:27]
	s_andn2_b64 exec, exec, s[26:27]
	s_cbranch_execz .LBB146_34
.LBB146_14:                             ; =>This Loop Header: Depth=1
                                        ;     Child Loop BB146_24 Depth 2
	s_waitcnt lgkmcnt(0)
	v_lshl_add_u64 v[10:11], v[0:1], 2, s[14:15]
	global_load_dword v10, v[10:11], off
	s_mov_b64 s[28:29], -1
	s_and_b64 vcc, exec, s[18:19]
                                        ; implicit-def: $vgpr20_vgpr21
	s_waitcnt vmcnt(0)
	v_subrev_u32_e32 v10, s16, v10
	v_ashrrev_i32_e32 v11, 31, v10
	s_cbranch_vccnz .LBB146_17
; %bb.15:                               ;   in Loop: Header=BB146_14 Depth=1
	s_andn2_b64 vcc, exec, s[28:29]
	s_cbranch_vccz .LBB146_20
.LBB146_16:                             ;   in Loop: Header=BB146_14 Depth=1
	v_mov_b64_e32 v[12:13], 0
	v_mov_b64_e32 v[10:11], 0
	s_and_saveexec_b64 s[28:29], s[0:1]
	s_cbranch_execnz .LBB146_23
	s_branch .LBB146_26
.LBB146_17:                             ;   in Loop: Header=BB146_14 Depth=1
	s_and_b64 vcc, exec, s[8:9]
	v_mov_b64_e32 v[20:21], v[10:11]
	s_cbranch_vccnz .LBB146_19
; %bb.18:                               ;   in Loop: Header=BB146_14 Depth=1
	v_mul_lo_u32 v12, s13, v10
	v_mul_lo_u32 v13, s12, v11
	v_mad_u64_u32 v[20:21], s[28:29], s12, v10, 0
	v_add3_u32 v21, v21, v13, v12
.LBB146_19:                             ;   in Loop: Header=BB146_14 Depth=1
	s_cbranch_execnz .LBB146_16
.LBB146_20:                             ;   in Loop: Header=BB146_14 Depth=1
	s_and_b64 vcc, exec, s[10:11]
	s_cbranch_vccnz .LBB146_22
; %bb.21:                               ;   in Loop: Header=BB146_14 Depth=1
	v_mul_lo_u32 v12, s13, v10
	v_mul_lo_u32 v13, s12, v11
	v_mad_u64_u32 v[10:11], s[28:29], s12, v10, 0
	v_add3_u32 v11, v11, v13, v12
.LBB146_22:                             ;   in Loop: Header=BB146_14 Depth=1
	v_mov_b64_e32 v[20:21], v[10:11]
	v_mov_b64_e32 v[12:13], 0
	;; [unrolled: 1-line block ×3, first 2 shown]
	s_and_saveexec_b64 s[28:29], s[0:1]
	s_cbranch_execz .LBB146_26
.LBB146_23:                             ;   in Loop: Header=BB146_14 Depth=1
	v_mov_b64_e32 v[12:13], 0
	v_lshl_add_u64 v[20:21], v[20:21], 4, v[16:17]
	s_mov_b64 s[30:31], 0
	v_mov_b64_e32 v[22:23], v[18:19]
	v_mov_b32_e32 v27, v24
	v_mov_b64_e32 v[10:11], v[12:13]
.LBB146_24:                             ;   Parent Loop BB146_14 Depth=1
                                        ; =>  This Inner Loop Header: Depth=2
	global_load_dwordx4 v[28:31], v[20:21], off offset:-8
	global_load_dwordx4 v[32:35], v[22:23], off offset:-8
	v_add_u32_e32 v27, 8, v27
	v_cmp_le_i32_e32 vcc, s17, v27
	v_lshl_add_u64 v[20:21], v[20:21], 0, s[22:23]
	v_lshl_add_u64 v[22:23], v[22:23], 0, s[24:25]
	s_or_b64 s[30:31], vcc, s[30:31]
	s_waitcnt vmcnt(0)
	v_mul_f64 v[36:37], v[30:31], -v[34:35]
	v_mul_f64 v[30:31], v[30:31], v[32:33]
	v_fmac_f64_e32 v[36:37], v[32:33], v[28:29]
	v_fmac_f64_e32 v[30:31], v[34:35], v[28:29]
	v_add_f64 v[10:11], v[10:11], v[36:37]
	v_add_f64 v[12:13], v[12:13], v[30:31]
	s_andn2_b64 exec, exec, s[30:31]
	s_cbranch_execnz .LBB146_24
; %bb.25:                               ;   in Loop: Header=BB146_14 Depth=1
	s_or_b64 exec, exec, s[30:31]
.LBB146_26:                             ;   in Loop: Header=BB146_14 Depth=1
	s_or_b64 exec, exec, s[28:29]
	ds_write_b128 v26, v[10:13]
	s_waitcnt lgkmcnt(0)
	s_barrier
	s_and_saveexec_b64 s[28:29], s[4:5]
	s_cbranch_execz .LBB146_28
; %bb.27:                               ;   in Loop: Header=BB146_14 Depth=1
	ds_read_b128 v[10:13], v26 offset:64
	ds_read_b128 v[20:23], v26
	s_waitcnt lgkmcnt(0)
	v_add_f64 v[10:11], v[10:11], v[20:21]
	v_add_f64 v[12:13], v[12:13], v[22:23]
	ds_write_b128 v26, v[10:13]
.LBB146_28:                             ;   in Loop: Header=BB146_14 Depth=1
	s_or_b64 exec, exec, s[28:29]
	s_waitcnt lgkmcnt(0)
	s_barrier
	s_and_saveexec_b64 s[28:29], s[6:7]
	s_cbranch_execz .LBB146_30
; %bb.29:                               ;   in Loop: Header=BB146_14 Depth=1
	ds_read_b128 v[10:13], v26
	ds_read_b128 v[20:23], v26 offset:32
	s_waitcnt lgkmcnt(0)
	v_add_f64 v[10:11], v[20:21], v[10:11]
	v_add_f64 v[12:13], v[22:23], v[12:13]
	ds_write_b128 v26, v[10:13]
.LBB146_30:                             ;   in Loop: Header=BB146_14 Depth=1
	s_or_b64 exec, exec, s[28:29]
	s_waitcnt lgkmcnt(0)
	s_barrier
	s_and_saveexec_b64 s[28:29], s[2:3]
	s_cbranch_execz .LBB146_32
; %bb.31:                               ;   in Loop: Header=BB146_14 Depth=1
	ds_read_b128 v[10:13], v26
	ds_read_b128 v[20:23], v26 offset:16
	s_waitcnt lgkmcnt(0)
	v_add_f64 v[10:11], v[20:21], v[10:11]
	v_add_f64 v[12:13], v[22:23], v[12:13]
	ds_write_b128 v26, v[10:13]
.LBB146_32:                             ;   in Loop: Header=BB146_14 Depth=1
	s_or_b64 exec, exec, s[28:29]
	s_waitcnt lgkmcnt(0)
	s_barrier
	s_and_saveexec_b64 s[28:29], s[2:3]
	s_cbranch_execz .LBB146_13
; %bb.33:                               ;   in Loop: Header=BB146_14 Depth=1
	v_lshl_add_u64 v[28:29], v[0:1], 4, s[20:21]
	global_load_dwordx4 v[10:13], v[28:29], off
	ds_read_b128 v[20:23], v25
	s_waitcnt lgkmcnt(0)
	v_mul_f64 v[30:31], v[22:23], -v[4:5]
	v_mul_f64 v[22:23], v[2:3], v[22:23]
	v_fmac_f64_e32 v[30:31], v[2:3], v[20:21]
	v_fmac_f64_e32 v[22:23], v[4:5], v[20:21]
	s_waitcnt vmcnt(0)
	v_mul_f64 v[20:21], v[8:9], -v[12:13]
	v_mul_f64 v[32:33], v[8:9], v[10:11]
	v_fmac_f64_e32 v[20:21], v[10:11], v[6:7]
	v_fmac_f64_e32 v[32:33], v[12:13], v[6:7]
	v_add_f64 v[10:11], v[20:21], v[30:31]
	v_add_f64 v[12:13], v[32:33], v[22:23]
	global_store_dwordx4 v[28:29], v[10:13], off
	s_branch .LBB146_13
.LBB146_34:
	s_endpgm
	.section	.rodata,"a",@progbits
	.p2align	6, 0x0
	.amdhsa_kernel _ZN9rocsparseL16sddmm_csx_kernelILi512ELi8EL20rocsparse_direction_0E21rocsparse_complex_numIdEliS3_S3_S3_EEv20rocsparse_operation_S4_16rocsparse_order_S5_T4_S6_S6_T3_NS_24const_host_device_scalarIT2_EEPKT5_lPKT6_lSA_PT7_PKS7_PKS6_21rocsparse_index_base_b
		.amdhsa_group_segment_fixed_size 8192
		.amdhsa_private_segment_fixed_size 0
		.amdhsa_kernarg_size 136
		.amdhsa_user_sgpr_count 2
		.amdhsa_user_sgpr_dispatch_ptr 0
		.amdhsa_user_sgpr_queue_ptr 0
		.amdhsa_user_sgpr_kernarg_segment_ptr 1
		.amdhsa_user_sgpr_dispatch_id 0
		.amdhsa_user_sgpr_kernarg_preload_length 0
		.amdhsa_user_sgpr_kernarg_preload_offset 0
		.amdhsa_user_sgpr_private_segment_size 0
		.amdhsa_uses_dynamic_stack 0
		.amdhsa_enable_private_segment 0
		.amdhsa_system_sgpr_workgroup_id_x 1
		.amdhsa_system_sgpr_workgroup_id_y 0
		.amdhsa_system_sgpr_workgroup_id_z 0
		.amdhsa_system_sgpr_workgroup_info 0
		.amdhsa_system_vgpr_workitem_id 0
		.amdhsa_next_free_vgpr 38
		.amdhsa_next_free_sgpr 32
		.amdhsa_accum_offset 40
		.amdhsa_reserve_vcc 1
		.amdhsa_float_round_mode_32 0
		.amdhsa_float_round_mode_16_64 0
		.amdhsa_float_denorm_mode_32 3
		.amdhsa_float_denorm_mode_16_64 3
		.amdhsa_dx10_clamp 1
		.amdhsa_ieee_mode 1
		.amdhsa_fp16_overflow 0
		.amdhsa_tg_split 0
		.amdhsa_exception_fp_ieee_invalid_op 0
		.amdhsa_exception_fp_denorm_src 0
		.amdhsa_exception_fp_ieee_div_zero 0
		.amdhsa_exception_fp_ieee_overflow 0
		.amdhsa_exception_fp_ieee_underflow 0
		.amdhsa_exception_fp_ieee_inexact 0
		.amdhsa_exception_int_div_zero 0
	.end_amdhsa_kernel
	.section	.text._ZN9rocsparseL16sddmm_csx_kernelILi512ELi8EL20rocsparse_direction_0E21rocsparse_complex_numIdEliS3_S3_S3_EEv20rocsparse_operation_S4_16rocsparse_order_S5_T4_S6_S6_T3_NS_24const_host_device_scalarIT2_EEPKT5_lPKT6_lSA_PT7_PKS7_PKS6_21rocsparse_index_base_b,"axG",@progbits,_ZN9rocsparseL16sddmm_csx_kernelILi512ELi8EL20rocsparse_direction_0E21rocsparse_complex_numIdEliS3_S3_S3_EEv20rocsparse_operation_S4_16rocsparse_order_S5_T4_S6_S6_T3_NS_24const_host_device_scalarIT2_EEPKT5_lPKT6_lSA_PT7_PKS7_PKS6_21rocsparse_index_base_b,comdat
.Lfunc_end146:
	.size	_ZN9rocsparseL16sddmm_csx_kernelILi512ELi8EL20rocsparse_direction_0E21rocsparse_complex_numIdEliS3_S3_S3_EEv20rocsparse_operation_S4_16rocsparse_order_S5_T4_S6_S6_T3_NS_24const_host_device_scalarIT2_EEPKT5_lPKT6_lSA_PT7_PKS7_PKS6_21rocsparse_index_base_b, .Lfunc_end146-_ZN9rocsparseL16sddmm_csx_kernelILi512ELi8EL20rocsparse_direction_0E21rocsparse_complex_numIdEliS3_S3_S3_EEv20rocsparse_operation_S4_16rocsparse_order_S5_T4_S6_S6_T3_NS_24const_host_device_scalarIT2_EEPKT5_lPKT6_lSA_PT7_PKS7_PKS6_21rocsparse_index_base_b
                                        ; -- End function
	.set _ZN9rocsparseL16sddmm_csx_kernelILi512ELi8EL20rocsparse_direction_0E21rocsparse_complex_numIdEliS3_S3_S3_EEv20rocsparse_operation_S4_16rocsparse_order_S5_T4_S6_S6_T3_NS_24const_host_device_scalarIT2_EEPKT5_lPKT6_lSA_PT7_PKS7_PKS6_21rocsparse_index_base_b.num_vgpr, 38
	.set _ZN9rocsparseL16sddmm_csx_kernelILi512ELi8EL20rocsparse_direction_0E21rocsparse_complex_numIdEliS3_S3_S3_EEv20rocsparse_operation_S4_16rocsparse_order_S5_T4_S6_S6_T3_NS_24const_host_device_scalarIT2_EEPKT5_lPKT6_lSA_PT7_PKS7_PKS6_21rocsparse_index_base_b.num_agpr, 0
	.set _ZN9rocsparseL16sddmm_csx_kernelILi512ELi8EL20rocsparse_direction_0E21rocsparse_complex_numIdEliS3_S3_S3_EEv20rocsparse_operation_S4_16rocsparse_order_S5_T4_S6_S6_T3_NS_24const_host_device_scalarIT2_EEPKT5_lPKT6_lSA_PT7_PKS7_PKS6_21rocsparse_index_base_b.numbered_sgpr, 32
	.set _ZN9rocsparseL16sddmm_csx_kernelILi512ELi8EL20rocsparse_direction_0E21rocsparse_complex_numIdEliS3_S3_S3_EEv20rocsparse_operation_S4_16rocsparse_order_S5_T4_S6_S6_T3_NS_24const_host_device_scalarIT2_EEPKT5_lPKT6_lSA_PT7_PKS7_PKS6_21rocsparse_index_base_b.num_named_barrier, 0
	.set _ZN9rocsparseL16sddmm_csx_kernelILi512ELi8EL20rocsparse_direction_0E21rocsparse_complex_numIdEliS3_S3_S3_EEv20rocsparse_operation_S4_16rocsparse_order_S5_T4_S6_S6_T3_NS_24const_host_device_scalarIT2_EEPKT5_lPKT6_lSA_PT7_PKS7_PKS6_21rocsparse_index_base_b.private_seg_size, 0
	.set _ZN9rocsparseL16sddmm_csx_kernelILi512ELi8EL20rocsparse_direction_0E21rocsparse_complex_numIdEliS3_S3_S3_EEv20rocsparse_operation_S4_16rocsparse_order_S5_T4_S6_S6_T3_NS_24const_host_device_scalarIT2_EEPKT5_lPKT6_lSA_PT7_PKS7_PKS6_21rocsparse_index_base_b.uses_vcc, 1
	.set _ZN9rocsparseL16sddmm_csx_kernelILi512ELi8EL20rocsparse_direction_0E21rocsparse_complex_numIdEliS3_S3_S3_EEv20rocsparse_operation_S4_16rocsparse_order_S5_T4_S6_S6_T3_NS_24const_host_device_scalarIT2_EEPKT5_lPKT6_lSA_PT7_PKS7_PKS6_21rocsparse_index_base_b.uses_flat_scratch, 0
	.set _ZN9rocsparseL16sddmm_csx_kernelILi512ELi8EL20rocsparse_direction_0E21rocsparse_complex_numIdEliS3_S3_S3_EEv20rocsparse_operation_S4_16rocsparse_order_S5_T4_S6_S6_T3_NS_24const_host_device_scalarIT2_EEPKT5_lPKT6_lSA_PT7_PKS7_PKS6_21rocsparse_index_base_b.has_dyn_sized_stack, 0
	.set _ZN9rocsparseL16sddmm_csx_kernelILi512ELi8EL20rocsparse_direction_0E21rocsparse_complex_numIdEliS3_S3_S3_EEv20rocsparse_operation_S4_16rocsparse_order_S5_T4_S6_S6_T3_NS_24const_host_device_scalarIT2_EEPKT5_lPKT6_lSA_PT7_PKS7_PKS6_21rocsparse_index_base_b.has_recursion, 0
	.set _ZN9rocsparseL16sddmm_csx_kernelILi512ELi8EL20rocsparse_direction_0E21rocsparse_complex_numIdEliS3_S3_S3_EEv20rocsparse_operation_S4_16rocsparse_order_S5_T4_S6_S6_T3_NS_24const_host_device_scalarIT2_EEPKT5_lPKT6_lSA_PT7_PKS7_PKS6_21rocsparse_index_base_b.has_indirect_call, 0
	.section	.AMDGPU.csdata,"",@progbits
; Kernel info:
; codeLenInByte = 1368
; TotalNumSgprs: 38
; NumVgprs: 38
; NumAgprs: 0
; TotalNumVgprs: 38
; ScratchSize: 0
; MemoryBound: 0
; FloatMode: 240
; IeeeMode: 1
; LDSByteSize: 8192 bytes/workgroup (compile time only)
; SGPRBlocks: 4
; VGPRBlocks: 4
; NumSGPRsForWavesPerEU: 38
; NumVGPRsForWavesPerEU: 38
; AccumOffset: 40
; Occupancy: 8
; WaveLimiterHint : 0
; COMPUTE_PGM_RSRC2:SCRATCH_EN: 0
; COMPUTE_PGM_RSRC2:USER_SGPR: 2
; COMPUTE_PGM_RSRC2:TRAP_HANDLER: 0
; COMPUTE_PGM_RSRC2:TGID_X_EN: 1
; COMPUTE_PGM_RSRC2:TGID_Y_EN: 0
; COMPUTE_PGM_RSRC2:TGID_Z_EN: 0
; COMPUTE_PGM_RSRC2:TIDIG_COMP_CNT: 0
; COMPUTE_PGM_RSRC3_GFX90A:ACCUM_OFFSET: 9
; COMPUTE_PGM_RSRC3_GFX90A:TG_SPLIT: 0
	.section	.text._ZN9rocsparseL16sddmm_csx_kernelILi512ELi4EL20rocsparse_direction_0E21rocsparse_complex_numIdEliS3_S3_S3_EEv20rocsparse_operation_S4_16rocsparse_order_S5_T4_S6_S6_T3_NS_24const_host_device_scalarIT2_EEPKT5_lPKT6_lSA_PT7_PKS7_PKS6_21rocsparse_index_base_b,"axG",@progbits,_ZN9rocsparseL16sddmm_csx_kernelILi512ELi4EL20rocsparse_direction_0E21rocsparse_complex_numIdEliS3_S3_S3_EEv20rocsparse_operation_S4_16rocsparse_order_S5_T4_S6_S6_T3_NS_24const_host_device_scalarIT2_EEPKT5_lPKT6_lSA_PT7_PKS7_PKS6_21rocsparse_index_base_b,comdat
	.globl	_ZN9rocsparseL16sddmm_csx_kernelILi512ELi4EL20rocsparse_direction_0E21rocsparse_complex_numIdEliS3_S3_S3_EEv20rocsparse_operation_S4_16rocsparse_order_S5_T4_S6_S6_T3_NS_24const_host_device_scalarIT2_EEPKT5_lPKT6_lSA_PT7_PKS7_PKS6_21rocsparse_index_base_b ; -- Begin function _ZN9rocsparseL16sddmm_csx_kernelILi512ELi4EL20rocsparse_direction_0E21rocsparse_complex_numIdEliS3_S3_S3_EEv20rocsparse_operation_S4_16rocsparse_order_S5_T4_S6_S6_T3_NS_24const_host_device_scalarIT2_EEPKT5_lPKT6_lSA_PT7_PKS7_PKS6_21rocsparse_index_base_b
	.p2align	8
	.type	_ZN9rocsparseL16sddmm_csx_kernelILi512ELi4EL20rocsparse_direction_0E21rocsparse_complex_numIdEliS3_S3_S3_EEv20rocsparse_operation_S4_16rocsparse_order_S5_T4_S6_S6_T3_NS_24const_host_device_scalarIT2_EEPKT5_lPKT6_lSA_PT7_PKS7_PKS6_21rocsparse_index_base_b,@function
_ZN9rocsparseL16sddmm_csx_kernelILi512ELi4EL20rocsparse_direction_0E21rocsparse_complex_numIdEliS3_S3_S3_EEv20rocsparse_operation_S4_16rocsparse_order_S5_T4_S6_S6_T3_NS_24const_host_device_scalarIT2_EEPKT5_lPKT6_lSA_PT7_PKS7_PKS6_21rocsparse_index_base_b: ; @_ZN9rocsparseL16sddmm_csx_kernelILi512ELi4EL20rocsparse_direction_0E21rocsparse_complex_numIdEliS3_S3_S3_EEv20rocsparse_operation_S4_16rocsparse_order_S5_T4_S6_S6_T3_NS_24const_host_device_scalarIT2_EEPKT5_lPKT6_lSA_PT7_PKS7_PKS6_21rocsparse_index_base_b
; %bb.0:
	s_load_dwordx2 s[4:5], s[0:1], 0x28
	s_load_dwordx4 s[12:15], s[0:1], 0x50
	s_load_dwordx2 s[10:11], s[0:1], 0x80
	s_add_u32 s3, s0, 40
	s_addc_u32 s6, s1, 0
	s_add_u32 s7, s0, 0x58
	s_addc_u32 s8, s1, 0
	s_waitcnt lgkmcnt(0)
	s_bitcmp1_b32 s11, 0
	s_cselect_b32 s5, s6, s5
	s_cselect_b32 s3, s3, s4
	v_mov_b32_e32 v2, s3
	v_mov_b32_e32 v3, s5
	flat_load_dwordx4 v[2:5], v[2:3]
	s_cselect_b32 s3, s8, s15
	s_cselect_b32 s4, s7, s14
	v_mov_b32_e32 v6, s4
	v_mov_b32_e32 v7, s3
	flat_load_dwordx4 v[6:9], v[6:7]
	s_waitcnt vmcnt(0) lgkmcnt(0)
	v_cmp_eq_f64_e32 vcc, 0, v[2:3]
	v_cmp_eq_f64_e64 s[4:5], 0, v[4:5]
	s_and_b64 s[8:9], vcc, s[4:5]
	s_mov_b64 s[4:5], -1
	s_and_saveexec_b64 s[6:7], s[8:9]
; %bb.1:
	v_cmp_neq_f64_e32 vcc, 1.0, v[6:7]
	v_cmp_neq_f64_e64 s[4:5], 0, v[8:9]
	s_or_b64 s[4:5], vcc, s[4:5]
	s_orn2_b64 s[4:5], s[4:5], exec
; %bb.2:
	s_or_b64 exec, exec, s[6:7]
	s_and_saveexec_b64 s[6:7], s[4:5]
	s_cbranch_execz .LBB147_32
; %bb.3:
	s_load_dword s4, s[0:1], 0x10
	v_lshrrev_b32_e32 v14, 2, v0
	v_lshl_or_b32 v10, s2, 7, v14
	v_mov_b32_e32 v11, 0
	s_waitcnt lgkmcnt(0)
	s_ashr_i32 s5, s4, 31
	v_cmp_gt_i64_e32 vcc, s[4:5], v[10:11]
	s_and_b64 exec, exec, vcc
	s_cbranch_execz .LBB147_32
; %bb.4:
	s_load_dwordx4 s[4:7], s[0:1], 0x0
	s_load_dwordx2 s[14:15], s[0:1], 0x70
	s_load_dwordx2 s[2:3], s[0:1], 0x40
	s_waitcnt lgkmcnt(0)
	s_cmp_eq_u32 s6, 1
	s_cselect_b64 s[8:9], -1, 0
	s_cmpk_eq_i32 s4, 0x6f
	s_cselect_b64 s[16:17], -1, 0
	s_cmpk_lg_i32 s4, 0x6f
	s_cselect_b64 s[18:19], -1, 0
	s_cmp_lg_u32 s6, 1
	s_cbranch_scc0 .LBB147_8
; %bb.5:
	s_andn2_b64 vcc, exec, s[16:17]
	v_mov_b64_e32 v[18:19], v[10:11]
	s_cbranch_vccnz .LBB147_7
; %bb.6:
	v_mad_u64_u32 v[18:19], s[20:21], s2, v10, 0
	v_mov_b32_e32 v12, v19
	v_mad_u64_u32 v[12:13], s[20:21], s3, v10, v[12:13]
	v_mov_b32_e32 v19, v12
.LBB147_7:
	s_cbranch_execz .LBB147_9
	s_branch .LBB147_11
.LBB147_8:
                                        ; implicit-def: $vgpr18_vgpr19
.LBB147_9:
	s_andn2_b64 vcc, exec, s[18:19]
	v_mov_b64_e32 v[18:19], v[10:11]
	s_cbranch_vccnz .LBB147_11
; %bb.10:
	v_mad_u64_u32 v[18:19], s[18:19], s2, v10, 0
	v_mov_b32_e32 v12, v19
	v_mad_u64_u32 v[12:13], s[18:19], s3, v10, v[12:13]
	v_mov_b32_e32 v19, v12
.LBB147_11:
	v_lshl_add_u64 v[10:11], v[10:11], 3, s[14:15]
	global_load_dwordx4 v[10:13], v[10:11], off
	s_waitcnt vmcnt(0)
	v_cmp_lt_i64_e32 vcc, v[10:11], v[12:13]
	s_and_b64 exec, exec, vcc
	s_cbranch_execz .LBB147_32
; %bb.12:
	s_xor_b64 s[8:9], s[16:17], s[8:9]
	s_and_b64 s[8:9], s[8:9], exec
	s_cselect_b32 s9, 0, s3
	s_cselect_b32 s8, 1, s2
	s_cmp_lg_u32 s7, 1
	s_cselect_b64 s[16:17], -1, 0
	s_cmp_eq_u32 s7, 1
	s_cselect_b64 s[2:3], -1, 0
	s_cmpk_eq_i32 s5, 0x6f
	s_cselect_b64 s[6:7], -1, 0
	s_cmpk_lg_i32 s5, 0x6f
	s_cselect_b64 s[26:27], -1, 0
	s_xor_b64 s[2:3], s[6:7], s[2:3]
	s_and_b64 s[2:3], s[2:3], exec
	v_cndmask_b32_e64 v20, 0, 1, s[6:7]
	s_cselect_b32 s6, s12, 1
	v_and_b32_e32 v24, 3, v0
	v_subrev_co_u32_e32 v0, vcc, s10, v10
	s_cselect_b32 s7, s13, 0
	s_nop 0
	v_subbrev_co_u32_e32 v1, vcc, 0, v11, vcc
	v_mad_u64_u32 v[10:11], s[24:25], s6, v24, 0
	s_load_dwordx2 s[18:19], s[0:1], 0x68
	s_load_dwordx2 s[20:21], s[0:1], 0x48
	;; [unrolled: 1-line block ×3, first 2 shown]
	s_load_dword s11, s[0:1], 0x18
	v_lshlrev_b32_e32 v25, 6, v14
	v_subrev_co_u32_e32 v14, vcc, s10, v12
	v_mov_b32_e32 v12, v11
	s_nop 0
	v_subbrev_co_u32_e32 v15, vcc, 0, v13, vcc
	v_mad_u64_u32 v[12:13], s[24:25], s7, v24, v[12:13]
	v_mov_b32_e32 v11, v12
	s_waitcnt lgkmcnt(0)
	v_lshl_add_u64 v[10:11], v[10:11], 4, s[20:21]
	v_lshl_add_u64 v[16:17], v[10:11], 0, 8
	s_lshl_b64 s[20:21], s[6:7], 6
	v_mad_u64_u32 v[10:11], s[6:7], s8, v24, 0
	v_mov_b32_e32 v12, v11
	v_mad_u64_u32 v[12:13], s[6:7], s9, v24, v[12:13]
	s_load_dwordx2 s[14:15], s[0:1], 0x78
	v_mov_b32_e32 v11, v12
	v_lshlrev_b64 v[12:13], 4, v[18:19]
	v_lshl_add_u64 v[10:11], v[10:11], 4, v[12:13]
	v_lshl_add_u64 v[10:11], s[22:23], 0, v[10:11]
	;; [unrolled: 1-line block ×3, first 2 shown]
	v_cndmask_b32_e64 v10, 0, 1, s[26:27]
	v_cmp_gt_i32_e64 s[0:1], s11, v24
	v_lshl_or_b32 v26, v24, 4, v25
	v_cmp_eq_u32_e64 s[2:3], 0, v24
	v_cmp_gt_u32_e64 s[4:5], 2, v24
	s_lshl_b64 s[22:23], s[8:9], 6
	s_mov_b64 s[24:25], 0
	v_cmp_ne_u32_e64 s[6:7], 1, v10
	v_cmp_ne_u32_e64 s[8:9], 1, v20
	s_branch .LBB147_14
.LBB147_13:                             ;   in Loop: Header=BB147_14 Depth=1
	s_or_b64 exec, exec, s[26:27]
	v_lshl_add_u64 v[0:1], v[0:1], 0, 1
	v_cmp_ge_i64_e32 vcc, v[0:1], v[14:15]
	s_or_b64 s[24:25], vcc, s[24:25]
	s_andn2_b64 exec, exec, s[24:25]
	s_cbranch_execz .LBB147_32
.LBB147_14:                             ; =>This Loop Header: Depth=1
                                        ;     Child Loop BB147_24 Depth 2
	s_waitcnt lgkmcnt(0)
	v_lshl_add_u64 v[10:11], v[0:1], 2, s[14:15]
	global_load_dword v10, v[10:11], off
	s_mov_b64 s[26:27], -1
	s_and_b64 vcc, exec, s[16:17]
                                        ; implicit-def: $vgpr20_vgpr21
	s_waitcnt vmcnt(0)
	v_subrev_u32_e32 v10, s10, v10
	v_ashrrev_i32_e32 v11, 31, v10
	s_cbranch_vccnz .LBB147_17
; %bb.15:                               ;   in Loop: Header=BB147_14 Depth=1
	s_andn2_b64 vcc, exec, s[26:27]
	s_cbranch_vccz .LBB147_20
.LBB147_16:                             ;   in Loop: Header=BB147_14 Depth=1
	v_mov_b64_e32 v[12:13], 0
	v_mov_b64_e32 v[10:11], 0
	s_and_saveexec_b64 s[26:27], s[0:1]
	s_cbranch_execnz .LBB147_23
	s_branch .LBB147_26
.LBB147_17:                             ;   in Loop: Header=BB147_14 Depth=1
	s_and_b64 vcc, exec, s[6:7]
	v_mov_b64_e32 v[20:21], v[10:11]
	s_cbranch_vccnz .LBB147_19
; %bb.18:                               ;   in Loop: Header=BB147_14 Depth=1
	v_mul_lo_u32 v12, s13, v10
	v_mul_lo_u32 v13, s12, v11
	v_mad_u64_u32 v[20:21], s[26:27], s12, v10, 0
	v_add3_u32 v21, v21, v13, v12
.LBB147_19:                             ;   in Loop: Header=BB147_14 Depth=1
	s_cbranch_execnz .LBB147_16
.LBB147_20:                             ;   in Loop: Header=BB147_14 Depth=1
	s_and_b64 vcc, exec, s[8:9]
	s_cbranch_vccnz .LBB147_22
; %bb.21:                               ;   in Loop: Header=BB147_14 Depth=1
	v_mul_lo_u32 v12, s13, v10
	v_mul_lo_u32 v13, s12, v11
	v_mad_u64_u32 v[10:11], s[26:27], s12, v10, 0
	v_add3_u32 v11, v11, v13, v12
.LBB147_22:                             ;   in Loop: Header=BB147_14 Depth=1
	v_mov_b64_e32 v[20:21], v[10:11]
	v_mov_b64_e32 v[12:13], 0
	;; [unrolled: 1-line block ×3, first 2 shown]
	s_and_saveexec_b64 s[26:27], s[0:1]
	s_cbranch_execz .LBB147_26
.LBB147_23:                             ;   in Loop: Header=BB147_14 Depth=1
	v_mov_b64_e32 v[12:13], 0
	v_lshl_add_u64 v[20:21], v[20:21], 4, v[16:17]
	s_mov_b64 s[28:29], 0
	v_mov_b64_e32 v[22:23], v[18:19]
	v_mov_b32_e32 v27, v24
	v_mov_b64_e32 v[10:11], v[12:13]
.LBB147_24:                             ;   Parent Loop BB147_14 Depth=1
                                        ; =>  This Inner Loop Header: Depth=2
	global_load_dwordx4 v[28:31], v[20:21], off offset:-8
	global_load_dwordx4 v[32:35], v[22:23], off offset:-8
	v_add_u32_e32 v27, 4, v27
	v_cmp_le_i32_e32 vcc, s11, v27
	v_lshl_add_u64 v[20:21], v[20:21], 0, s[20:21]
	v_lshl_add_u64 v[22:23], v[22:23], 0, s[22:23]
	s_or_b64 s[28:29], vcc, s[28:29]
	s_waitcnt vmcnt(0)
	v_mul_f64 v[36:37], v[30:31], -v[34:35]
	v_mul_f64 v[30:31], v[30:31], v[32:33]
	v_fmac_f64_e32 v[36:37], v[32:33], v[28:29]
	v_fmac_f64_e32 v[30:31], v[34:35], v[28:29]
	v_add_f64 v[10:11], v[10:11], v[36:37]
	v_add_f64 v[12:13], v[12:13], v[30:31]
	s_andn2_b64 exec, exec, s[28:29]
	s_cbranch_execnz .LBB147_24
; %bb.25:                               ;   in Loop: Header=BB147_14 Depth=1
	s_or_b64 exec, exec, s[28:29]
.LBB147_26:                             ;   in Loop: Header=BB147_14 Depth=1
	s_or_b64 exec, exec, s[26:27]
	ds_write_b128 v26, v[10:13]
	s_waitcnt lgkmcnt(0)
	s_barrier
	s_and_saveexec_b64 s[26:27], s[4:5]
	s_cbranch_execz .LBB147_28
; %bb.27:                               ;   in Loop: Header=BB147_14 Depth=1
	ds_read_b128 v[10:13], v26
	ds_read_b128 v[20:23], v26 offset:32
	s_waitcnt lgkmcnt(0)
	v_add_f64 v[10:11], v[20:21], v[10:11]
	v_add_f64 v[12:13], v[22:23], v[12:13]
	ds_write_b128 v26, v[10:13]
.LBB147_28:                             ;   in Loop: Header=BB147_14 Depth=1
	s_or_b64 exec, exec, s[26:27]
	s_waitcnt lgkmcnt(0)
	s_barrier
	s_and_saveexec_b64 s[26:27], s[2:3]
	s_cbranch_execz .LBB147_30
; %bb.29:                               ;   in Loop: Header=BB147_14 Depth=1
	ds_read_b128 v[10:13], v26
	ds_read_b128 v[20:23], v26 offset:16
	s_waitcnt lgkmcnt(0)
	v_add_f64 v[10:11], v[20:21], v[10:11]
	v_add_f64 v[12:13], v[22:23], v[12:13]
	ds_write_b128 v26, v[10:13]
.LBB147_30:                             ;   in Loop: Header=BB147_14 Depth=1
	s_or_b64 exec, exec, s[26:27]
	s_waitcnt lgkmcnt(0)
	s_barrier
	s_and_saveexec_b64 s[26:27], s[2:3]
	s_cbranch_execz .LBB147_13
; %bb.31:                               ;   in Loop: Header=BB147_14 Depth=1
	v_lshl_add_u64 v[28:29], v[0:1], 4, s[18:19]
	global_load_dwordx4 v[10:13], v[28:29], off
	ds_read_b128 v[20:23], v25
	s_waitcnt lgkmcnt(0)
	v_mul_f64 v[30:31], v[22:23], -v[4:5]
	v_mul_f64 v[22:23], v[2:3], v[22:23]
	v_fmac_f64_e32 v[30:31], v[2:3], v[20:21]
	v_fmac_f64_e32 v[22:23], v[4:5], v[20:21]
	s_waitcnt vmcnt(0)
	v_mul_f64 v[20:21], v[8:9], -v[12:13]
	v_mul_f64 v[32:33], v[8:9], v[10:11]
	v_fmac_f64_e32 v[20:21], v[10:11], v[6:7]
	v_fmac_f64_e32 v[32:33], v[12:13], v[6:7]
	v_add_f64 v[10:11], v[20:21], v[30:31]
	v_add_f64 v[12:13], v[32:33], v[22:23]
	global_store_dwordx4 v[28:29], v[10:13], off
	s_branch .LBB147_13
.LBB147_32:
	s_endpgm
	.section	.rodata,"a",@progbits
	.p2align	6, 0x0
	.amdhsa_kernel _ZN9rocsparseL16sddmm_csx_kernelILi512ELi4EL20rocsparse_direction_0E21rocsparse_complex_numIdEliS3_S3_S3_EEv20rocsparse_operation_S4_16rocsparse_order_S5_T4_S6_S6_T3_NS_24const_host_device_scalarIT2_EEPKT5_lPKT6_lSA_PT7_PKS7_PKS6_21rocsparse_index_base_b
		.amdhsa_group_segment_fixed_size 8192
		.amdhsa_private_segment_fixed_size 0
		.amdhsa_kernarg_size 136
		.amdhsa_user_sgpr_count 2
		.amdhsa_user_sgpr_dispatch_ptr 0
		.amdhsa_user_sgpr_queue_ptr 0
		.amdhsa_user_sgpr_kernarg_segment_ptr 1
		.amdhsa_user_sgpr_dispatch_id 0
		.amdhsa_user_sgpr_kernarg_preload_length 0
		.amdhsa_user_sgpr_kernarg_preload_offset 0
		.amdhsa_user_sgpr_private_segment_size 0
		.amdhsa_uses_dynamic_stack 0
		.amdhsa_enable_private_segment 0
		.amdhsa_system_sgpr_workgroup_id_x 1
		.amdhsa_system_sgpr_workgroup_id_y 0
		.amdhsa_system_sgpr_workgroup_id_z 0
		.amdhsa_system_sgpr_workgroup_info 0
		.amdhsa_system_vgpr_workitem_id 0
		.amdhsa_next_free_vgpr 38
		.amdhsa_next_free_sgpr 30
		.amdhsa_accum_offset 40
		.amdhsa_reserve_vcc 1
		.amdhsa_float_round_mode_32 0
		.amdhsa_float_round_mode_16_64 0
		.amdhsa_float_denorm_mode_32 3
		.amdhsa_float_denorm_mode_16_64 3
		.amdhsa_dx10_clamp 1
		.amdhsa_ieee_mode 1
		.amdhsa_fp16_overflow 0
		.amdhsa_tg_split 0
		.amdhsa_exception_fp_ieee_invalid_op 0
		.amdhsa_exception_fp_denorm_src 0
		.amdhsa_exception_fp_ieee_div_zero 0
		.amdhsa_exception_fp_ieee_overflow 0
		.amdhsa_exception_fp_ieee_underflow 0
		.amdhsa_exception_fp_ieee_inexact 0
		.amdhsa_exception_int_div_zero 0
	.end_amdhsa_kernel
	.section	.text._ZN9rocsparseL16sddmm_csx_kernelILi512ELi4EL20rocsparse_direction_0E21rocsparse_complex_numIdEliS3_S3_S3_EEv20rocsparse_operation_S4_16rocsparse_order_S5_T4_S6_S6_T3_NS_24const_host_device_scalarIT2_EEPKT5_lPKT6_lSA_PT7_PKS7_PKS6_21rocsparse_index_base_b,"axG",@progbits,_ZN9rocsparseL16sddmm_csx_kernelILi512ELi4EL20rocsparse_direction_0E21rocsparse_complex_numIdEliS3_S3_S3_EEv20rocsparse_operation_S4_16rocsparse_order_S5_T4_S6_S6_T3_NS_24const_host_device_scalarIT2_EEPKT5_lPKT6_lSA_PT7_PKS7_PKS6_21rocsparse_index_base_b,comdat
.Lfunc_end147:
	.size	_ZN9rocsparseL16sddmm_csx_kernelILi512ELi4EL20rocsparse_direction_0E21rocsparse_complex_numIdEliS3_S3_S3_EEv20rocsparse_operation_S4_16rocsparse_order_S5_T4_S6_S6_T3_NS_24const_host_device_scalarIT2_EEPKT5_lPKT6_lSA_PT7_PKS7_PKS6_21rocsparse_index_base_b, .Lfunc_end147-_ZN9rocsparseL16sddmm_csx_kernelILi512ELi4EL20rocsparse_direction_0E21rocsparse_complex_numIdEliS3_S3_S3_EEv20rocsparse_operation_S4_16rocsparse_order_S5_T4_S6_S6_T3_NS_24const_host_device_scalarIT2_EEPKT5_lPKT6_lSA_PT7_PKS7_PKS6_21rocsparse_index_base_b
                                        ; -- End function
	.set _ZN9rocsparseL16sddmm_csx_kernelILi512ELi4EL20rocsparse_direction_0E21rocsparse_complex_numIdEliS3_S3_S3_EEv20rocsparse_operation_S4_16rocsparse_order_S5_T4_S6_S6_T3_NS_24const_host_device_scalarIT2_EEPKT5_lPKT6_lSA_PT7_PKS7_PKS6_21rocsparse_index_base_b.num_vgpr, 38
	.set _ZN9rocsparseL16sddmm_csx_kernelILi512ELi4EL20rocsparse_direction_0E21rocsparse_complex_numIdEliS3_S3_S3_EEv20rocsparse_operation_S4_16rocsparse_order_S5_T4_S6_S6_T3_NS_24const_host_device_scalarIT2_EEPKT5_lPKT6_lSA_PT7_PKS7_PKS6_21rocsparse_index_base_b.num_agpr, 0
	.set _ZN9rocsparseL16sddmm_csx_kernelILi512ELi4EL20rocsparse_direction_0E21rocsparse_complex_numIdEliS3_S3_S3_EEv20rocsparse_operation_S4_16rocsparse_order_S5_T4_S6_S6_T3_NS_24const_host_device_scalarIT2_EEPKT5_lPKT6_lSA_PT7_PKS7_PKS6_21rocsparse_index_base_b.numbered_sgpr, 30
	.set _ZN9rocsparseL16sddmm_csx_kernelILi512ELi4EL20rocsparse_direction_0E21rocsparse_complex_numIdEliS3_S3_S3_EEv20rocsparse_operation_S4_16rocsparse_order_S5_T4_S6_S6_T3_NS_24const_host_device_scalarIT2_EEPKT5_lPKT6_lSA_PT7_PKS7_PKS6_21rocsparse_index_base_b.num_named_barrier, 0
	.set _ZN9rocsparseL16sddmm_csx_kernelILi512ELi4EL20rocsparse_direction_0E21rocsparse_complex_numIdEliS3_S3_S3_EEv20rocsparse_operation_S4_16rocsparse_order_S5_T4_S6_S6_T3_NS_24const_host_device_scalarIT2_EEPKT5_lPKT6_lSA_PT7_PKS7_PKS6_21rocsparse_index_base_b.private_seg_size, 0
	.set _ZN9rocsparseL16sddmm_csx_kernelILi512ELi4EL20rocsparse_direction_0E21rocsparse_complex_numIdEliS3_S3_S3_EEv20rocsparse_operation_S4_16rocsparse_order_S5_T4_S6_S6_T3_NS_24const_host_device_scalarIT2_EEPKT5_lPKT6_lSA_PT7_PKS7_PKS6_21rocsparse_index_base_b.uses_vcc, 1
	.set _ZN9rocsparseL16sddmm_csx_kernelILi512ELi4EL20rocsparse_direction_0E21rocsparse_complex_numIdEliS3_S3_S3_EEv20rocsparse_operation_S4_16rocsparse_order_S5_T4_S6_S6_T3_NS_24const_host_device_scalarIT2_EEPKT5_lPKT6_lSA_PT7_PKS7_PKS6_21rocsparse_index_base_b.uses_flat_scratch, 0
	.set _ZN9rocsparseL16sddmm_csx_kernelILi512ELi4EL20rocsparse_direction_0E21rocsparse_complex_numIdEliS3_S3_S3_EEv20rocsparse_operation_S4_16rocsparse_order_S5_T4_S6_S6_T3_NS_24const_host_device_scalarIT2_EEPKT5_lPKT6_lSA_PT7_PKS7_PKS6_21rocsparse_index_base_b.has_dyn_sized_stack, 0
	.set _ZN9rocsparseL16sddmm_csx_kernelILi512ELi4EL20rocsparse_direction_0E21rocsparse_complex_numIdEliS3_S3_S3_EEv20rocsparse_operation_S4_16rocsparse_order_S5_T4_S6_S6_T3_NS_24const_host_device_scalarIT2_EEPKT5_lPKT6_lSA_PT7_PKS7_PKS6_21rocsparse_index_base_b.has_recursion, 0
	.set _ZN9rocsparseL16sddmm_csx_kernelILi512ELi4EL20rocsparse_direction_0E21rocsparse_complex_numIdEliS3_S3_S3_EEv20rocsparse_operation_S4_16rocsparse_order_S5_T4_S6_S6_T3_NS_24const_host_device_scalarIT2_EEPKT5_lPKT6_lSA_PT7_PKS7_PKS6_21rocsparse_index_base_b.has_indirect_call, 0
	.section	.AMDGPU.csdata,"",@progbits
; Kernel info:
; codeLenInByte = 1296
; TotalNumSgprs: 36
; NumVgprs: 38
; NumAgprs: 0
; TotalNumVgprs: 38
; ScratchSize: 0
; MemoryBound: 0
; FloatMode: 240
; IeeeMode: 1
; LDSByteSize: 8192 bytes/workgroup (compile time only)
; SGPRBlocks: 4
; VGPRBlocks: 4
; NumSGPRsForWavesPerEU: 36
; NumVGPRsForWavesPerEU: 38
; AccumOffset: 40
; Occupancy: 8
; WaveLimiterHint : 0
; COMPUTE_PGM_RSRC2:SCRATCH_EN: 0
; COMPUTE_PGM_RSRC2:USER_SGPR: 2
; COMPUTE_PGM_RSRC2:TRAP_HANDLER: 0
; COMPUTE_PGM_RSRC2:TGID_X_EN: 1
; COMPUTE_PGM_RSRC2:TGID_Y_EN: 0
; COMPUTE_PGM_RSRC2:TGID_Z_EN: 0
; COMPUTE_PGM_RSRC2:TIDIG_COMP_CNT: 0
; COMPUTE_PGM_RSRC3_GFX90A:ACCUM_OFFSET: 9
; COMPUTE_PGM_RSRC3_GFX90A:TG_SPLIT: 0
	.section	.text._ZN9rocsparseL16sddmm_csx_kernelILi512ELi2EL20rocsparse_direction_0E21rocsparse_complex_numIdEliS3_S3_S3_EEv20rocsparse_operation_S4_16rocsparse_order_S5_T4_S6_S6_T3_NS_24const_host_device_scalarIT2_EEPKT5_lPKT6_lSA_PT7_PKS7_PKS6_21rocsparse_index_base_b,"axG",@progbits,_ZN9rocsparseL16sddmm_csx_kernelILi512ELi2EL20rocsparse_direction_0E21rocsparse_complex_numIdEliS3_S3_S3_EEv20rocsparse_operation_S4_16rocsparse_order_S5_T4_S6_S6_T3_NS_24const_host_device_scalarIT2_EEPKT5_lPKT6_lSA_PT7_PKS7_PKS6_21rocsparse_index_base_b,comdat
	.globl	_ZN9rocsparseL16sddmm_csx_kernelILi512ELi2EL20rocsparse_direction_0E21rocsparse_complex_numIdEliS3_S3_S3_EEv20rocsparse_operation_S4_16rocsparse_order_S5_T4_S6_S6_T3_NS_24const_host_device_scalarIT2_EEPKT5_lPKT6_lSA_PT7_PKS7_PKS6_21rocsparse_index_base_b ; -- Begin function _ZN9rocsparseL16sddmm_csx_kernelILi512ELi2EL20rocsparse_direction_0E21rocsparse_complex_numIdEliS3_S3_S3_EEv20rocsparse_operation_S4_16rocsparse_order_S5_T4_S6_S6_T3_NS_24const_host_device_scalarIT2_EEPKT5_lPKT6_lSA_PT7_PKS7_PKS6_21rocsparse_index_base_b
	.p2align	8
	.type	_ZN9rocsparseL16sddmm_csx_kernelILi512ELi2EL20rocsparse_direction_0E21rocsparse_complex_numIdEliS3_S3_S3_EEv20rocsparse_operation_S4_16rocsparse_order_S5_T4_S6_S6_T3_NS_24const_host_device_scalarIT2_EEPKT5_lPKT6_lSA_PT7_PKS7_PKS6_21rocsparse_index_base_b,@function
_ZN9rocsparseL16sddmm_csx_kernelILi512ELi2EL20rocsparse_direction_0E21rocsparse_complex_numIdEliS3_S3_S3_EEv20rocsparse_operation_S4_16rocsparse_order_S5_T4_S6_S6_T3_NS_24const_host_device_scalarIT2_EEPKT5_lPKT6_lSA_PT7_PKS7_PKS6_21rocsparse_index_base_b: ; @_ZN9rocsparseL16sddmm_csx_kernelILi512ELi2EL20rocsparse_direction_0E21rocsparse_complex_numIdEliS3_S3_S3_EEv20rocsparse_operation_S4_16rocsparse_order_S5_T4_S6_S6_T3_NS_24const_host_device_scalarIT2_EEPKT5_lPKT6_lSA_PT7_PKS7_PKS6_21rocsparse_index_base_b
; %bb.0:
	s_load_dwordx2 s[4:5], s[0:1], 0x28
	s_load_dwordx4 s[8:11], s[0:1], 0x50
	s_load_dwordx2 s[12:13], s[0:1], 0x80
	s_add_u32 s3, s0, 40
	s_addc_u32 s6, s1, 0
	s_add_u32 s7, s0, 0x58
	s_addc_u32 s14, s1, 0
	s_waitcnt lgkmcnt(0)
	s_bitcmp1_b32 s13, 0
	s_cselect_b32 s5, s6, s5
	s_cselect_b32 s3, s3, s4
	v_mov_b32_e32 v2, s3
	v_mov_b32_e32 v3, s5
	flat_load_dwordx4 v[2:5], v[2:3]
	s_cselect_b32 s3, s14, s11
	s_cselect_b32 s4, s7, s10
	v_mov_b32_e32 v6, s4
	v_mov_b32_e32 v7, s3
	flat_load_dwordx4 v[6:9], v[6:7]
	s_waitcnt vmcnt(0) lgkmcnt(0)
	v_cmp_eq_f64_e32 vcc, 0, v[2:3]
	v_cmp_eq_f64_e64 s[4:5], 0, v[4:5]
	s_and_b64 s[10:11], vcc, s[4:5]
	s_mov_b64 s[4:5], -1
	s_and_saveexec_b64 s[6:7], s[10:11]
; %bb.1:
	v_cmp_neq_f64_e32 vcc, 1.0, v[6:7]
	v_cmp_neq_f64_e64 s[4:5], 0, v[8:9]
	s_or_b64 s[4:5], vcc, s[4:5]
	s_orn2_b64 s[4:5], s[4:5], exec
; %bb.2:
	s_or_b64 exec, exec, s[6:7]
	s_and_saveexec_b64 s[6:7], s[4:5]
	s_cbranch_execz .LBB148_30
; %bb.3:
	s_load_dword s4, s[0:1], 0x10
	v_lshrrev_b32_e32 v14, 1, v0
	v_lshl_or_b32 v10, s2, 8, v14
	v_mov_b32_e32 v11, 0
	s_waitcnt lgkmcnt(0)
	s_ashr_i32 s5, s4, 31
	v_cmp_gt_i64_e32 vcc, s[4:5], v[10:11]
	s_and_b64 exec, exec, vcc
	s_cbranch_execz .LBB148_30
; %bb.4:
	s_load_dwordx4 s[4:7], s[0:1], 0x0
	s_load_dwordx2 s[10:11], s[0:1], 0x70
	s_load_dwordx2 s[2:3], s[0:1], 0x40
	s_waitcnt lgkmcnt(0)
	s_cmp_eq_u32 s6, 1
	s_cselect_b64 s[14:15], -1, 0
	s_cmpk_eq_i32 s4, 0x6f
	s_cselect_b64 s[16:17], -1, 0
	s_cmpk_lg_i32 s4, 0x6f
	s_cselect_b64 s[18:19], -1, 0
	s_cmp_lg_u32 s6, 1
	s_cbranch_scc0 .LBB148_8
; %bb.5:
	s_andn2_b64 vcc, exec, s[16:17]
	v_mov_b64_e32 v[18:19], v[10:11]
	s_cbranch_vccnz .LBB148_7
; %bb.6:
	v_mad_u64_u32 v[18:19], s[20:21], s2, v10, 0
	v_mov_b32_e32 v12, v19
	v_mad_u64_u32 v[12:13], s[20:21], s3, v10, v[12:13]
	v_mov_b32_e32 v19, v12
.LBB148_7:
	s_cbranch_execz .LBB148_9
	s_branch .LBB148_11
.LBB148_8:
                                        ; implicit-def: $vgpr18_vgpr19
.LBB148_9:
	s_andn2_b64 vcc, exec, s[18:19]
	v_mov_b64_e32 v[18:19], v[10:11]
	s_cbranch_vccnz .LBB148_11
; %bb.10:
	v_mad_u64_u32 v[18:19], s[18:19], s2, v10, 0
	v_mov_b32_e32 v12, v19
	v_mad_u64_u32 v[12:13], s[18:19], s3, v10, v[12:13]
	v_mov_b32_e32 v19, v12
.LBB148_11:
	v_lshl_add_u64 v[10:11], v[10:11], 3, s[10:11]
	global_load_dwordx4 v[10:13], v[10:11], off
	s_waitcnt vmcnt(0)
	v_cmp_lt_i64_e32 vcc, v[10:11], v[12:13]
	s_and_b64 exec, exec, vcc
	s_cbranch_execz .LBB148_30
; %bb.12:
	s_xor_b64 s[14:15], s[16:17], s[14:15]
	s_and_b64 s[14:15], s[14:15], exec
	s_cselect_b32 s21, 0, s3
	s_cselect_b32 s20, 1, s2
	s_cmp_lg_u32 s7, 1
	s_cselect_b64 s[14:15], -1, 0
	s_cmp_eq_u32 s7, 1
	s_cselect_b64 s[2:3], -1, 0
	s_cmpk_eq_i32 s5, 0x6f
	s_cselect_b64 s[6:7], -1, 0
	s_cmpk_lg_i32 s5, 0x6f
	s_cselect_b64 s[4:5], -1, 0
	s_xor_b64 s[2:3], s[6:7], s[2:3]
	s_and_b64 s[2:3], s[2:3], exec
	s_load_dwordx2 s[16:17], s[0:1], 0x68
	s_load_dwordx2 s[18:19], s[0:1], 0x48
	;; [unrolled: 1-line block ×3, first 2 shown]
	s_load_dword s13, s[0:1], 0x18
	v_cndmask_b32_e64 v20, 0, 1, s[6:7]
	s_cselect_b32 s7, s9, 0
	s_cselect_b32 s6, s8, 1
	v_and_b32_e32 v24, 1, v0
	v_subrev_co_u32_e32 v0, vcc, s12, v10
	v_mul_lo_u32 v10, s6, v24
	s_nop 0
	v_subbrev_co_u32_e32 v1, vcc, 0, v11, vcc
	v_mul_lo_u32 v11, s7, v24
	v_lshlrev_b32_e32 v25, 5, v14
	v_subrev_co_u32_e32 v14, vcc, s12, v12
	s_waitcnt lgkmcnt(0)
	v_lshl_add_u64 v[10:11], v[10:11], 4, s[18:19]
	s_load_dwordx2 s[10:11], s[0:1], 0x78
	v_subbrev_co_u32_e32 v15, vcc, 0, v13, vcc
	v_lshl_add_u64 v[16:17], v[10:11], 0, 8
	v_mul_lo_u32 v11, s21, v24
	v_mul_lo_u32 v10, s20, v24
	v_lshlrev_b64 v[12:13], 4, v[18:19]
	v_lshl_add_u64 v[10:11], v[10:11], 4, v[12:13]
	v_lshl_add_u64 v[10:11], s[22:23], 0, v[10:11]
	;; [unrolled: 1-line block ×3, first 2 shown]
	v_cndmask_b32_e64 v10, 0, 1, s[4:5]
	v_cmp_gt_i32_e64 s[0:1], s13, v24
	v_lshl_or_b32 v26, v24, 4, v25
	v_cmp_eq_u32_e64 s[2:3], 0, v24
	s_lshl_b64 s[18:19], s[6:7], 5
	s_lshl_b64 s[20:21], s[20:21], 5
	s_mov_b64 s[22:23], 0
	v_cmp_ne_u32_e64 s[4:5], 1, v10
	v_cmp_ne_u32_e64 s[6:7], 1, v20
	s_branch .LBB148_14
.LBB148_13:                             ;   in Loop: Header=BB148_14 Depth=1
	s_or_b64 exec, exec, s[24:25]
	v_lshl_add_u64 v[0:1], v[0:1], 0, 1
	v_cmp_ge_i64_e32 vcc, v[0:1], v[14:15]
	s_or_b64 s[22:23], vcc, s[22:23]
	s_andn2_b64 exec, exec, s[22:23]
	s_cbranch_execz .LBB148_30
.LBB148_14:                             ; =>This Loop Header: Depth=1
                                        ;     Child Loop BB148_24 Depth 2
	s_waitcnt lgkmcnt(0)
	v_lshl_add_u64 v[10:11], v[0:1], 2, s[10:11]
	global_load_dword v10, v[10:11], off
	s_mov_b64 s[24:25], -1
	s_and_b64 vcc, exec, s[14:15]
                                        ; implicit-def: $vgpr20_vgpr21
	s_waitcnt vmcnt(0)
	v_subrev_u32_e32 v10, s12, v10
	v_ashrrev_i32_e32 v11, 31, v10
	s_cbranch_vccnz .LBB148_17
; %bb.15:                               ;   in Loop: Header=BB148_14 Depth=1
	s_andn2_b64 vcc, exec, s[24:25]
	s_cbranch_vccz .LBB148_20
.LBB148_16:                             ;   in Loop: Header=BB148_14 Depth=1
	v_mov_b64_e32 v[12:13], 0
	v_mov_b64_e32 v[10:11], 0
	s_and_saveexec_b64 s[24:25], s[0:1]
	s_cbranch_execnz .LBB148_23
	s_branch .LBB148_26
.LBB148_17:                             ;   in Loop: Header=BB148_14 Depth=1
	s_and_b64 vcc, exec, s[4:5]
	v_mov_b64_e32 v[20:21], v[10:11]
	s_cbranch_vccnz .LBB148_19
; %bb.18:                               ;   in Loop: Header=BB148_14 Depth=1
	v_mul_lo_u32 v12, s9, v10
	v_mul_lo_u32 v13, s8, v11
	v_mad_u64_u32 v[20:21], s[24:25], s8, v10, 0
	v_add3_u32 v21, v21, v13, v12
.LBB148_19:                             ;   in Loop: Header=BB148_14 Depth=1
	s_cbranch_execnz .LBB148_16
.LBB148_20:                             ;   in Loop: Header=BB148_14 Depth=1
	s_and_b64 vcc, exec, s[6:7]
	s_cbranch_vccnz .LBB148_22
; %bb.21:                               ;   in Loop: Header=BB148_14 Depth=1
	v_mul_lo_u32 v12, s9, v10
	v_mul_lo_u32 v13, s8, v11
	v_mad_u64_u32 v[10:11], s[24:25], s8, v10, 0
	v_add3_u32 v11, v11, v13, v12
.LBB148_22:                             ;   in Loop: Header=BB148_14 Depth=1
	v_mov_b64_e32 v[20:21], v[10:11]
	v_mov_b64_e32 v[12:13], 0
	;; [unrolled: 1-line block ×3, first 2 shown]
	s_and_saveexec_b64 s[24:25], s[0:1]
	s_cbranch_execz .LBB148_26
.LBB148_23:                             ;   in Loop: Header=BB148_14 Depth=1
	v_mov_b64_e32 v[12:13], 0
	v_lshl_add_u64 v[20:21], v[20:21], 4, v[16:17]
	s_mov_b64 s[26:27], 0
	v_mov_b64_e32 v[22:23], v[18:19]
	v_mov_b32_e32 v27, v24
	v_mov_b64_e32 v[10:11], v[12:13]
.LBB148_24:                             ;   Parent Loop BB148_14 Depth=1
                                        ; =>  This Inner Loop Header: Depth=2
	global_load_dwordx4 v[28:31], v[20:21], off offset:-8
	global_load_dwordx4 v[32:35], v[22:23], off offset:-8
	v_add_u32_e32 v27, 2, v27
	v_cmp_le_i32_e32 vcc, s13, v27
	v_lshl_add_u64 v[20:21], v[20:21], 0, s[18:19]
	v_lshl_add_u64 v[22:23], v[22:23], 0, s[20:21]
	s_or_b64 s[26:27], vcc, s[26:27]
	s_waitcnt vmcnt(0)
	v_mul_f64 v[36:37], v[30:31], -v[34:35]
	v_mul_f64 v[30:31], v[30:31], v[32:33]
	v_fmac_f64_e32 v[36:37], v[32:33], v[28:29]
	v_fmac_f64_e32 v[30:31], v[34:35], v[28:29]
	v_add_f64 v[10:11], v[10:11], v[36:37]
	v_add_f64 v[12:13], v[12:13], v[30:31]
	s_andn2_b64 exec, exec, s[26:27]
	s_cbranch_execnz .LBB148_24
; %bb.25:                               ;   in Loop: Header=BB148_14 Depth=1
	s_or_b64 exec, exec, s[26:27]
.LBB148_26:                             ;   in Loop: Header=BB148_14 Depth=1
	s_or_b64 exec, exec, s[24:25]
	ds_write_b128 v26, v[10:13]
	s_waitcnt lgkmcnt(0)
	s_barrier
	s_and_saveexec_b64 s[24:25], s[2:3]
	s_cbranch_execz .LBB148_28
; %bb.27:                               ;   in Loop: Header=BB148_14 Depth=1
	ds_read_b128 v[10:13], v25 offset:16
	ds_read_b128 v[20:23], v26
	s_waitcnt lgkmcnt(0)
	v_add_f64 v[10:11], v[10:11], v[20:21]
	v_add_f64 v[12:13], v[12:13], v[22:23]
	ds_write_b128 v26, v[10:13]
.LBB148_28:                             ;   in Loop: Header=BB148_14 Depth=1
	s_or_b64 exec, exec, s[24:25]
	s_waitcnt lgkmcnt(0)
	s_barrier
	s_and_saveexec_b64 s[24:25], s[2:3]
	s_cbranch_execz .LBB148_13
; %bb.29:                               ;   in Loop: Header=BB148_14 Depth=1
	v_lshl_add_u64 v[28:29], v[0:1], 4, s[16:17]
	global_load_dwordx4 v[10:13], v[28:29], off
	ds_read_b128 v[20:23], v25
	s_waitcnt lgkmcnt(0)
	v_mul_f64 v[30:31], v[22:23], -v[4:5]
	v_mul_f64 v[22:23], v[2:3], v[22:23]
	v_fmac_f64_e32 v[30:31], v[2:3], v[20:21]
	v_fmac_f64_e32 v[22:23], v[4:5], v[20:21]
	s_waitcnt vmcnt(0)
	v_mul_f64 v[20:21], v[8:9], -v[12:13]
	v_mul_f64 v[32:33], v[8:9], v[10:11]
	v_fmac_f64_e32 v[20:21], v[10:11], v[6:7]
	v_fmac_f64_e32 v[32:33], v[12:13], v[6:7]
	v_add_f64 v[10:11], v[20:21], v[30:31]
	v_add_f64 v[12:13], v[32:33], v[22:23]
	global_store_dwordx4 v[28:29], v[10:13], off
	s_branch .LBB148_13
.LBB148_30:
	s_endpgm
	.section	.rodata,"a",@progbits
	.p2align	6, 0x0
	.amdhsa_kernel _ZN9rocsparseL16sddmm_csx_kernelILi512ELi2EL20rocsparse_direction_0E21rocsparse_complex_numIdEliS3_S3_S3_EEv20rocsparse_operation_S4_16rocsparse_order_S5_T4_S6_S6_T3_NS_24const_host_device_scalarIT2_EEPKT5_lPKT6_lSA_PT7_PKS7_PKS6_21rocsparse_index_base_b
		.amdhsa_group_segment_fixed_size 8192
		.amdhsa_private_segment_fixed_size 0
		.amdhsa_kernarg_size 136
		.amdhsa_user_sgpr_count 2
		.amdhsa_user_sgpr_dispatch_ptr 0
		.amdhsa_user_sgpr_queue_ptr 0
		.amdhsa_user_sgpr_kernarg_segment_ptr 1
		.amdhsa_user_sgpr_dispatch_id 0
		.amdhsa_user_sgpr_kernarg_preload_length 0
		.amdhsa_user_sgpr_kernarg_preload_offset 0
		.amdhsa_user_sgpr_private_segment_size 0
		.amdhsa_uses_dynamic_stack 0
		.amdhsa_enable_private_segment 0
		.amdhsa_system_sgpr_workgroup_id_x 1
		.amdhsa_system_sgpr_workgroup_id_y 0
		.amdhsa_system_sgpr_workgroup_id_z 0
		.amdhsa_system_sgpr_workgroup_info 0
		.amdhsa_system_vgpr_workitem_id 0
		.amdhsa_next_free_vgpr 38
		.amdhsa_next_free_sgpr 28
		.amdhsa_accum_offset 40
		.amdhsa_reserve_vcc 1
		.amdhsa_float_round_mode_32 0
		.amdhsa_float_round_mode_16_64 0
		.amdhsa_float_denorm_mode_32 3
		.amdhsa_float_denorm_mode_16_64 3
		.amdhsa_dx10_clamp 1
		.amdhsa_ieee_mode 1
		.amdhsa_fp16_overflow 0
		.amdhsa_tg_split 0
		.amdhsa_exception_fp_ieee_invalid_op 0
		.amdhsa_exception_fp_denorm_src 0
		.amdhsa_exception_fp_ieee_div_zero 0
		.amdhsa_exception_fp_ieee_overflow 0
		.amdhsa_exception_fp_ieee_underflow 0
		.amdhsa_exception_fp_ieee_inexact 0
		.amdhsa_exception_int_div_zero 0
	.end_amdhsa_kernel
	.section	.text._ZN9rocsparseL16sddmm_csx_kernelILi512ELi2EL20rocsparse_direction_0E21rocsparse_complex_numIdEliS3_S3_S3_EEv20rocsparse_operation_S4_16rocsparse_order_S5_T4_S6_S6_T3_NS_24const_host_device_scalarIT2_EEPKT5_lPKT6_lSA_PT7_PKS7_PKS6_21rocsparse_index_base_b,"axG",@progbits,_ZN9rocsparseL16sddmm_csx_kernelILi512ELi2EL20rocsparse_direction_0E21rocsparse_complex_numIdEliS3_S3_S3_EEv20rocsparse_operation_S4_16rocsparse_order_S5_T4_S6_S6_T3_NS_24const_host_device_scalarIT2_EEPKT5_lPKT6_lSA_PT7_PKS7_PKS6_21rocsparse_index_base_b,comdat
.Lfunc_end148:
	.size	_ZN9rocsparseL16sddmm_csx_kernelILi512ELi2EL20rocsparse_direction_0E21rocsparse_complex_numIdEliS3_S3_S3_EEv20rocsparse_operation_S4_16rocsparse_order_S5_T4_S6_S6_T3_NS_24const_host_device_scalarIT2_EEPKT5_lPKT6_lSA_PT7_PKS7_PKS6_21rocsparse_index_base_b, .Lfunc_end148-_ZN9rocsparseL16sddmm_csx_kernelILi512ELi2EL20rocsparse_direction_0E21rocsparse_complex_numIdEliS3_S3_S3_EEv20rocsparse_operation_S4_16rocsparse_order_S5_T4_S6_S6_T3_NS_24const_host_device_scalarIT2_EEPKT5_lPKT6_lSA_PT7_PKS7_PKS6_21rocsparse_index_base_b
                                        ; -- End function
	.set _ZN9rocsparseL16sddmm_csx_kernelILi512ELi2EL20rocsparse_direction_0E21rocsparse_complex_numIdEliS3_S3_S3_EEv20rocsparse_operation_S4_16rocsparse_order_S5_T4_S6_S6_T3_NS_24const_host_device_scalarIT2_EEPKT5_lPKT6_lSA_PT7_PKS7_PKS6_21rocsparse_index_base_b.num_vgpr, 38
	.set _ZN9rocsparseL16sddmm_csx_kernelILi512ELi2EL20rocsparse_direction_0E21rocsparse_complex_numIdEliS3_S3_S3_EEv20rocsparse_operation_S4_16rocsparse_order_S5_T4_S6_S6_T3_NS_24const_host_device_scalarIT2_EEPKT5_lPKT6_lSA_PT7_PKS7_PKS6_21rocsparse_index_base_b.num_agpr, 0
	.set _ZN9rocsparseL16sddmm_csx_kernelILi512ELi2EL20rocsparse_direction_0E21rocsparse_complex_numIdEliS3_S3_S3_EEv20rocsparse_operation_S4_16rocsparse_order_S5_T4_S6_S6_T3_NS_24const_host_device_scalarIT2_EEPKT5_lPKT6_lSA_PT7_PKS7_PKS6_21rocsparse_index_base_b.numbered_sgpr, 28
	.set _ZN9rocsparseL16sddmm_csx_kernelILi512ELi2EL20rocsparse_direction_0E21rocsparse_complex_numIdEliS3_S3_S3_EEv20rocsparse_operation_S4_16rocsparse_order_S5_T4_S6_S6_T3_NS_24const_host_device_scalarIT2_EEPKT5_lPKT6_lSA_PT7_PKS7_PKS6_21rocsparse_index_base_b.num_named_barrier, 0
	.set _ZN9rocsparseL16sddmm_csx_kernelILi512ELi2EL20rocsparse_direction_0E21rocsparse_complex_numIdEliS3_S3_S3_EEv20rocsparse_operation_S4_16rocsparse_order_S5_T4_S6_S6_T3_NS_24const_host_device_scalarIT2_EEPKT5_lPKT6_lSA_PT7_PKS7_PKS6_21rocsparse_index_base_b.private_seg_size, 0
	.set _ZN9rocsparseL16sddmm_csx_kernelILi512ELi2EL20rocsparse_direction_0E21rocsparse_complex_numIdEliS3_S3_S3_EEv20rocsparse_operation_S4_16rocsparse_order_S5_T4_S6_S6_T3_NS_24const_host_device_scalarIT2_EEPKT5_lPKT6_lSA_PT7_PKS7_PKS6_21rocsparse_index_base_b.uses_vcc, 1
	.set _ZN9rocsparseL16sddmm_csx_kernelILi512ELi2EL20rocsparse_direction_0E21rocsparse_complex_numIdEliS3_S3_S3_EEv20rocsparse_operation_S4_16rocsparse_order_S5_T4_S6_S6_T3_NS_24const_host_device_scalarIT2_EEPKT5_lPKT6_lSA_PT7_PKS7_PKS6_21rocsparse_index_base_b.uses_flat_scratch, 0
	.set _ZN9rocsparseL16sddmm_csx_kernelILi512ELi2EL20rocsparse_direction_0E21rocsparse_complex_numIdEliS3_S3_S3_EEv20rocsparse_operation_S4_16rocsparse_order_S5_T4_S6_S6_T3_NS_24const_host_device_scalarIT2_EEPKT5_lPKT6_lSA_PT7_PKS7_PKS6_21rocsparse_index_base_b.has_dyn_sized_stack, 0
	.set _ZN9rocsparseL16sddmm_csx_kernelILi512ELi2EL20rocsparse_direction_0E21rocsparse_complex_numIdEliS3_S3_S3_EEv20rocsparse_operation_S4_16rocsparse_order_S5_T4_S6_S6_T3_NS_24const_host_device_scalarIT2_EEPKT5_lPKT6_lSA_PT7_PKS7_PKS6_21rocsparse_index_base_b.has_recursion, 0
	.set _ZN9rocsparseL16sddmm_csx_kernelILi512ELi2EL20rocsparse_direction_0E21rocsparse_complex_numIdEliS3_S3_S3_EEv20rocsparse_operation_S4_16rocsparse_order_S5_T4_S6_S6_T3_NS_24const_host_device_scalarIT2_EEPKT5_lPKT6_lSA_PT7_PKS7_PKS6_21rocsparse_index_base_b.has_indirect_call, 0
	.section	.AMDGPU.csdata,"",@progbits
; Kernel info:
; codeLenInByte = 1204
; TotalNumSgprs: 34
; NumVgprs: 38
; NumAgprs: 0
; TotalNumVgprs: 38
; ScratchSize: 0
; MemoryBound: 0
; FloatMode: 240
; IeeeMode: 1
; LDSByteSize: 8192 bytes/workgroup (compile time only)
; SGPRBlocks: 4
; VGPRBlocks: 4
; NumSGPRsForWavesPerEU: 34
; NumVGPRsForWavesPerEU: 38
; AccumOffset: 40
; Occupancy: 8
; WaveLimiterHint : 0
; COMPUTE_PGM_RSRC2:SCRATCH_EN: 0
; COMPUTE_PGM_RSRC2:USER_SGPR: 2
; COMPUTE_PGM_RSRC2:TRAP_HANDLER: 0
; COMPUTE_PGM_RSRC2:TGID_X_EN: 1
; COMPUTE_PGM_RSRC2:TGID_Y_EN: 0
; COMPUTE_PGM_RSRC2:TGID_Z_EN: 0
; COMPUTE_PGM_RSRC2:TIDIG_COMP_CNT: 0
; COMPUTE_PGM_RSRC3_GFX90A:ACCUM_OFFSET: 9
; COMPUTE_PGM_RSRC3_GFX90A:TG_SPLIT: 0
	.section	.text._ZN9rocsparseL16sddmm_csx_kernelILi512ELi1EL20rocsparse_direction_0E21rocsparse_complex_numIdEliS3_S3_S3_EEv20rocsparse_operation_S4_16rocsparse_order_S5_T4_S6_S6_T3_NS_24const_host_device_scalarIT2_EEPKT5_lPKT6_lSA_PT7_PKS7_PKS6_21rocsparse_index_base_b,"axG",@progbits,_ZN9rocsparseL16sddmm_csx_kernelILi512ELi1EL20rocsparse_direction_0E21rocsparse_complex_numIdEliS3_S3_S3_EEv20rocsparse_operation_S4_16rocsparse_order_S5_T4_S6_S6_T3_NS_24const_host_device_scalarIT2_EEPKT5_lPKT6_lSA_PT7_PKS7_PKS6_21rocsparse_index_base_b,comdat
	.globl	_ZN9rocsparseL16sddmm_csx_kernelILi512ELi1EL20rocsparse_direction_0E21rocsparse_complex_numIdEliS3_S3_S3_EEv20rocsparse_operation_S4_16rocsparse_order_S5_T4_S6_S6_T3_NS_24const_host_device_scalarIT2_EEPKT5_lPKT6_lSA_PT7_PKS7_PKS6_21rocsparse_index_base_b ; -- Begin function _ZN9rocsparseL16sddmm_csx_kernelILi512ELi1EL20rocsparse_direction_0E21rocsparse_complex_numIdEliS3_S3_S3_EEv20rocsparse_operation_S4_16rocsparse_order_S5_T4_S6_S6_T3_NS_24const_host_device_scalarIT2_EEPKT5_lPKT6_lSA_PT7_PKS7_PKS6_21rocsparse_index_base_b
	.p2align	8
	.type	_ZN9rocsparseL16sddmm_csx_kernelILi512ELi1EL20rocsparse_direction_0E21rocsparse_complex_numIdEliS3_S3_S3_EEv20rocsparse_operation_S4_16rocsparse_order_S5_T4_S6_S6_T3_NS_24const_host_device_scalarIT2_EEPKT5_lPKT6_lSA_PT7_PKS7_PKS6_21rocsparse_index_base_b,@function
_ZN9rocsparseL16sddmm_csx_kernelILi512ELi1EL20rocsparse_direction_0E21rocsparse_complex_numIdEliS3_S3_S3_EEv20rocsparse_operation_S4_16rocsparse_order_S5_T4_S6_S6_T3_NS_24const_host_device_scalarIT2_EEPKT5_lPKT6_lSA_PT7_PKS7_PKS6_21rocsparse_index_base_b: ; @_ZN9rocsparseL16sddmm_csx_kernelILi512ELi1EL20rocsparse_direction_0E21rocsparse_complex_numIdEliS3_S3_S3_EEv20rocsparse_operation_S4_16rocsparse_order_S5_T4_S6_S6_T3_NS_24const_host_device_scalarIT2_EEPKT5_lPKT6_lSA_PT7_PKS7_PKS6_21rocsparse_index_base_b
; %bb.0:
	s_load_dwordx2 s[4:5], s[0:1], 0x28
	s_load_dwordx4 s[8:11], s[0:1], 0x50
	s_load_dwordx2 s[12:13], s[0:1], 0x80
	s_add_u32 s3, s0, 40
	s_addc_u32 s6, s1, 0
	s_add_u32 s7, s0, 0x58
	s_addc_u32 s14, s1, 0
	s_waitcnt lgkmcnt(0)
	s_bitcmp1_b32 s13, 0
	s_cselect_b32 s5, s6, s5
	s_cselect_b32 s3, s3, s4
	v_mov_b32_e32 v2, s3
	v_mov_b32_e32 v3, s5
	flat_load_dwordx4 v[2:5], v[2:3]
	s_cselect_b32 s3, s14, s11
	s_cselect_b32 s4, s7, s10
	v_mov_b32_e32 v6, s4
	v_mov_b32_e32 v7, s3
	flat_load_dwordx4 v[6:9], v[6:7]
	s_waitcnt vmcnt(0) lgkmcnt(0)
	v_cmp_eq_f64_e32 vcc, 0, v[2:3]
	v_cmp_eq_f64_e64 s[4:5], 0, v[4:5]
	s_and_b64 s[10:11], vcc, s[4:5]
	s_mov_b64 s[4:5], -1
	s_and_saveexec_b64 s[6:7], s[10:11]
; %bb.1:
	v_cmp_neq_f64_e32 vcc, 1.0, v[6:7]
	v_cmp_neq_f64_e64 s[4:5], 0, v[8:9]
	s_or_b64 s[4:5], vcc, s[4:5]
	s_orn2_b64 s[4:5], s[4:5], exec
; %bb.2:
	s_or_b64 exec, exec, s[6:7]
	s_and_saveexec_b64 s[6:7], s[4:5]
	s_cbranch_execz .LBB149_26
; %bb.3:
	s_load_dword s4, s[0:1], 0x10
	v_lshl_or_b32 v10, s2, 9, v0
	v_mov_b32_e32 v11, 0
	s_waitcnt lgkmcnt(0)
	s_ashr_i32 s5, s4, 31
	v_cmp_gt_i64_e32 vcc, s[4:5], v[10:11]
	s_and_b64 exec, exec, vcc
	s_cbranch_execz .LBB149_26
; %bb.4:
	s_load_dwordx4 s[4:7], s[0:1], 0x0
	s_load_dwordx2 s[10:11], s[0:1], 0x70
	s_load_dwordx2 s[2:3], s[0:1], 0x40
	s_waitcnt lgkmcnt(0)
	s_cmp_eq_u32 s6, 1
	s_cselect_b64 s[14:15], -1, 0
	s_cmpk_eq_i32 s4, 0x6f
	s_cselect_b64 s[16:17], -1, 0
	s_cmpk_lg_i32 s4, 0x6f
	s_cselect_b64 s[18:19], -1, 0
	s_cmp_lg_u32 s6, 1
	s_cbranch_scc0 .LBB149_8
; %bb.5:
	s_andn2_b64 vcc, exec, s[16:17]
	v_mov_b64_e32 v[16:17], v[10:11]
	s_cbranch_vccnz .LBB149_7
; %bb.6:
	v_mad_u64_u32 v[16:17], s[20:21], s2, v10, 0
	v_mov_b32_e32 v12, v17
	v_mad_u64_u32 v[12:13], s[20:21], s3, v10, v[12:13]
	v_mov_b32_e32 v17, v12
.LBB149_7:
	s_cbranch_execz .LBB149_9
	s_branch .LBB149_11
.LBB149_8:
                                        ; implicit-def: $vgpr16_vgpr17
.LBB149_9:
	s_andn2_b64 vcc, exec, s[18:19]
	v_mov_b64_e32 v[16:17], v[10:11]
	s_cbranch_vccnz .LBB149_11
; %bb.10:
	v_mad_u64_u32 v[16:17], s[18:19], s2, v10, 0
	v_mov_b32_e32 v12, v17
	v_mad_u64_u32 v[12:13], s[18:19], s3, v10, v[12:13]
	v_mov_b32_e32 v17, v12
.LBB149_11:
	v_lshl_add_u64 v[10:11], v[10:11], 3, s[10:11]
	global_load_dwordx4 v[10:13], v[10:11], off
	s_waitcnt vmcnt(0)
	v_cmp_lt_i64_e32 vcc, v[10:11], v[12:13]
	s_and_b64 exec, exec, vcc
	s_cbranch_execz .LBB149_26
; %bb.12:
	s_xor_b64 s[14:15], s[16:17], s[14:15]
	s_and_b64 s[14:15], s[14:15], exec
	s_cselect_b32 s3, 0, s3
	s_cselect_b32 s2, 1, s2
	s_cmp_lg_u32 s7, 1
	s_cselect_b64 s[14:15], -1, 0
	s_cmp_eq_u32 s7, 1
	s_cselect_b64 s[6:7], -1, 0
	s_cmpk_eq_i32 s5, 0x6f
	s_cselect_b64 s[16:17], -1, 0
	s_cmpk_lg_i32 s5, 0x6f
	s_cselect_b64 s[4:5], -1, 0
	s_xor_b64 s[6:7], s[16:17], s[6:7]
	s_and_b64 s[6:7], s[6:7], exec
	v_cndmask_b32_e64 v18, 0, 1, s[16:17]
	s_load_dwordx2 s[6:7], s[0:1], 0x68
	s_load_dwordx2 s[16:17], s[0:1], 0x38
	;; [unrolled: 1-line block ×3, first 2 shown]
	s_load_dword s13, s[0:1], 0x18
	s_load_dwordx2 s[10:11], s[0:1], 0x78
	v_subrev_co_u32_e32 v14, vcc, s12, v10
	s_cselect_b32 s21, s9, 0
	s_cselect_b32 s20, s8, 1
	v_subbrev_co_u32_e32 v15, vcc, 0, v11, vcc
	s_waitcnt lgkmcnt(0)
	s_cmp_gt_i32 s13, 0
	v_lshl_add_u64 v[10:11], v[16:17], 4, s[16:17]
	s_cselect_b64 s[24:25], -1, 0
	v_lshl_add_u64 v[16:17], v[10:11], 0, 8
	s_lshl_b64 s[16:17], s[2:3], 4
	v_cndmask_b32_e64 v10, 0, 1, s[4:5]
	v_lshlrev_b32_e32 v22, 4, v0
	v_subrev_co_u32_e32 v0, vcc, s12, v12
	s_add_u32 s18, s18, 8
	v_cmp_ne_u32_e64 s[0:1], 1, v10
	v_cndmask_b32_e64 v10, 0, 1, s[24:25]
	v_subbrev_co_u32_e32 v1, vcc, 0, v13, vcc
	s_addc_u32 s19, s19, 0
	s_lshl_b64 s[20:21], s[20:21], 4
	s_mov_b64 s[22:23], 0
	v_cmp_ne_u32_e64 s[2:3], 1, v18
	v_cmp_ne_u32_e64 s[4:5], 1, v10
	s_branch .LBB149_15
.LBB149_13:                             ;   in Loop: Header=BB149_15 Depth=1
	v_mov_b64_e32 v[12:13], 0
	v_mov_b64_e32 v[10:11], v[12:13]
.LBB149_14:                             ;   in Loop: Header=BB149_15 Depth=1
	v_lshl_add_u64 v[24:25], v[14:15], 4, s[6:7]
	ds_write_b128 v22, v[10:13]
	s_waitcnt lgkmcnt(0)
	s_barrier
	global_load_dwordx4 v[10:13], v[24:25], off
	ds_read_b128 v[18:21], v22
	v_lshl_add_u64 v[14:15], v[14:15], 0, 1
	v_cmp_ge_i64_e32 vcc, v[14:15], v[0:1]
	s_or_b64 s[22:23], vcc, s[22:23]
	s_waitcnt lgkmcnt(0)
	v_mul_f64 v[26:27], v[20:21], -v[4:5]
	v_mul_f64 v[20:21], v[2:3], v[20:21]
	v_fmac_f64_e32 v[26:27], v[2:3], v[18:19]
	v_fmac_f64_e32 v[20:21], v[4:5], v[18:19]
	s_waitcnt vmcnt(0)
	v_mul_f64 v[18:19], v[8:9], -v[12:13]
	v_mul_f64 v[28:29], v[8:9], v[10:11]
	v_fmac_f64_e32 v[18:19], v[10:11], v[6:7]
	v_fmac_f64_e32 v[28:29], v[12:13], v[6:7]
	v_add_f64 v[10:11], v[18:19], v[26:27]
	v_add_f64 v[12:13], v[28:29], v[20:21]
	global_store_dwordx4 v[24:25], v[10:13], off
	s_andn2_b64 exec, exec, s[22:23]
	s_cbranch_execz .LBB149_26
.LBB149_15:                             ; =>This Loop Header: Depth=1
                                        ;     Child Loop BB149_25 Depth 2
	v_lshl_add_u64 v[10:11], v[14:15], 2, s[10:11]
	global_load_dword v10, v[10:11], off
	s_mov_b64 s[24:25], -1
	s_and_b64 vcc, exec, s[14:15]
                                        ; implicit-def: $vgpr12_vgpr13
	s_waitcnt vmcnt(0)
	v_subrev_u32_e32 v10, s12, v10
	v_ashrrev_i32_e32 v11, 31, v10
	s_cbranch_vccnz .LBB149_18
; %bb.16:                               ;   in Loop: Header=BB149_15 Depth=1
	s_andn2_b64 vcc, exec, s[24:25]
	s_cbranch_vccz .LBB149_21
.LBB149_17:                             ;   in Loop: Header=BB149_15 Depth=1
	s_and_b64 vcc, exec, s[4:5]
	s_cbranch_vccz .LBB149_24
	s_branch .LBB149_13
.LBB149_18:                             ;   in Loop: Header=BB149_15 Depth=1
	s_and_b64 vcc, exec, s[0:1]
	v_mov_b64_e32 v[12:13], v[10:11]
	s_cbranch_vccnz .LBB149_20
; %bb.19:                               ;   in Loop: Header=BB149_15 Depth=1
	v_mul_lo_u32 v18, s9, v10
	v_mul_lo_u32 v19, s8, v11
	v_mad_u64_u32 v[12:13], s[24:25], s8, v10, 0
	v_add3_u32 v13, v13, v19, v18
.LBB149_20:                             ;   in Loop: Header=BB149_15 Depth=1
	s_cbranch_execnz .LBB149_17
.LBB149_21:                             ;   in Loop: Header=BB149_15 Depth=1
	s_and_b64 vcc, exec, s[2:3]
	s_cbranch_vccnz .LBB149_23
; %bb.22:                               ;   in Loop: Header=BB149_15 Depth=1
	v_mul_lo_u32 v12, s9, v10
	v_mul_lo_u32 v13, s8, v11
	v_mad_u64_u32 v[10:11], s[24:25], s8, v10, 0
	v_add3_u32 v11, v11, v13, v12
.LBB149_23:                             ;   in Loop: Header=BB149_15 Depth=1
	v_mov_b64_e32 v[12:13], v[10:11]
	s_and_b64 vcc, exec, s[4:5]
	s_cbranch_vccnz .LBB149_13
.LBB149_24:                             ;   in Loop: Header=BB149_15 Depth=1
	v_lshl_add_u64 v[18:19], v[12:13], 4, s[18:19]
	v_mov_b64_e32 v[12:13], 0
	v_mov_b64_e32 v[20:21], v[16:17]
	s_mov_b32 s24, s13
	v_mov_b64_e32 v[10:11], v[12:13]
.LBB149_25:                             ;   Parent Loop BB149_15 Depth=1
                                        ; =>  This Inner Loop Header: Depth=2
	global_load_dwordx4 v[24:27], v[18:19], off offset:-8
	global_load_dwordx4 v[28:31], v[20:21], off offset:-8
	s_add_i32 s24, s24, -1
	v_lshl_add_u64 v[20:21], v[20:21], 0, s[16:17]
	v_lshl_add_u64 v[18:19], v[18:19], 0, s[20:21]
	s_cmp_eq_u32 s24, 0
	s_waitcnt vmcnt(0)
	v_mul_f64 v[32:33], v[26:27], -v[30:31]
	v_mul_f64 v[26:27], v[26:27], v[28:29]
	v_fmac_f64_e32 v[32:33], v[28:29], v[24:25]
	v_fmac_f64_e32 v[26:27], v[30:31], v[24:25]
	v_add_f64 v[10:11], v[10:11], v[32:33]
	v_add_f64 v[12:13], v[12:13], v[26:27]
	s_cbranch_scc0 .LBB149_25
	s_branch .LBB149_14
.LBB149_26:
	s_endpgm
	.section	.rodata,"a",@progbits
	.p2align	6, 0x0
	.amdhsa_kernel _ZN9rocsparseL16sddmm_csx_kernelILi512ELi1EL20rocsparse_direction_0E21rocsparse_complex_numIdEliS3_S3_S3_EEv20rocsparse_operation_S4_16rocsparse_order_S5_T4_S6_S6_T3_NS_24const_host_device_scalarIT2_EEPKT5_lPKT6_lSA_PT7_PKS7_PKS6_21rocsparse_index_base_b
		.amdhsa_group_segment_fixed_size 8192
		.amdhsa_private_segment_fixed_size 0
		.amdhsa_kernarg_size 136
		.amdhsa_user_sgpr_count 2
		.amdhsa_user_sgpr_dispatch_ptr 0
		.amdhsa_user_sgpr_queue_ptr 0
		.amdhsa_user_sgpr_kernarg_segment_ptr 1
		.amdhsa_user_sgpr_dispatch_id 0
		.amdhsa_user_sgpr_kernarg_preload_length 0
		.amdhsa_user_sgpr_kernarg_preload_offset 0
		.amdhsa_user_sgpr_private_segment_size 0
		.amdhsa_uses_dynamic_stack 0
		.amdhsa_enable_private_segment 0
		.amdhsa_system_sgpr_workgroup_id_x 1
		.amdhsa_system_sgpr_workgroup_id_y 0
		.amdhsa_system_sgpr_workgroup_id_z 0
		.amdhsa_system_sgpr_workgroup_info 0
		.amdhsa_system_vgpr_workitem_id 0
		.amdhsa_next_free_vgpr 34
		.amdhsa_next_free_sgpr 26
		.amdhsa_accum_offset 36
		.amdhsa_reserve_vcc 1
		.amdhsa_float_round_mode_32 0
		.amdhsa_float_round_mode_16_64 0
		.amdhsa_float_denorm_mode_32 3
		.amdhsa_float_denorm_mode_16_64 3
		.amdhsa_dx10_clamp 1
		.amdhsa_ieee_mode 1
		.amdhsa_fp16_overflow 0
		.amdhsa_tg_split 0
		.amdhsa_exception_fp_ieee_invalid_op 0
		.amdhsa_exception_fp_denorm_src 0
		.amdhsa_exception_fp_ieee_div_zero 0
		.amdhsa_exception_fp_ieee_overflow 0
		.amdhsa_exception_fp_ieee_underflow 0
		.amdhsa_exception_fp_ieee_inexact 0
		.amdhsa_exception_int_div_zero 0
	.end_amdhsa_kernel
	.section	.text._ZN9rocsparseL16sddmm_csx_kernelILi512ELi1EL20rocsparse_direction_0E21rocsparse_complex_numIdEliS3_S3_S3_EEv20rocsparse_operation_S4_16rocsparse_order_S5_T4_S6_S6_T3_NS_24const_host_device_scalarIT2_EEPKT5_lPKT6_lSA_PT7_PKS7_PKS6_21rocsparse_index_base_b,"axG",@progbits,_ZN9rocsparseL16sddmm_csx_kernelILi512ELi1EL20rocsparse_direction_0E21rocsparse_complex_numIdEliS3_S3_S3_EEv20rocsparse_operation_S4_16rocsparse_order_S5_T4_S6_S6_T3_NS_24const_host_device_scalarIT2_EEPKT5_lPKT6_lSA_PT7_PKS7_PKS6_21rocsparse_index_base_b,comdat
.Lfunc_end149:
	.size	_ZN9rocsparseL16sddmm_csx_kernelILi512ELi1EL20rocsparse_direction_0E21rocsparse_complex_numIdEliS3_S3_S3_EEv20rocsparse_operation_S4_16rocsparse_order_S5_T4_S6_S6_T3_NS_24const_host_device_scalarIT2_EEPKT5_lPKT6_lSA_PT7_PKS7_PKS6_21rocsparse_index_base_b, .Lfunc_end149-_ZN9rocsparseL16sddmm_csx_kernelILi512ELi1EL20rocsparse_direction_0E21rocsparse_complex_numIdEliS3_S3_S3_EEv20rocsparse_operation_S4_16rocsparse_order_S5_T4_S6_S6_T3_NS_24const_host_device_scalarIT2_EEPKT5_lPKT6_lSA_PT7_PKS7_PKS6_21rocsparse_index_base_b
                                        ; -- End function
	.set _ZN9rocsparseL16sddmm_csx_kernelILi512ELi1EL20rocsparse_direction_0E21rocsparse_complex_numIdEliS3_S3_S3_EEv20rocsparse_operation_S4_16rocsparse_order_S5_T4_S6_S6_T3_NS_24const_host_device_scalarIT2_EEPKT5_lPKT6_lSA_PT7_PKS7_PKS6_21rocsparse_index_base_b.num_vgpr, 34
	.set _ZN9rocsparseL16sddmm_csx_kernelILi512ELi1EL20rocsparse_direction_0E21rocsparse_complex_numIdEliS3_S3_S3_EEv20rocsparse_operation_S4_16rocsparse_order_S5_T4_S6_S6_T3_NS_24const_host_device_scalarIT2_EEPKT5_lPKT6_lSA_PT7_PKS7_PKS6_21rocsparse_index_base_b.num_agpr, 0
	.set _ZN9rocsparseL16sddmm_csx_kernelILi512ELi1EL20rocsparse_direction_0E21rocsparse_complex_numIdEliS3_S3_S3_EEv20rocsparse_operation_S4_16rocsparse_order_S5_T4_S6_S6_T3_NS_24const_host_device_scalarIT2_EEPKT5_lPKT6_lSA_PT7_PKS7_PKS6_21rocsparse_index_base_b.numbered_sgpr, 26
	.set _ZN9rocsparseL16sddmm_csx_kernelILi512ELi1EL20rocsparse_direction_0E21rocsparse_complex_numIdEliS3_S3_S3_EEv20rocsparse_operation_S4_16rocsparse_order_S5_T4_S6_S6_T3_NS_24const_host_device_scalarIT2_EEPKT5_lPKT6_lSA_PT7_PKS7_PKS6_21rocsparse_index_base_b.num_named_barrier, 0
	.set _ZN9rocsparseL16sddmm_csx_kernelILi512ELi1EL20rocsparse_direction_0E21rocsparse_complex_numIdEliS3_S3_S3_EEv20rocsparse_operation_S4_16rocsparse_order_S5_T4_S6_S6_T3_NS_24const_host_device_scalarIT2_EEPKT5_lPKT6_lSA_PT7_PKS7_PKS6_21rocsparse_index_base_b.private_seg_size, 0
	.set _ZN9rocsparseL16sddmm_csx_kernelILi512ELi1EL20rocsparse_direction_0E21rocsparse_complex_numIdEliS3_S3_S3_EEv20rocsparse_operation_S4_16rocsparse_order_S5_T4_S6_S6_T3_NS_24const_host_device_scalarIT2_EEPKT5_lPKT6_lSA_PT7_PKS7_PKS6_21rocsparse_index_base_b.uses_vcc, 1
	.set _ZN9rocsparseL16sddmm_csx_kernelILi512ELi1EL20rocsparse_direction_0E21rocsparse_complex_numIdEliS3_S3_S3_EEv20rocsparse_operation_S4_16rocsparse_order_S5_T4_S6_S6_T3_NS_24const_host_device_scalarIT2_EEPKT5_lPKT6_lSA_PT7_PKS7_PKS6_21rocsparse_index_base_b.uses_flat_scratch, 0
	.set _ZN9rocsparseL16sddmm_csx_kernelILi512ELi1EL20rocsparse_direction_0E21rocsparse_complex_numIdEliS3_S3_S3_EEv20rocsparse_operation_S4_16rocsparse_order_S5_T4_S6_S6_T3_NS_24const_host_device_scalarIT2_EEPKT5_lPKT6_lSA_PT7_PKS7_PKS6_21rocsparse_index_base_b.has_dyn_sized_stack, 0
	.set _ZN9rocsparseL16sddmm_csx_kernelILi512ELi1EL20rocsparse_direction_0E21rocsparse_complex_numIdEliS3_S3_S3_EEv20rocsparse_operation_S4_16rocsparse_order_S5_T4_S6_S6_T3_NS_24const_host_device_scalarIT2_EEPKT5_lPKT6_lSA_PT7_PKS7_PKS6_21rocsparse_index_base_b.has_recursion, 0
	.set _ZN9rocsparseL16sddmm_csx_kernelILi512ELi1EL20rocsparse_direction_0E21rocsparse_complex_numIdEliS3_S3_S3_EEv20rocsparse_operation_S4_16rocsparse_order_S5_T4_S6_S6_T3_NS_24const_host_device_scalarIT2_EEPKT5_lPKT6_lSA_PT7_PKS7_PKS6_21rocsparse_index_base_b.has_indirect_call, 0
	.section	.AMDGPU.csdata,"",@progbits
; Kernel info:
; codeLenInByte = 1028
; TotalNumSgprs: 32
; NumVgprs: 34
; NumAgprs: 0
; TotalNumVgprs: 34
; ScratchSize: 0
; MemoryBound: 0
; FloatMode: 240
; IeeeMode: 1
; LDSByteSize: 8192 bytes/workgroup (compile time only)
; SGPRBlocks: 3
; VGPRBlocks: 4
; NumSGPRsForWavesPerEU: 32
; NumVGPRsForWavesPerEU: 34
; AccumOffset: 36
; Occupancy: 8
; WaveLimiterHint : 0
; COMPUTE_PGM_RSRC2:SCRATCH_EN: 0
; COMPUTE_PGM_RSRC2:USER_SGPR: 2
; COMPUTE_PGM_RSRC2:TRAP_HANDLER: 0
; COMPUTE_PGM_RSRC2:TGID_X_EN: 1
; COMPUTE_PGM_RSRC2:TGID_Y_EN: 0
; COMPUTE_PGM_RSRC2:TGID_Z_EN: 0
; COMPUTE_PGM_RSRC2:TIDIG_COMP_CNT: 0
; COMPUTE_PGM_RSRC3_GFX90A:ACCUM_OFFSET: 8
; COMPUTE_PGM_RSRC3_GFX90A:TG_SPLIT: 0
	.section	.text._ZN9rocsparseL16csr2dense_kernelILi16ELi32EllDF16_EEviT2_S1_PKT3_PKT1_PKS1_PS2_l16rocsparse_order_,"axG",@progbits,_ZN9rocsparseL16csr2dense_kernelILi16ELi32EllDF16_EEviT2_S1_PKT3_PKT1_PKS1_PS2_l16rocsparse_order_,comdat
	.globl	_ZN9rocsparseL16csr2dense_kernelILi16ELi32EllDF16_EEviT2_S1_PKT3_PKT1_PKS1_PS2_l16rocsparse_order_ ; -- Begin function _ZN9rocsparseL16csr2dense_kernelILi16ELi32EllDF16_EEviT2_S1_PKT3_PKT1_PKS1_PS2_l16rocsparse_order_
	.p2align	8
	.type	_ZN9rocsparseL16csr2dense_kernelILi16ELi32EllDF16_EEviT2_S1_PKT3_PKT1_PKS1_PS2_l16rocsparse_order_,@function
_ZN9rocsparseL16csr2dense_kernelILi16ELi32EllDF16_EEviT2_S1_PKT3_PKT1_PKS1_PS2_l16rocsparse_order_: ; @_ZN9rocsparseL16csr2dense_kernelILi16ELi32EllDF16_EEviT2_S1_PKT3_PKT1_PKS1_PS2_l16rocsparse_order_
; %bb.0:
	s_load_dwordx2 s[4:5], s[0:1], 0x8
	v_lshrrev_b32_e32 v1, 5, v0
	v_lshl_or_b32 v8, s2, 4, v1
	v_mov_b32_e32 v1, 0
	v_mov_b32_e32 v9, v1
	s_waitcnt lgkmcnt(0)
	v_cmp_gt_i64_e32 vcc, s[4:5], v[8:9]
	s_and_saveexec_b64 s[2:3], vcc
	s_cbranch_execz .LBB150_8
; %bb.1:
	s_load_dwordx2 s[2:3], s[0:1], 0x20
	v_and_b32_e32 v0, 31, v0
	s_waitcnt lgkmcnt(0)
	v_lshl_add_u64 v[2:3], v[8:9], 3, s[2:3]
	global_load_dwordx4 v[2:5], v[2:3], off
	s_waitcnt vmcnt(0)
	v_sub_co_u32_e32 v4, vcc, v4, v2
	s_nop 1
	v_subb_co_u32_e32 v5, vcc, v5, v3, vcc
	v_cmp_gt_i64_e32 vcc, v[4:5], v[0:1]
	s_and_b64 exec, exec, vcc
	s_cbranch_execz .LBB150_8
; %bb.2:
	s_load_dword s12, s[0:1], 0x0
	s_load_dwordx4 s[8:11], s[0:1], 0x28
	s_load_dword s4, s[0:1], 0x40
	s_load_dwordx2 s[6:7], s[0:1], 0x18
	s_load_dwordx2 s[2:3], s[0:1], 0x38
	s_waitcnt lgkmcnt(0)
	s_ashr_i32 s13, s12, 31
	v_lshl_add_u64 v[6:7], v[8:9], 1, s[10:11]
	v_lshl_add_u64 v[2:3], v[2:3], 0, v[0:1]
	s_cmp_lg_u32 s4, 1
	v_mad_u64_u32 v[10:11], s[0:1], s2, v8, 0
	v_mov_b32_e32 v12, v11
	v_mad_u64_u32 v[8:9], s[0:1], s3, v8, v[12:13]
	v_mov_b32_e32 v11, v8
	v_lshl_add_u64 v[8:9], v[10:11], 1, s[10:11]
	v_mov_b32_e32 v11, s13
	v_subrev_co_u32_e32 v10, vcc, s12, v2
	s_cselect_b64 s[4:5], -1, 0
	s_nop 0
	v_subb_co_u32_e32 v11, vcc, v3, v11, vcc
	v_lshl_add_u64 v[2:3], v[10:11], 3, s[8:9]
	v_lshl_add_u64 v[10:11], v[10:11], 1, s[6:7]
	s_mov_b64 s[6:7], 0
	v_mov_b32_e32 v14, s13
	s_mov_b64 s[8:9], 0x100
	s_branch .LBB150_4
.LBB150_3:                              ;   in Loop: Header=BB150_4 Depth=1
	v_lshl_add_u64 v[0:1], v[0:1], 0, 32
	v_cmp_ge_i64_e32 vcc, v[0:1], v[4:5]
	v_lshl_add_u64 v[2:3], v[2:3], 0, s[8:9]
	s_or_b64 s[6:7], vcc, s[6:7]
	v_lshl_add_u64 v[10:11], v[10:11], 0, 64
	s_andn2_b64 exec, exec, s[6:7]
	s_cbranch_execz .LBB150_8
.LBB150_4:                              ; =>This Inner Loop Header: Depth=1
	s_barrier
	global_load_dwordx2 v[12:13], v[2:3], off
	global_load_ushort v15, v[10:11], off
	s_mov_b64 s[10:11], -1
	s_and_b64 vcc, exec, s[4:5]
	s_waitcnt vmcnt(1)
	v_subrev_co_u32_e64 v12, s[0:1], s12, v12
	s_nop 1
	v_subb_co_u32_e64 v13, s[0:1], v13, v14, s[0:1]
	s_cbranch_vccz .LBB150_6
; %bb.5:                                ;   in Loop: Header=BB150_4 Depth=1
	v_lshl_add_u64 v[16:17], v[12:13], 1, v[8:9]
	s_waitcnt vmcnt(0)
	global_store_short v[16:17], v15, off
	s_mov_b64 s[10:11], 0
.LBB150_6:                              ;   in Loop: Header=BB150_4 Depth=1
	s_andn2_b64 vcc, exec, s[10:11]
	s_cbranch_vccnz .LBB150_3
; %bb.7:                                ;   in Loop: Header=BB150_4 Depth=1
	v_mul_lo_u32 v16, v13, s2
	v_mul_lo_u32 v17, v12, s3
	v_mad_u64_u32 v[12:13], s[0:1], v12, s2, 0
	v_add3_u32 v13, v13, v17, v16
	v_lshl_add_u64 v[12:13], v[12:13], 1, v[6:7]
	s_waitcnt vmcnt(0)
	global_store_short v[12:13], v15, off
	s_branch .LBB150_3
.LBB150_8:
	s_endpgm
	.section	.rodata,"a",@progbits
	.p2align	6, 0x0
	.amdhsa_kernel _ZN9rocsparseL16csr2dense_kernelILi16ELi32EllDF16_EEviT2_S1_PKT3_PKT1_PKS1_PS2_l16rocsparse_order_
		.amdhsa_group_segment_fixed_size 0
		.amdhsa_private_segment_fixed_size 0
		.amdhsa_kernarg_size 68
		.amdhsa_user_sgpr_count 2
		.amdhsa_user_sgpr_dispatch_ptr 0
		.amdhsa_user_sgpr_queue_ptr 0
		.amdhsa_user_sgpr_kernarg_segment_ptr 1
		.amdhsa_user_sgpr_dispatch_id 0
		.amdhsa_user_sgpr_kernarg_preload_length 0
		.amdhsa_user_sgpr_kernarg_preload_offset 0
		.amdhsa_user_sgpr_private_segment_size 0
		.amdhsa_uses_dynamic_stack 0
		.amdhsa_enable_private_segment 0
		.amdhsa_system_sgpr_workgroup_id_x 1
		.amdhsa_system_sgpr_workgroup_id_y 0
		.amdhsa_system_sgpr_workgroup_id_z 0
		.amdhsa_system_sgpr_workgroup_info 0
		.amdhsa_system_vgpr_workitem_id 0
		.amdhsa_next_free_vgpr 18
		.amdhsa_next_free_sgpr 14
		.amdhsa_accum_offset 20
		.amdhsa_reserve_vcc 1
		.amdhsa_float_round_mode_32 0
		.amdhsa_float_round_mode_16_64 0
		.amdhsa_float_denorm_mode_32 3
		.amdhsa_float_denorm_mode_16_64 3
		.amdhsa_dx10_clamp 1
		.amdhsa_ieee_mode 1
		.amdhsa_fp16_overflow 0
		.amdhsa_tg_split 0
		.amdhsa_exception_fp_ieee_invalid_op 0
		.amdhsa_exception_fp_denorm_src 0
		.amdhsa_exception_fp_ieee_div_zero 0
		.amdhsa_exception_fp_ieee_overflow 0
		.amdhsa_exception_fp_ieee_underflow 0
		.amdhsa_exception_fp_ieee_inexact 0
		.amdhsa_exception_int_div_zero 0
	.end_amdhsa_kernel
	.section	.text._ZN9rocsparseL16csr2dense_kernelILi16ELi32EllDF16_EEviT2_S1_PKT3_PKT1_PKS1_PS2_l16rocsparse_order_,"axG",@progbits,_ZN9rocsparseL16csr2dense_kernelILi16ELi32EllDF16_EEviT2_S1_PKT3_PKT1_PKS1_PS2_l16rocsparse_order_,comdat
.Lfunc_end150:
	.size	_ZN9rocsparseL16csr2dense_kernelILi16ELi32EllDF16_EEviT2_S1_PKT3_PKT1_PKS1_PS2_l16rocsparse_order_, .Lfunc_end150-_ZN9rocsparseL16csr2dense_kernelILi16ELi32EllDF16_EEviT2_S1_PKT3_PKT1_PKS1_PS2_l16rocsparse_order_
                                        ; -- End function
	.set _ZN9rocsparseL16csr2dense_kernelILi16ELi32EllDF16_EEviT2_S1_PKT3_PKT1_PKS1_PS2_l16rocsparse_order_.num_vgpr, 18
	.set _ZN9rocsparseL16csr2dense_kernelILi16ELi32EllDF16_EEviT2_S1_PKT3_PKT1_PKS1_PS2_l16rocsparse_order_.num_agpr, 0
	.set _ZN9rocsparseL16csr2dense_kernelILi16ELi32EllDF16_EEviT2_S1_PKT3_PKT1_PKS1_PS2_l16rocsparse_order_.numbered_sgpr, 14
	.set _ZN9rocsparseL16csr2dense_kernelILi16ELi32EllDF16_EEviT2_S1_PKT3_PKT1_PKS1_PS2_l16rocsparse_order_.num_named_barrier, 0
	.set _ZN9rocsparseL16csr2dense_kernelILi16ELi32EllDF16_EEviT2_S1_PKT3_PKT1_PKS1_PS2_l16rocsparse_order_.private_seg_size, 0
	.set _ZN9rocsparseL16csr2dense_kernelILi16ELi32EllDF16_EEviT2_S1_PKT3_PKT1_PKS1_PS2_l16rocsparse_order_.uses_vcc, 1
	.set _ZN9rocsparseL16csr2dense_kernelILi16ELi32EllDF16_EEviT2_S1_PKT3_PKT1_PKS1_PS2_l16rocsparse_order_.uses_flat_scratch, 0
	.set _ZN9rocsparseL16csr2dense_kernelILi16ELi32EllDF16_EEviT2_S1_PKT3_PKT1_PKS1_PS2_l16rocsparse_order_.has_dyn_sized_stack, 0
	.set _ZN9rocsparseL16csr2dense_kernelILi16ELi32EllDF16_EEviT2_S1_PKT3_PKT1_PKS1_PS2_l16rocsparse_order_.has_recursion, 0
	.set _ZN9rocsparseL16csr2dense_kernelILi16ELi32EllDF16_EEviT2_S1_PKT3_PKT1_PKS1_PS2_l16rocsparse_order_.has_indirect_call, 0
	.section	.AMDGPU.csdata,"",@progbits
; Kernel info:
; codeLenInByte = 448
; TotalNumSgprs: 20
; NumVgprs: 18
; NumAgprs: 0
; TotalNumVgprs: 18
; ScratchSize: 0
; MemoryBound: 0
; FloatMode: 240
; IeeeMode: 1
; LDSByteSize: 0 bytes/workgroup (compile time only)
; SGPRBlocks: 2
; VGPRBlocks: 2
; NumSGPRsForWavesPerEU: 20
; NumVGPRsForWavesPerEU: 18
; AccumOffset: 20
; Occupancy: 8
; WaveLimiterHint : 1
; COMPUTE_PGM_RSRC2:SCRATCH_EN: 0
; COMPUTE_PGM_RSRC2:USER_SGPR: 2
; COMPUTE_PGM_RSRC2:TRAP_HANDLER: 0
; COMPUTE_PGM_RSRC2:TGID_X_EN: 1
; COMPUTE_PGM_RSRC2:TGID_Y_EN: 0
; COMPUTE_PGM_RSRC2:TGID_Z_EN: 0
; COMPUTE_PGM_RSRC2:TIDIG_COMP_CNT: 0
; COMPUTE_PGM_RSRC3_GFX90A:ACCUM_OFFSET: 4
; COMPUTE_PGM_RSRC3_GFX90A:TG_SPLIT: 0
	.section	.text._ZN9rocsparseL16csr2dense_kernelILi16ELi64EllDF16_EEviT2_S1_PKT3_PKT1_PKS1_PS2_l16rocsparse_order_,"axG",@progbits,_ZN9rocsparseL16csr2dense_kernelILi16ELi64EllDF16_EEviT2_S1_PKT3_PKT1_PKS1_PS2_l16rocsparse_order_,comdat
	.globl	_ZN9rocsparseL16csr2dense_kernelILi16ELi64EllDF16_EEviT2_S1_PKT3_PKT1_PKS1_PS2_l16rocsparse_order_ ; -- Begin function _ZN9rocsparseL16csr2dense_kernelILi16ELi64EllDF16_EEviT2_S1_PKT3_PKT1_PKS1_PS2_l16rocsparse_order_
	.p2align	8
	.type	_ZN9rocsparseL16csr2dense_kernelILi16ELi64EllDF16_EEviT2_S1_PKT3_PKT1_PKS1_PS2_l16rocsparse_order_,@function
_ZN9rocsparseL16csr2dense_kernelILi16ELi64EllDF16_EEviT2_S1_PKT3_PKT1_PKS1_PS2_l16rocsparse_order_: ; @_ZN9rocsparseL16csr2dense_kernelILi16ELi64EllDF16_EEviT2_S1_PKT3_PKT1_PKS1_PS2_l16rocsparse_order_
; %bb.0:
	s_load_dwordx2 s[4:5], s[0:1], 0x8
	v_lshrrev_b32_e32 v1, 6, v0
	v_lshl_or_b32 v8, s2, 4, v1
	v_mov_b32_e32 v1, 0
	v_mov_b32_e32 v9, v1
	s_waitcnt lgkmcnt(0)
	v_cmp_gt_i64_e32 vcc, s[4:5], v[8:9]
	s_and_saveexec_b64 s[2:3], vcc
	s_cbranch_execz .LBB151_8
; %bb.1:
	s_load_dwordx2 s[2:3], s[0:1], 0x20
	v_and_b32_e32 v0, 63, v0
	s_waitcnt lgkmcnt(0)
	v_lshl_add_u64 v[2:3], v[8:9], 3, s[2:3]
	global_load_dwordx4 v[2:5], v[2:3], off
	s_waitcnt vmcnt(0)
	v_sub_co_u32_e32 v4, vcc, v4, v2
	s_nop 1
	v_subb_co_u32_e32 v5, vcc, v5, v3, vcc
	v_cmp_gt_i64_e32 vcc, v[4:5], v[0:1]
	s_and_b64 exec, exec, vcc
	s_cbranch_execz .LBB151_8
; %bb.2:
	s_load_dword s14, s[0:1], 0x0
	s_load_dwordx4 s[8:11], s[0:1], 0x28
	s_load_dword s4, s[0:1], 0x40
	s_load_dwordx2 s[6:7], s[0:1], 0x18
	s_load_dwordx2 s[2:3], s[0:1], 0x38
	s_waitcnt lgkmcnt(0)
	s_ashr_i32 s12, s14, 31
	v_lshl_add_u64 v[6:7], v[8:9], 1, s[10:11]
	v_lshl_add_u64 v[2:3], v[2:3], 0, v[0:1]
	s_cmp_lg_u32 s4, 1
	v_mad_u64_u32 v[10:11], s[0:1], s2, v8, 0
	v_mov_b32_e32 v12, v11
	v_mad_u64_u32 v[8:9], s[0:1], s3, v8, v[12:13]
	v_mov_b32_e32 v11, v8
	v_lshl_add_u64 v[8:9], v[10:11], 1, s[10:11]
	v_mov_b32_e32 v11, s12
	v_subrev_co_u32_e32 v10, vcc, s14, v2
	s_cselect_b64 s[4:5], -1, 0
	s_nop 0
	v_subb_co_u32_e32 v11, vcc, v3, v11, vcc
	v_lshl_add_u64 v[2:3], v[10:11], 3, s[8:9]
	v_lshl_add_u64 v[10:11], v[10:11], 1, s[6:7]
	s_mov_b64 s[6:7], 0
	v_mov_b32_e32 v14, s12
	s_mov_b64 s[8:9], 0x200
	s_mov_b64 s[10:11], 0x80
	s_branch .LBB151_4
.LBB151_3:                              ;   in Loop: Header=BB151_4 Depth=1
	v_lshl_add_u64 v[0:1], v[0:1], 0, 64
	v_cmp_ge_i64_e32 vcc, v[0:1], v[4:5]
	v_lshl_add_u64 v[2:3], v[2:3], 0, s[8:9]
	s_or_b64 s[6:7], vcc, s[6:7]
	v_lshl_add_u64 v[10:11], v[10:11], 0, s[10:11]
	s_andn2_b64 exec, exec, s[6:7]
	s_cbranch_execz .LBB151_8
.LBB151_4:                              ; =>This Inner Loop Header: Depth=1
	s_barrier
	global_load_dwordx2 v[12:13], v[2:3], off
	global_load_ushort v15, v[10:11], off
	s_mov_b64 s[12:13], -1
	s_and_b64 vcc, exec, s[4:5]
	s_waitcnt vmcnt(1)
	v_subrev_co_u32_e64 v12, s[0:1], s14, v12
	s_nop 1
	v_subb_co_u32_e64 v13, s[0:1], v13, v14, s[0:1]
	s_cbranch_vccz .LBB151_6
; %bb.5:                                ;   in Loop: Header=BB151_4 Depth=1
	v_lshl_add_u64 v[16:17], v[12:13], 1, v[8:9]
	s_waitcnt vmcnt(0)
	global_store_short v[16:17], v15, off
	s_mov_b64 s[12:13], 0
.LBB151_6:                              ;   in Loop: Header=BB151_4 Depth=1
	s_andn2_b64 vcc, exec, s[12:13]
	s_cbranch_vccnz .LBB151_3
; %bb.7:                                ;   in Loop: Header=BB151_4 Depth=1
	v_mul_lo_u32 v16, v13, s2
	v_mul_lo_u32 v17, v12, s3
	v_mad_u64_u32 v[12:13], s[0:1], v12, s2, 0
	v_add3_u32 v13, v13, v17, v16
	v_lshl_add_u64 v[12:13], v[12:13], 1, v[6:7]
	s_waitcnt vmcnt(0)
	global_store_short v[12:13], v15, off
	s_branch .LBB151_3
.LBB151_8:
	s_endpgm
	.section	.rodata,"a",@progbits
	.p2align	6, 0x0
	.amdhsa_kernel _ZN9rocsparseL16csr2dense_kernelILi16ELi64EllDF16_EEviT2_S1_PKT3_PKT1_PKS1_PS2_l16rocsparse_order_
		.amdhsa_group_segment_fixed_size 0
		.amdhsa_private_segment_fixed_size 0
		.amdhsa_kernarg_size 68
		.amdhsa_user_sgpr_count 2
		.amdhsa_user_sgpr_dispatch_ptr 0
		.amdhsa_user_sgpr_queue_ptr 0
		.amdhsa_user_sgpr_kernarg_segment_ptr 1
		.amdhsa_user_sgpr_dispatch_id 0
		.amdhsa_user_sgpr_kernarg_preload_length 0
		.amdhsa_user_sgpr_kernarg_preload_offset 0
		.amdhsa_user_sgpr_private_segment_size 0
		.amdhsa_uses_dynamic_stack 0
		.amdhsa_enable_private_segment 0
		.amdhsa_system_sgpr_workgroup_id_x 1
		.amdhsa_system_sgpr_workgroup_id_y 0
		.amdhsa_system_sgpr_workgroup_id_z 0
		.amdhsa_system_sgpr_workgroup_info 0
		.amdhsa_system_vgpr_workitem_id 0
		.amdhsa_next_free_vgpr 18
		.amdhsa_next_free_sgpr 15
		.amdhsa_accum_offset 20
		.amdhsa_reserve_vcc 1
		.amdhsa_float_round_mode_32 0
		.amdhsa_float_round_mode_16_64 0
		.amdhsa_float_denorm_mode_32 3
		.amdhsa_float_denorm_mode_16_64 3
		.amdhsa_dx10_clamp 1
		.amdhsa_ieee_mode 1
		.amdhsa_fp16_overflow 0
		.amdhsa_tg_split 0
		.amdhsa_exception_fp_ieee_invalid_op 0
		.amdhsa_exception_fp_denorm_src 0
		.amdhsa_exception_fp_ieee_div_zero 0
		.amdhsa_exception_fp_ieee_overflow 0
		.amdhsa_exception_fp_ieee_underflow 0
		.amdhsa_exception_fp_ieee_inexact 0
		.amdhsa_exception_int_div_zero 0
	.end_amdhsa_kernel
	.section	.text._ZN9rocsparseL16csr2dense_kernelILi16ELi64EllDF16_EEviT2_S1_PKT3_PKT1_PKS1_PS2_l16rocsparse_order_,"axG",@progbits,_ZN9rocsparseL16csr2dense_kernelILi16ELi64EllDF16_EEviT2_S1_PKT3_PKT1_PKS1_PS2_l16rocsparse_order_,comdat
.Lfunc_end151:
	.size	_ZN9rocsparseL16csr2dense_kernelILi16ELi64EllDF16_EEviT2_S1_PKT3_PKT1_PKS1_PS2_l16rocsparse_order_, .Lfunc_end151-_ZN9rocsparseL16csr2dense_kernelILi16ELi64EllDF16_EEviT2_S1_PKT3_PKT1_PKS1_PS2_l16rocsparse_order_
                                        ; -- End function
	.set _ZN9rocsparseL16csr2dense_kernelILi16ELi64EllDF16_EEviT2_S1_PKT3_PKT1_PKS1_PS2_l16rocsparse_order_.num_vgpr, 18
	.set _ZN9rocsparseL16csr2dense_kernelILi16ELi64EllDF16_EEviT2_S1_PKT3_PKT1_PKS1_PS2_l16rocsparse_order_.num_agpr, 0
	.set _ZN9rocsparseL16csr2dense_kernelILi16ELi64EllDF16_EEviT2_S1_PKT3_PKT1_PKS1_PS2_l16rocsparse_order_.numbered_sgpr, 15
	.set _ZN9rocsparseL16csr2dense_kernelILi16ELi64EllDF16_EEviT2_S1_PKT3_PKT1_PKS1_PS2_l16rocsparse_order_.num_named_barrier, 0
	.set _ZN9rocsparseL16csr2dense_kernelILi16ELi64EllDF16_EEviT2_S1_PKT3_PKT1_PKS1_PS2_l16rocsparse_order_.private_seg_size, 0
	.set _ZN9rocsparseL16csr2dense_kernelILi16ELi64EllDF16_EEviT2_S1_PKT3_PKT1_PKS1_PS2_l16rocsparse_order_.uses_vcc, 1
	.set _ZN9rocsparseL16csr2dense_kernelILi16ELi64EllDF16_EEviT2_S1_PKT3_PKT1_PKS1_PS2_l16rocsparse_order_.uses_flat_scratch, 0
	.set _ZN9rocsparseL16csr2dense_kernelILi16ELi64EllDF16_EEviT2_S1_PKT3_PKT1_PKS1_PS2_l16rocsparse_order_.has_dyn_sized_stack, 0
	.set _ZN9rocsparseL16csr2dense_kernelILi16ELi64EllDF16_EEviT2_S1_PKT3_PKT1_PKS1_PS2_l16rocsparse_order_.has_recursion, 0
	.set _ZN9rocsparseL16csr2dense_kernelILi16ELi64EllDF16_EEviT2_S1_PKT3_PKT1_PKS1_PS2_l16rocsparse_order_.has_indirect_call, 0
	.section	.AMDGPU.csdata,"",@progbits
; Kernel info:
; codeLenInByte = 456
; TotalNumSgprs: 21
; NumVgprs: 18
; NumAgprs: 0
; TotalNumVgprs: 18
; ScratchSize: 0
; MemoryBound: 0
; FloatMode: 240
; IeeeMode: 1
; LDSByteSize: 0 bytes/workgroup (compile time only)
; SGPRBlocks: 2
; VGPRBlocks: 2
; NumSGPRsForWavesPerEU: 21
; NumVGPRsForWavesPerEU: 18
; AccumOffset: 20
; Occupancy: 8
; WaveLimiterHint : 1
; COMPUTE_PGM_RSRC2:SCRATCH_EN: 0
; COMPUTE_PGM_RSRC2:USER_SGPR: 2
; COMPUTE_PGM_RSRC2:TRAP_HANDLER: 0
; COMPUTE_PGM_RSRC2:TGID_X_EN: 1
; COMPUTE_PGM_RSRC2:TGID_Y_EN: 0
; COMPUTE_PGM_RSRC2:TGID_Z_EN: 0
; COMPUTE_PGM_RSRC2:TIDIG_COMP_CNT: 0
; COMPUTE_PGM_RSRC3_GFX90A:ACCUM_OFFSET: 4
; COMPUTE_PGM_RSRC3_GFX90A:TG_SPLIT: 0
	.section	.text._ZN9rocsparseL16csc2dense_kernelILi16ELi32EllDF16_EEviT2_S1_PKT3_PKT1_PKS1_PS2_l16rocsparse_order_,"axG",@progbits,_ZN9rocsparseL16csc2dense_kernelILi16ELi32EllDF16_EEviT2_S1_PKT3_PKT1_PKS1_PS2_l16rocsparse_order_,comdat
	.globl	_ZN9rocsparseL16csc2dense_kernelILi16ELi32EllDF16_EEviT2_S1_PKT3_PKT1_PKS1_PS2_l16rocsparse_order_ ; -- Begin function _ZN9rocsparseL16csc2dense_kernelILi16ELi32EllDF16_EEviT2_S1_PKT3_PKT1_PKS1_PS2_l16rocsparse_order_
	.p2align	8
	.type	_ZN9rocsparseL16csc2dense_kernelILi16ELi32EllDF16_EEviT2_S1_PKT3_PKT1_PKS1_PS2_l16rocsparse_order_,@function
_ZN9rocsparseL16csc2dense_kernelILi16ELi32EllDF16_EEviT2_S1_PKT3_PKT1_PKS1_PS2_l16rocsparse_order_: ; @_ZN9rocsparseL16csc2dense_kernelILi16ELi32EllDF16_EEviT2_S1_PKT3_PKT1_PKS1_PS2_l16rocsparse_order_
; %bb.0:
	s_load_dwordx2 s[4:5], s[0:1], 0x10
	v_lshrrev_b32_e32 v1, 5, v0
	v_lshl_or_b32 v8, s2, 4, v1
	v_mov_b32_e32 v1, 0
	v_mov_b32_e32 v9, v1
	s_waitcnt lgkmcnt(0)
	v_cmp_gt_i64_e32 vcc, s[4:5], v[8:9]
	s_and_saveexec_b64 s[2:3], vcc
	s_cbranch_execz .LBB152_8
; %bb.1:
	s_load_dwordx2 s[2:3], s[0:1], 0x20
	v_and_b32_e32 v0, 31, v0
	s_waitcnt lgkmcnt(0)
	v_lshl_add_u64 v[2:3], v[8:9], 3, s[2:3]
	global_load_dwordx4 v[2:5], v[2:3], off
	s_waitcnt vmcnt(0)
	v_sub_co_u32_e32 v4, vcc, v4, v2
	s_nop 1
	v_subb_co_u32_e32 v5, vcc, v5, v3, vcc
	v_cmp_gt_i64_e32 vcc, v[4:5], v[0:1]
	s_and_b64 exec, exec, vcc
	s_cbranch_execz .LBB152_8
; %bb.2:
	s_load_dword s12, s[0:1], 0x0
	s_load_dwordx4 s[8:11], s[0:1], 0x28
	s_load_dword s4, s[0:1], 0x40
	s_load_dwordx2 s[6:7], s[0:1], 0x18
	s_load_dwordx2 s[2:3], s[0:1], 0x38
	s_waitcnt lgkmcnt(0)
	s_ashr_i32 s13, s12, 31
	v_lshl_add_u64 v[6:7], v[8:9], 1, s[10:11]
	v_lshl_add_u64 v[2:3], v[2:3], 0, v[0:1]
	s_cmp_lg_u32 s4, 1
	v_mad_u64_u32 v[10:11], s[0:1], s2, v8, 0
	v_mov_b32_e32 v12, v11
	v_mad_u64_u32 v[8:9], s[0:1], s3, v8, v[12:13]
	v_mov_b32_e32 v11, v8
	v_lshl_add_u64 v[8:9], v[10:11], 1, s[10:11]
	v_mov_b32_e32 v11, s13
	v_subrev_co_u32_e32 v10, vcc, s12, v2
	s_cselect_b64 s[4:5], -1, 0
	s_nop 0
	v_subb_co_u32_e32 v11, vcc, v3, v11, vcc
	v_lshl_add_u64 v[2:3], v[10:11], 3, s[8:9]
	v_lshl_add_u64 v[10:11], v[10:11], 1, s[6:7]
	s_mov_b64 s[6:7], 0
	v_mov_b32_e32 v14, s13
	s_mov_b64 s[8:9], 0x100
	s_branch .LBB152_4
.LBB152_3:                              ;   in Loop: Header=BB152_4 Depth=1
	v_lshl_add_u64 v[0:1], v[0:1], 0, 32
	v_cmp_ge_i64_e32 vcc, v[0:1], v[4:5]
	v_lshl_add_u64 v[2:3], v[2:3], 0, s[8:9]
	s_or_b64 s[6:7], vcc, s[6:7]
	v_lshl_add_u64 v[10:11], v[10:11], 0, 64
	s_andn2_b64 exec, exec, s[6:7]
	s_cbranch_execz .LBB152_8
.LBB152_4:                              ; =>This Inner Loop Header: Depth=1
	global_load_dwordx2 v[12:13], v[2:3], off
	global_load_ushort v15, v[10:11], off
	s_mov_b64 s[10:11], -1
	s_and_b64 vcc, exec, s[4:5]
	s_waitcnt vmcnt(1)
	v_subrev_co_u32_e64 v12, s[0:1], s12, v12
	s_nop 1
	v_subb_co_u32_e64 v13, s[0:1], v13, v14, s[0:1]
	s_cbranch_vccz .LBB152_6
; %bb.5:                                ;   in Loop: Header=BB152_4 Depth=1
	v_mul_lo_u32 v18, v13, s2
	v_mul_lo_u32 v19, v12, s3
	v_mad_u64_u32 v[16:17], s[0:1], v12, s2, 0
	v_add3_u32 v17, v17, v19, v18
	v_lshl_add_u64 v[16:17], v[16:17], 1, v[6:7]
	s_waitcnt vmcnt(0)
	global_store_short v[16:17], v15, off
	s_mov_b64 s[10:11], 0
.LBB152_6:                              ;   in Loop: Header=BB152_4 Depth=1
	s_andn2_b64 vcc, exec, s[10:11]
	s_cbranch_vccnz .LBB152_3
; %bb.7:                                ;   in Loop: Header=BB152_4 Depth=1
	v_lshl_add_u64 v[12:13], v[12:13], 1, v[8:9]
	s_waitcnt vmcnt(0)
	global_store_short v[12:13], v15, off
	s_branch .LBB152_3
.LBB152_8:
	s_endpgm
	.section	.rodata,"a",@progbits
	.p2align	6, 0x0
	.amdhsa_kernel _ZN9rocsparseL16csc2dense_kernelILi16ELi32EllDF16_EEviT2_S1_PKT3_PKT1_PKS1_PS2_l16rocsparse_order_
		.amdhsa_group_segment_fixed_size 0
		.amdhsa_private_segment_fixed_size 0
		.amdhsa_kernarg_size 68
		.amdhsa_user_sgpr_count 2
		.amdhsa_user_sgpr_dispatch_ptr 0
		.amdhsa_user_sgpr_queue_ptr 0
		.amdhsa_user_sgpr_kernarg_segment_ptr 1
		.amdhsa_user_sgpr_dispatch_id 0
		.amdhsa_user_sgpr_kernarg_preload_length 0
		.amdhsa_user_sgpr_kernarg_preload_offset 0
		.amdhsa_user_sgpr_private_segment_size 0
		.amdhsa_uses_dynamic_stack 0
		.amdhsa_enable_private_segment 0
		.amdhsa_system_sgpr_workgroup_id_x 1
		.amdhsa_system_sgpr_workgroup_id_y 0
		.amdhsa_system_sgpr_workgroup_id_z 0
		.amdhsa_system_sgpr_workgroup_info 0
		.amdhsa_system_vgpr_workitem_id 0
		.amdhsa_next_free_vgpr 20
		.amdhsa_next_free_sgpr 14
		.amdhsa_accum_offset 20
		.amdhsa_reserve_vcc 1
		.amdhsa_float_round_mode_32 0
		.amdhsa_float_round_mode_16_64 0
		.amdhsa_float_denorm_mode_32 3
		.amdhsa_float_denorm_mode_16_64 3
		.amdhsa_dx10_clamp 1
		.amdhsa_ieee_mode 1
		.amdhsa_fp16_overflow 0
		.amdhsa_tg_split 0
		.amdhsa_exception_fp_ieee_invalid_op 0
		.amdhsa_exception_fp_denorm_src 0
		.amdhsa_exception_fp_ieee_div_zero 0
		.amdhsa_exception_fp_ieee_overflow 0
		.amdhsa_exception_fp_ieee_underflow 0
		.amdhsa_exception_fp_ieee_inexact 0
		.amdhsa_exception_int_div_zero 0
	.end_amdhsa_kernel
	.section	.text._ZN9rocsparseL16csc2dense_kernelILi16ELi32EllDF16_EEviT2_S1_PKT3_PKT1_PKS1_PS2_l16rocsparse_order_,"axG",@progbits,_ZN9rocsparseL16csc2dense_kernelILi16ELi32EllDF16_EEviT2_S1_PKT3_PKT1_PKS1_PS2_l16rocsparse_order_,comdat
.Lfunc_end152:
	.size	_ZN9rocsparseL16csc2dense_kernelILi16ELi32EllDF16_EEviT2_S1_PKT3_PKT1_PKS1_PS2_l16rocsparse_order_, .Lfunc_end152-_ZN9rocsparseL16csc2dense_kernelILi16ELi32EllDF16_EEviT2_S1_PKT3_PKT1_PKS1_PS2_l16rocsparse_order_
                                        ; -- End function
	.set _ZN9rocsparseL16csc2dense_kernelILi16ELi32EllDF16_EEviT2_S1_PKT3_PKT1_PKS1_PS2_l16rocsparse_order_.num_vgpr, 20
	.set _ZN9rocsparseL16csc2dense_kernelILi16ELi32EllDF16_EEviT2_S1_PKT3_PKT1_PKS1_PS2_l16rocsparse_order_.num_agpr, 0
	.set _ZN9rocsparseL16csc2dense_kernelILi16ELi32EllDF16_EEviT2_S1_PKT3_PKT1_PKS1_PS2_l16rocsparse_order_.numbered_sgpr, 14
	.set _ZN9rocsparseL16csc2dense_kernelILi16ELi32EllDF16_EEviT2_S1_PKT3_PKT1_PKS1_PS2_l16rocsparse_order_.num_named_barrier, 0
	.set _ZN9rocsparseL16csc2dense_kernelILi16ELi32EllDF16_EEviT2_S1_PKT3_PKT1_PKS1_PS2_l16rocsparse_order_.private_seg_size, 0
	.set _ZN9rocsparseL16csc2dense_kernelILi16ELi32EllDF16_EEviT2_S1_PKT3_PKT1_PKS1_PS2_l16rocsparse_order_.uses_vcc, 1
	.set _ZN9rocsparseL16csc2dense_kernelILi16ELi32EllDF16_EEviT2_S1_PKT3_PKT1_PKS1_PS2_l16rocsparse_order_.uses_flat_scratch, 0
	.set _ZN9rocsparseL16csc2dense_kernelILi16ELi32EllDF16_EEviT2_S1_PKT3_PKT1_PKS1_PS2_l16rocsparse_order_.has_dyn_sized_stack, 0
	.set _ZN9rocsparseL16csc2dense_kernelILi16ELi32EllDF16_EEviT2_S1_PKT3_PKT1_PKS1_PS2_l16rocsparse_order_.has_recursion, 0
	.set _ZN9rocsparseL16csc2dense_kernelILi16ELi32EllDF16_EEviT2_S1_PKT3_PKT1_PKS1_PS2_l16rocsparse_order_.has_indirect_call, 0
	.section	.AMDGPU.csdata,"",@progbits
; Kernel info:
; codeLenInByte = 444
; TotalNumSgprs: 20
; NumVgprs: 20
; NumAgprs: 0
; TotalNumVgprs: 20
; ScratchSize: 0
; MemoryBound: 0
; FloatMode: 240
; IeeeMode: 1
; LDSByteSize: 0 bytes/workgroup (compile time only)
; SGPRBlocks: 2
; VGPRBlocks: 2
; NumSGPRsForWavesPerEU: 20
; NumVGPRsForWavesPerEU: 20
; AccumOffset: 20
; Occupancy: 8
; WaveLimiterHint : 1
; COMPUTE_PGM_RSRC2:SCRATCH_EN: 0
; COMPUTE_PGM_RSRC2:USER_SGPR: 2
; COMPUTE_PGM_RSRC2:TRAP_HANDLER: 0
; COMPUTE_PGM_RSRC2:TGID_X_EN: 1
; COMPUTE_PGM_RSRC2:TGID_Y_EN: 0
; COMPUTE_PGM_RSRC2:TGID_Z_EN: 0
; COMPUTE_PGM_RSRC2:TIDIG_COMP_CNT: 0
; COMPUTE_PGM_RSRC3_GFX90A:ACCUM_OFFSET: 4
; COMPUTE_PGM_RSRC3_GFX90A:TG_SPLIT: 0
	.section	.text._ZN9rocsparseL16csc2dense_kernelILi16ELi64EllDF16_EEviT2_S1_PKT3_PKT1_PKS1_PS2_l16rocsparse_order_,"axG",@progbits,_ZN9rocsparseL16csc2dense_kernelILi16ELi64EllDF16_EEviT2_S1_PKT3_PKT1_PKS1_PS2_l16rocsparse_order_,comdat
	.globl	_ZN9rocsparseL16csc2dense_kernelILi16ELi64EllDF16_EEviT2_S1_PKT3_PKT1_PKS1_PS2_l16rocsparse_order_ ; -- Begin function _ZN9rocsparseL16csc2dense_kernelILi16ELi64EllDF16_EEviT2_S1_PKT3_PKT1_PKS1_PS2_l16rocsparse_order_
	.p2align	8
	.type	_ZN9rocsparseL16csc2dense_kernelILi16ELi64EllDF16_EEviT2_S1_PKT3_PKT1_PKS1_PS2_l16rocsparse_order_,@function
_ZN9rocsparseL16csc2dense_kernelILi16ELi64EllDF16_EEviT2_S1_PKT3_PKT1_PKS1_PS2_l16rocsparse_order_: ; @_ZN9rocsparseL16csc2dense_kernelILi16ELi64EllDF16_EEviT2_S1_PKT3_PKT1_PKS1_PS2_l16rocsparse_order_
; %bb.0:
	s_load_dwordx2 s[4:5], s[0:1], 0x10
	v_lshrrev_b32_e32 v1, 6, v0
	v_lshl_or_b32 v8, s2, 4, v1
	v_mov_b32_e32 v1, 0
	v_mov_b32_e32 v9, v1
	s_waitcnt lgkmcnt(0)
	v_cmp_gt_i64_e32 vcc, s[4:5], v[8:9]
	s_and_saveexec_b64 s[2:3], vcc
	s_cbranch_execz .LBB153_8
; %bb.1:
	s_load_dwordx2 s[2:3], s[0:1], 0x20
	v_and_b32_e32 v0, 63, v0
	s_waitcnt lgkmcnt(0)
	v_lshl_add_u64 v[2:3], v[8:9], 3, s[2:3]
	global_load_dwordx4 v[2:5], v[2:3], off
	s_waitcnt vmcnt(0)
	v_sub_co_u32_e32 v4, vcc, v4, v2
	s_nop 1
	v_subb_co_u32_e32 v5, vcc, v5, v3, vcc
	v_cmp_gt_i64_e32 vcc, v[4:5], v[0:1]
	s_and_b64 exec, exec, vcc
	s_cbranch_execz .LBB153_8
; %bb.2:
	s_load_dword s14, s[0:1], 0x0
	s_load_dwordx4 s[8:11], s[0:1], 0x28
	s_load_dword s4, s[0:1], 0x40
	s_load_dwordx2 s[6:7], s[0:1], 0x18
	s_load_dwordx2 s[2:3], s[0:1], 0x38
	s_waitcnt lgkmcnt(0)
	s_ashr_i32 s12, s14, 31
	v_lshl_add_u64 v[6:7], v[8:9], 1, s[10:11]
	v_lshl_add_u64 v[2:3], v[2:3], 0, v[0:1]
	s_cmp_lg_u32 s4, 1
	v_mad_u64_u32 v[10:11], s[0:1], s2, v8, 0
	v_mov_b32_e32 v12, v11
	v_mad_u64_u32 v[8:9], s[0:1], s3, v8, v[12:13]
	v_mov_b32_e32 v11, v8
	v_lshl_add_u64 v[8:9], v[10:11], 1, s[10:11]
	v_mov_b32_e32 v11, s12
	v_subrev_co_u32_e32 v10, vcc, s14, v2
	s_cselect_b64 s[4:5], -1, 0
	s_nop 0
	v_subb_co_u32_e32 v11, vcc, v3, v11, vcc
	v_lshl_add_u64 v[2:3], v[10:11], 3, s[8:9]
	v_lshl_add_u64 v[10:11], v[10:11], 1, s[6:7]
	s_mov_b64 s[6:7], 0
	v_mov_b32_e32 v14, s12
	s_mov_b64 s[8:9], 0x200
	s_mov_b64 s[10:11], 0x80
	s_branch .LBB153_4
.LBB153_3:                              ;   in Loop: Header=BB153_4 Depth=1
	v_lshl_add_u64 v[0:1], v[0:1], 0, 64
	v_cmp_ge_i64_e32 vcc, v[0:1], v[4:5]
	v_lshl_add_u64 v[2:3], v[2:3], 0, s[8:9]
	s_or_b64 s[6:7], vcc, s[6:7]
	v_lshl_add_u64 v[10:11], v[10:11], 0, s[10:11]
	s_andn2_b64 exec, exec, s[6:7]
	s_cbranch_execz .LBB153_8
.LBB153_4:                              ; =>This Inner Loop Header: Depth=1
	global_load_dwordx2 v[12:13], v[2:3], off
	global_load_ushort v15, v[10:11], off
	s_mov_b64 s[12:13], -1
	s_and_b64 vcc, exec, s[4:5]
	s_waitcnt vmcnt(1)
	v_subrev_co_u32_e64 v12, s[0:1], s14, v12
	s_nop 1
	v_subb_co_u32_e64 v13, s[0:1], v13, v14, s[0:1]
	s_cbranch_vccz .LBB153_6
; %bb.5:                                ;   in Loop: Header=BB153_4 Depth=1
	v_mul_lo_u32 v18, v13, s2
	v_mul_lo_u32 v19, v12, s3
	v_mad_u64_u32 v[16:17], s[0:1], v12, s2, 0
	v_add3_u32 v17, v17, v19, v18
	v_lshl_add_u64 v[16:17], v[16:17], 1, v[6:7]
	s_waitcnt vmcnt(0)
	global_store_short v[16:17], v15, off
	s_mov_b64 s[12:13], 0
.LBB153_6:                              ;   in Loop: Header=BB153_4 Depth=1
	s_andn2_b64 vcc, exec, s[12:13]
	s_cbranch_vccnz .LBB153_3
; %bb.7:                                ;   in Loop: Header=BB153_4 Depth=1
	v_lshl_add_u64 v[12:13], v[12:13], 1, v[8:9]
	s_waitcnt vmcnt(0)
	global_store_short v[12:13], v15, off
	s_branch .LBB153_3
.LBB153_8:
	s_endpgm
	.section	.rodata,"a",@progbits
	.p2align	6, 0x0
	.amdhsa_kernel _ZN9rocsparseL16csc2dense_kernelILi16ELi64EllDF16_EEviT2_S1_PKT3_PKT1_PKS1_PS2_l16rocsparse_order_
		.amdhsa_group_segment_fixed_size 0
		.amdhsa_private_segment_fixed_size 0
		.amdhsa_kernarg_size 68
		.amdhsa_user_sgpr_count 2
		.amdhsa_user_sgpr_dispatch_ptr 0
		.amdhsa_user_sgpr_queue_ptr 0
		.amdhsa_user_sgpr_kernarg_segment_ptr 1
		.amdhsa_user_sgpr_dispatch_id 0
		.amdhsa_user_sgpr_kernarg_preload_length 0
		.amdhsa_user_sgpr_kernarg_preload_offset 0
		.amdhsa_user_sgpr_private_segment_size 0
		.amdhsa_uses_dynamic_stack 0
		.amdhsa_enable_private_segment 0
		.amdhsa_system_sgpr_workgroup_id_x 1
		.amdhsa_system_sgpr_workgroup_id_y 0
		.amdhsa_system_sgpr_workgroup_id_z 0
		.amdhsa_system_sgpr_workgroup_info 0
		.amdhsa_system_vgpr_workitem_id 0
		.amdhsa_next_free_vgpr 20
		.amdhsa_next_free_sgpr 15
		.amdhsa_accum_offset 20
		.amdhsa_reserve_vcc 1
		.amdhsa_float_round_mode_32 0
		.amdhsa_float_round_mode_16_64 0
		.amdhsa_float_denorm_mode_32 3
		.amdhsa_float_denorm_mode_16_64 3
		.amdhsa_dx10_clamp 1
		.amdhsa_ieee_mode 1
		.amdhsa_fp16_overflow 0
		.amdhsa_tg_split 0
		.amdhsa_exception_fp_ieee_invalid_op 0
		.amdhsa_exception_fp_denorm_src 0
		.amdhsa_exception_fp_ieee_div_zero 0
		.amdhsa_exception_fp_ieee_overflow 0
		.amdhsa_exception_fp_ieee_underflow 0
		.amdhsa_exception_fp_ieee_inexact 0
		.amdhsa_exception_int_div_zero 0
	.end_amdhsa_kernel
	.section	.text._ZN9rocsparseL16csc2dense_kernelILi16ELi64EllDF16_EEviT2_S1_PKT3_PKT1_PKS1_PS2_l16rocsparse_order_,"axG",@progbits,_ZN9rocsparseL16csc2dense_kernelILi16ELi64EllDF16_EEviT2_S1_PKT3_PKT1_PKS1_PS2_l16rocsparse_order_,comdat
.Lfunc_end153:
	.size	_ZN9rocsparseL16csc2dense_kernelILi16ELi64EllDF16_EEviT2_S1_PKT3_PKT1_PKS1_PS2_l16rocsparse_order_, .Lfunc_end153-_ZN9rocsparseL16csc2dense_kernelILi16ELi64EllDF16_EEviT2_S1_PKT3_PKT1_PKS1_PS2_l16rocsparse_order_
                                        ; -- End function
	.set _ZN9rocsparseL16csc2dense_kernelILi16ELi64EllDF16_EEviT2_S1_PKT3_PKT1_PKS1_PS2_l16rocsparse_order_.num_vgpr, 20
	.set _ZN9rocsparseL16csc2dense_kernelILi16ELi64EllDF16_EEviT2_S1_PKT3_PKT1_PKS1_PS2_l16rocsparse_order_.num_agpr, 0
	.set _ZN9rocsparseL16csc2dense_kernelILi16ELi64EllDF16_EEviT2_S1_PKT3_PKT1_PKS1_PS2_l16rocsparse_order_.numbered_sgpr, 15
	.set _ZN9rocsparseL16csc2dense_kernelILi16ELi64EllDF16_EEviT2_S1_PKT3_PKT1_PKS1_PS2_l16rocsparse_order_.num_named_barrier, 0
	.set _ZN9rocsparseL16csc2dense_kernelILi16ELi64EllDF16_EEviT2_S1_PKT3_PKT1_PKS1_PS2_l16rocsparse_order_.private_seg_size, 0
	.set _ZN9rocsparseL16csc2dense_kernelILi16ELi64EllDF16_EEviT2_S1_PKT3_PKT1_PKS1_PS2_l16rocsparse_order_.uses_vcc, 1
	.set _ZN9rocsparseL16csc2dense_kernelILi16ELi64EllDF16_EEviT2_S1_PKT3_PKT1_PKS1_PS2_l16rocsparse_order_.uses_flat_scratch, 0
	.set _ZN9rocsparseL16csc2dense_kernelILi16ELi64EllDF16_EEviT2_S1_PKT3_PKT1_PKS1_PS2_l16rocsparse_order_.has_dyn_sized_stack, 0
	.set _ZN9rocsparseL16csc2dense_kernelILi16ELi64EllDF16_EEviT2_S1_PKT3_PKT1_PKS1_PS2_l16rocsparse_order_.has_recursion, 0
	.set _ZN9rocsparseL16csc2dense_kernelILi16ELi64EllDF16_EEviT2_S1_PKT3_PKT1_PKS1_PS2_l16rocsparse_order_.has_indirect_call, 0
	.section	.AMDGPU.csdata,"",@progbits
; Kernel info:
; codeLenInByte = 452
; TotalNumSgprs: 21
; NumVgprs: 20
; NumAgprs: 0
; TotalNumVgprs: 20
; ScratchSize: 0
; MemoryBound: 0
; FloatMode: 240
; IeeeMode: 1
; LDSByteSize: 0 bytes/workgroup (compile time only)
; SGPRBlocks: 2
; VGPRBlocks: 2
; NumSGPRsForWavesPerEU: 21
; NumVGPRsForWavesPerEU: 20
; AccumOffset: 20
; Occupancy: 8
; WaveLimiterHint : 1
; COMPUTE_PGM_RSRC2:SCRATCH_EN: 0
; COMPUTE_PGM_RSRC2:USER_SGPR: 2
; COMPUTE_PGM_RSRC2:TRAP_HANDLER: 0
; COMPUTE_PGM_RSRC2:TGID_X_EN: 1
; COMPUTE_PGM_RSRC2:TGID_Y_EN: 0
; COMPUTE_PGM_RSRC2:TGID_Z_EN: 0
; COMPUTE_PGM_RSRC2:TIDIG_COMP_CNT: 0
; COMPUTE_PGM_RSRC3_GFX90A:ACCUM_OFFSET: 4
; COMPUTE_PGM_RSRC3_GFX90A:TG_SPLIT: 0
	.section	.text._ZN9rocsparseL23sddmm_csx_sample_kernelILi512ELi64EL20rocsparse_direction_1EDF16_llDF16_EEvT4_S2_T3_PKT5_S2_PS4_PKS3_PKS2_21rocsparse_index_base_,"axG",@progbits,_ZN9rocsparseL23sddmm_csx_sample_kernelILi512ELi64EL20rocsparse_direction_1EDF16_llDF16_EEvT4_S2_T3_PKT5_S2_PS4_PKS3_PKS2_21rocsparse_index_base_,comdat
	.globl	_ZN9rocsparseL23sddmm_csx_sample_kernelILi512ELi64EL20rocsparse_direction_1EDF16_llDF16_EEvT4_S2_T3_PKT5_S2_PS4_PKS3_PKS2_21rocsparse_index_base_ ; -- Begin function _ZN9rocsparseL23sddmm_csx_sample_kernelILi512ELi64EL20rocsparse_direction_1EDF16_llDF16_EEvT4_S2_T3_PKT5_S2_PS4_PKS3_PKS2_21rocsparse_index_base_
	.p2align	8
	.type	_ZN9rocsparseL23sddmm_csx_sample_kernelILi512ELi64EL20rocsparse_direction_1EDF16_llDF16_EEvT4_S2_T3_PKT5_S2_PS4_PKS3_PKS2_21rocsparse_index_base_,@function
_ZN9rocsparseL23sddmm_csx_sample_kernelILi512ELi64EL20rocsparse_direction_1EDF16_llDF16_EEvT4_S2_T3_PKT5_S2_PS4_PKS3_PKS2_21rocsparse_index_base_: ; @_ZN9rocsparseL23sddmm_csx_sample_kernelILi512ELi64EL20rocsparse_direction_1EDF16_llDF16_EEvT4_S2_T3_PKT5_S2_PS4_PKS3_PKS2_21rocsparse_index_base_
; %bb.0:
	s_load_dwordx2 s[4:5], s[0:1], 0x8
	v_lshrrev_b32_e32 v1, 6, v0
	v_lshl_or_b32 v4, s2, 3, v1
	v_mov_b32_e32 v5, 0
	s_waitcnt lgkmcnt(0)
	v_cmp_gt_i64_e32 vcc, s[4:5], v[4:5]
	s_and_saveexec_b64 s[2:3], vcc
	s_cbranch_execz .LBB154_4
; %bb.1:
	s_load_dwordx2 s[2:3], s[0:1], 0x30
	s_load_dword s6, s[0:1], 0x40
	v_add_u32_e32 v2, 1, v4
	v_mov_b32_e32 v3, v5
	v_and_b32_e32 v0, 63, v0
	s_waitcnt lgkmcnt(0)
	v_lshl_add_u64 v[6:7], v[4:5], 3, s[2:3]
	v_lshl_add_u64 v[2:3], v[2:3], 3, s[2:3]
	global_load_dwordx2 v[6:7], v[6:7], off
	v_subrev_co_u32_e32 v0, vcc, s6, v0
	global_load_dwordx2 v[2:3], v[2:3], off
	s_nop 0
	v_subb_co_u32_e64 v1, s[2:3], 0, 0, vcc
	s_waitcnt vmcnt(1)
	v_lshl_add_u64 v[0:1], v[0:1], 0, v[6:7]
	s_waitcnt vmcnt(0)
	v_subrev_co_u32_e32 v2, vcc, s6, v2
	s_nop 1
	v_subbrev_co_u32_e32 v3, vcc, 0, v3, vcc
	v_cmp_lt_i64_e32 vcc, v[0:1], v[2:3]
	s_and_b64 exec, exec, vcc
	s_cbranch_execz .LBB154_4
; %bb.2:
	s_load_dwordx4 s[8:11], s[0:1], 0x18
	s_load_dwordx2 s[2:3], s[0:1], 0x28
	s_load_dwordx2 s[4:5], s[0:1], 0x38
	s_waitcnt lgkmcnt(0)
	v_mad_u64_u32 v[6:7], s[0:1], s10, v4, 0
	v_mov_b32_e32 v8, v7
	v_mad_u64_u32 v[4:5], s[0:1], s11, v4, v[8:9]
	v_mov_b32_e32 v7, v4
	v_lshl_add_u64 v[4:5], v[6:7], 1, s[8:9]
	v_lshl_add_u64 v[6:7], v[0:1], 1, s[2:3]
	;; [unrolled: 1-line block ×3, first 2 shown]
	s_mov_b64 s[0:1], 0
	s_mov_b64 s[2:3], 0x80
	;; [unrolled: 1-line block ×3, first 2 shown]
.LBB154_3:                              ; =>This Inner Loop Header: Depth=1
	global_load_dwordx2 v[10:11], v[8:9], off
	v_lshl_add_u64 v[0:1], v[0:1], 0, 64
	v_lshl_add_u64 v[8:9], v[8:9], 0, s[4:5]
	s_waitcnt vmcnt(0)
	v_subrev_co_u32_e32 v10, vcc, s6, v10
	s_nop 1
	v_subbrev_co_u32_e32 v11, vcc, 0, v11, vcc
	v_lshl_add_u64 v[10:11], v[10:11], 1, v[4:5]
	global_load_ushort v10, v[10:11], off
	v_cmp_ge_i64_e32 vcc, v[0:1], v[2:3]
	s_or_b64 s[0:1], vcc, s[0:1]
	s_waitcnt vmcnt(0)
	global_store_short v[6:7], v10, off
	v_lshl_add_u64 v[6:7], v[6:7], 0, s[2:3]
	s_andn2_b64 exec, exec, s[0:1]
	s_cbranch_execnz .LBB154_3
.LBB154_4:
	s_endpgm
	.section	.rodata,"a",@progbits
	.p2align	6, 0x0
	.amdhsa_kernel _ZN9rocsparseL23sddmm_csx_sample_kernelILi512ELi64EL20rocsparse_direction_1EDF16_llDF16_EEvT4_S2_T3_PKT5_S2_PS4_PKS3_PKS2_21rocsparse_index_base_
		.amdhsa_group_segment_fixed_size 0
		.amdhsa_private_segment_fixed_size 0
		.amdhsa_kernarg_size 68
		.amdhsa_user_sgpr_count 2
		.amdhsa_user_sgpr_dispatch_ptr 0
		.amdhsa_user_sgpr_queue_ptr 0
		.amdhsa_user_sgpr_kernarg_segment_ptr 1
		.amdhsa_user_sgpr_dispatch_id 0
		.amdhsa_user_sgpr_kernarg_preload_length 0
		.amdhsa_user_sgpr_kernarg_preload_offset 0
		.amdhsa_user_sgpr_private_segment_size 0
		.amdhsa_uses_dynamic_stack 0
		.amdhsa_enable_private_segment 0
		.amdhsa_system_sgpr_workgroup_id_x 1
		.amdhsa_system_sgpr_workgroup_id_y 0
		.amdhsa_system_sgpr_workgroup_id_z 0
		.amdhsa_system_sgpr_workgroup_info 0
		.amdhsa_system_vgpr_workitem_id 0
		.amdhsa_next_free_vgpr 12
		.amdhsa_next_free_sgpr 12
		.amdhsa_accum_offset 12
		.amdhsa_reserve_vcc 1
		.amdhsa_float_round_mode_32 0
		.amdhsa_float_round_mode_16_64 0
		.amdhsa_float_denorm_mode_32 3
		.amdhsa_float_denorm_mode_16_64 3
		.amdhsa_dx10_clamp 1
		.amdhsa_ieee_mode 1
		.amdhsa_fp16_overflow 0
		.amdhsa_tg_split 0
		.amdhsa_exception_fp_ieee_invalid_op 0
		.amdhsa_exception_fp_denorm_src 0
		.amdhsa_exception_fp_ieee_div_zero 0
		.amdhsa_exception_fp_ieee_overflow 0
		.amdhsa_exception_fp_ieee_underflow 0
		.amdhsa_exception_fp_ieee_inexact 0
		.amdhsa_exception_int_div_zero 0
	.end_amdhsa_kernel
	.section	.text._ZN9rocsparseL23sddmm_csx_sample_kernelILi512ELi64EL20rocsparse_direction_1EDF16_llDF16_EEvT4_S2_T3_PKT5_S2_PS4_PKS3_PKS2_21rocsparse_index_base_,"axG",@progbits,_ZN9rocsparseL23sddmm_csx_sample_kernelILi512ELi64EL20rocsparse_direction_1EDF16_llDF16_EEvT4_S2_T3_PKT5_S2_PS4_PKS3_PKS2_21rocsparse_index_base_,comdat
.Lfunc_end154:
	.size	_ZN9rocsparseL23sddmm_csx_sample_kernelILi512ELi64EL20rocsparse_direction_1EDF16_llDF16_EEvT4_S2_T3_PKT5_S2_PS4_PKS3_PKS2_21rocsparse_index_base_, .Lfunc_end154-_ZN9rocsparseL23sddmm_csx_sample_kernelILi512ELi64EL20rocsparse_direction_1EDF16_llDF16_EEvT4_S2_T3_PKT5_S2_PS4_PKS3_PKS2_21rocsparse_index_base_
                                        ; -- End function
	.set _ZN9rocsparseL23sddmm_csx_sample_kernelILi512ELi64EL20rocsparse_direction_1EDF16_llDF16_EEvT4_S2_T3_PKT5_S2_PS4_PKS3_PKS2_21rocsparse_index_base_.num_vgpr, 12
	.set _ZN9rocsparseL23sddmm_csx_sample_kernelILi512ELi64EL20rocsparse_direction_1EDF16_llDF16_EEvT4_S2_T3_PKT5_S2_PS4_PKS3_PKS2_21rocsparse_index_base_.num_agpr, 0
	.set _ZN9rocsparseL23sddmm_csx_sample_kernelILi512ELi64EL20rocsparse_direction_1EDF16_llDF16_EEvT4_S2_T3_PKT5_S2_PS4_PKS3_PKS2_21rocsparse_index_base_.numbered_sgpr, 12
	.set _ZN9rocsparseL23sddmm_csx_sample_kernelILi512ELi64EL20rocsparse_direction_1EDF16_llDF16_EEvT4_S2_T3_PKT5_S2_PS4_PKS3_PKS2_21rocsparse_index_base_.num_named_barrier, 0
	.set _ZN9rocsparseL23sddmm_csx_sample_kernelILi512ELi64EL20rocsparse_direction_1EDF16_llDF16_EEvT4_S2_T3_PKT5_S2_PS4_PKS3_PKS2_21rocsparse_index_base_.private_seg_size, 0
	.set _ZN9rocsparseL23sddmm_csx_sample_kernelILi512ELi64EL20rocsparse_direction_1EDF16_llDF16_EEvT4_S2_T3_PKT5_S2_PS4_PKS3_PKS2_21rocsparse_index_base_.uses_vcc, 1
	.set _ZN9rocsparseL23sddmm_csx_sample_kernelILi512ELi64EL20rocsparse_direction_1EDF16_llDF16_EEvT4_S2_T3_PKT5_S2_PS4_PKS3_PKS2_21rocsparse_index_base_.uses_flat_scratch, 0
	.set _ZN9rocsparseL23sddmm_csx_sample_kernelILi512ELi64EL20rocsparse_direction_1EDF16_llDF16_EEvT4_S2_T3_PKT5_S2_PS4_PKS3_PKS2_21rocsparse_index_base_.has_dyn_sized_stack, 0
	.set _ZN9rocsparseL23sddmm_csx_sample_kernelILi512ELi64EL20rocsparse_direction_1EDF16_llDF16_EEvT4_S2_T3_PKT5_S2_PS4_PKS3_PKS2_21rocsparse_index_base_.has_recursion, 0
	.set _ZN9rocsparseL23sddmm_csx_sample_kernelILi512ELi64EL20rocsparse_direction_1EDF16_llDF16_EEvT4_S2_T3_PKT5_S2_PS4_PKS3_PKS2_21rocsparse_index_base_.has_indirect_call, 0
	.section	.AMDGPU.csdata,"",@progbits
; Kernel info:
; codeLenInByte = 352
; TotalNumSgprs: 18
; NumVgprs: 12
; NumAgprs: 0
; TotalNumVgprs: 12
; ScratchSize: 0
; MemoryBound: 0
; FloatMode: 240
; IeeeMode: 1
; LDSByteSize: 0 bytes/workgroup (compile time only)
; SGPRBlocks: 2
; VGPRBlocks: 1
; NumSGPRsForWavesPerEU: 18
; NumVGPRsForWavesPerEU: 12
; AccumOffset: 12
; Occupancy: 8
; WaveLimiterHint : 1
; COMPUTE_PGM_RSRC2:SCRATCH_EN: 0
; COMPUTE_PGM_RSRC2:USER_SGPR: 2
; COMPUTE_PGM_RSRC2:TRAP_HANDLER: 0
; COMPUTE_PGM_RSRC2:TGID_X_EN: 1
; COMPUTE_PGM_RSRC2:TGID_Y_EN: 0
; COMPUTE_PGM_RSRC2:TGID_Z_EN: 0
; COMPUTE_PGM_RSRC2:TIDIG_COMP_CNT: 0
; COMPUTE_PGM_RSRC3_GFX90A:ACCUM_OFFSET: 2
; COMPUTE_PGM_RSRC3_GFX90A:TG_SPLIT: 0
	.section	.text._ZN9rocsparseL23sddmm_csx_sample_kernelILi512ELi32EL20rocsparse_direction_1EDF16_llDF16_EEvT4_S2_T3_PKT5_S2_PS4_PKS3_PKS2_21rocsparse_index_base_,"axG",@progbits,_ZN9rocsparseL23sddmm_csx_sample_kernelILi512ELi32EL20rocsparse_direction_1EDF16_llDF16_EEvT4_S2_T3_PKT5_S2_PS4_PKS3_PKS2_21rocsparse_index_base_,comdat
	.globl	_ZN9rocsparseL23sddmm_csx_sample_kernelILi512ELi32EL20rocsparse_direction_1EDF16_llDF16_EEvT4_S2_T3_PKT5_S2_PS4_PKS3_PKS2_21rocsparse_index_base_ ; -- Begin function _ZN9rocsparseL23sddmm_csx_sample_kernelILi512ELi32EL20rocsparse_direction_1EDF16_llDF16_EEvT4_S2_T3_PKT5_S2_PS4_PKS3_PKS2_21rocsparse_index_base_
	.p2align	8
	.type	_ZN9rocsparseL23sddmm_csx_sample_kernelILi512ELi32EL20rocsparse_direction_1EDF16_llDF16_EEvT4_S2_T3_PKT5_S2_PS4_PKS3_PKS2_21rocsparse_index_base_,@function
_ZN9rocsparseL23sddmm_csx_sample_kernelILi512ELi32EL20rocsparse_direction_1EDF16_llDF16_EEvT4_S2_T3_PKT5_S2_PS4_PKS3_PKS2_21rocsparse_index_base_: ; @_ZN9rocsparseL23sddmm_csx_sample_kernelILi512ELi32EL20rocsparse_direction_1EDF16_llDF16_EEvT4_S2_T3_PKT5_S2_PS4_PKS3_PKS2_21rocsparse_index_base_
; %bb.0:
	s_load_dwordx2 s[4:5], s[0:1], 0x8
	v_lshrrev_b32_e32 v1, 5, v0
	v_lshl_or_b32 v4, s2, 4, v1
	v_mov_b32_e32 v5, 0
	s_waitcnt lgkmcnt(0)
	v_cmp_gt_i64_e32 vcc, s[4:5], v[4:5]
	s_and_saveexec_b64 s[2:3], vcc
	s_cbranch_execz .LBB155_4
; %bb.1:
	s_load_dwordx2 s[2:3], s[0:1], 0x30
	s_load_dword s4, s[0:1], 0x40
	v_add_u32_e32 v2, 1, v4
	v_mov_b32_e32 v3, v5
	v_and_b32_e32 v0, 31, v0
	s_waitcnt lgkmcnt(0)
	v_lshl_add_u64 v[6:7], v[4:5], 3, s[2:3]
	v_lshl_add_u64 v[2:3], v[2:3], 3, s[2:3]
	global_load_dwordx2 v[6:7], v[6:7], off
	v_subrev_co_u32_e32 v0, vcc, s4, v0
	global_load_dwordx2 v[2:3], v[2:3], off
	s_nop 0
	v_subb_co_u32_e64 v1, s[2:3], 0, 0, vcc
	s_waitcnt vmcnt(1)
	v_lshl_add_u64 v[0:1], v[0:1], 0, v[6:7]
	s_waitcnt vmcnt(0)
	v_subrev_co_u32_e32 v2, vcc, s4, v2
	s_nop 1
	v_subbrev_co_u32_e32 v3, vcc, 0, v3, vcc
	v_cmp_lt_i64_e32 vcc, v[0:1], v[2:3]
	s_and_b64 exec, exec, vcc
	s_cbranch_execz .LBB155_4
; %bb.2:
	s_load_dwordx4 s[8:11], s[0:1], 0x18
	s_load_dwordx2 s[2:3], s[0:1], 0x28
	s_load_dwordx2 s[6:7], s[0:1], 0x38
	s_waitcnt lgkmcnt(0)
	v_mad_u64_u32 v[6:7], s[0:1], s10, v4, 0
	v_mov_b32_e32 v8, v7
	v_mad_u64_u32 v[4:5], s[0:1], s11, v4, v[8:9]
	v_mov_b32_e32 v7, v4
	v_lshl_add_u64 v[4:5], v[6:7], 1, s[8:9]
	v_lshl_add_u64 v[6:7], v[0:1], 1, s[2:3]
	;; [unrolled: 1-line block ×3, first 2 shown]
	s_mov_b64 s[0:1], 0
	s_mov_b64 s[2:3], 0x100
.LBB155_3:                              ; =>This Inner Loop Header: Depth=1
	global_load_dwordx2 v[10:11], v[8:9], off
	v_lshl_add_u64 v[0:1], v[0:1], 0, 32
	v_lshl_add_u64 v[8:9], v[8:9], 0, s[2:3]
	s_waitcnt vmcnt(0)
	v_subrev_co_u32_e32 v10, vcc, s4, v10
	s_nop 1
	v_subbrev_co_u32_e32 v11, vcc, 0, v11, vcc
	v_lshl_add_u64 v[10:11], v[10:11], 1, v[4:5]
	global_load_ushort v10, v[10:11], off
	v_cmp_ge_i64_e32 vcc, v[0:1], v[2:3]
	s_or_b64 s[0:1], vcc, s[0:1]
	s_waitcnt vmcnt(0)
	global_store_short v[6:7], v10, off
	v_lshl_add_u64 v[6:7], v[6:7], 0, 64
	s_andn2_b64 exec, exec, s[0:1]
	s_cbranch_execnz .LBB155_3
.LBB155_4:
	s_endpgm
	.section	.rodata,"a",@progbits
	.p2align	6, 0x0
	.amdhsa_kernel _ZN9rocsparseL23sddmm_csx_sample_kernelILi512ELi32EL20rocsparse_direction_1EDF16_llDF16_EEvT4_S2_T3_PKT5_S2_PS4_PKS3_PKS2_21rocsparse_index_base_
		.amdhsa_group_segment_fixed_size 0
		.amdhsa_private_segment_fixed_size 0
		.amdhsa_kernarg_size 68
		.amdhsa_user_sgpr_count 2
		.amdhsa_user_sgpr_dispatch_ptr 0
		.amdhsa_user_sgpr_queue_ptr 0
		.amdhsa_user_sgpr_kernarg_segment_ptr 1
		.amdhsa_user_sgpr_dispatch_id 0
		.amdhsa_user_sgpr_kernarg_preload_length 0
		.amdhsa_user_sgpr_kernarg_preload_offset 0
		.amdhsa_user_sgpr_private_segment_size 0
		.amdhsa_uses_dynamic_stack 0
		.amdhsa_enable_private_segment 0
		.amdhsa_system_sgpr_workgroup_id_x 1
		.amdhsa_system_sgpr_workgroup_id_y 0
		.amdhsa_system_sgpr_workgroup_id_z 0
		.amdhsa_system_sgpr_workgroup_info 0
		.amdhsa_system_vgpr_workitem_id 0
		.amdhsa_next_free_vgpr 12
		.amdhsa_next_free_sgpr 12
		.amdhsa_accum_offset 12
		.amdhsa_reserve_vcc 1
		.amdhsa_float_round_mode_32 0
		.amdhsa_float_round_mode_16_64 0
		.amdhsa_float_denorm_mode_32 3
		.amdhsa_float_denorm_mode_16_64 3
		.amdhsa_dx10_clamp 1
		.amdhsa_ieee_mode 1
		.amdhsa_fp16_overflow 0
		.amdhsa_tg_split 0
		.amdhsa_exception_fp_ieee_invalid_op 0
		.amdhsa_exception_fp_denorm_src 0
		.amdhsa_exception_fp_ieee_div_zero 0
		.amdhsa_exception_fp_ieee_overflow 0
		.amdhsa_exception_fp_ieee_underflow 0
		.amdhsa_exception_fp_ieee_inexact 0
		.amdhsa_exception_int_div_zero 0
	.end_amdhsa_kernel
	.section	.text._ZN9rocsparseL23sddmm_csx_sample_kernelILi512ELi32EL20rocsparse_direction_1EDF16_llDF16_EEvT4_S2_T3_PKT5_S2_PS4_PKS3_PKS2_21rocsparse_index_base_,"axG",@progbits,_ZN9rocsparseL23sddmm_csx_sample_kernelILi512ELi32EL20rocsparse_direction_1EDF16_llDF16_EEvT4_S2_T3_PKT5_S2_PS4_PKS3_PKS2_21rocsparse_index_base_,comdat
.Lfunc_end155:
	.size	_ZN9rocsparseL23sddmm_csx_sample_kernelILi512ELi32EL20rocsparse_direction_1EDF16_llDF16_EEvT4_S2_T3_PKT5_S2_PS4_PKS3_PKS2_21rocsparse_index_base_, .Lfunc_end155-_ZN9rocsparseL23sddmm_csx_sample_kernelILi512ELi32EL20rocsparse_direction_1EDF16_llDF16_EEvT4_S2_T3_PKT5_S2_PS4_PKS3_PKS2_21rocsparse_index_base_
                                        ; -- End function
	.set _ZN9rocsparseL23sddmm_csx_sample_kernelILi512ELi32EL20rocsparse_direction_1EDF16_llDF16_EEvT4_S2_T3_PKT5_S2_PS4_PKS3_PKS2_21rocsparse_index_base_.num_vgpr, 12
	.set _ZN9rocsparseL23sddmm_csx_sample_kernelILi512ELi32EL20rocsparse_direction_1EDF16_llDF16_EEvT4_S2_T3_PKT5_S2_PS4_PKS3_PKS2_21rocsparse_index_base_.num_agpr, 0
	.set _ZN9rocsparseL23sddmm_csx_sample_kernelILi512ELi32EL20rocsparse_direction_1EDF16_llDF16_EEvT4_S2_T3_PKT5_S2_PS4_PKS3_PKS2_21rocsparse_index_base_.numbered_sgpr, 12
	.set _ZN9rocsparseL23sddmm_csx_sample_kernelILi512ELi32EL20rocsparse_direction_1EDF16_llDF16_EEvT4_S2_T3_PKT5_S2_PS4_PKS3_PKS2_21rocsparse_index_base_.num_named_barrier, 0
	.set _ZN9rocsparseL23sddmm_csx_sample_kernelILi512ELi32EL20rocsparse_direction_1EDF16_llDF16_EEvT4_S2_T3_PKT5_S2_PS4_PKS3_PKS2_21rocsparse_index_base_.private_seg_size, 0
	.set _ZN9rocsparseL23sddmm_csx_sample_kernelILi512ELi32EL20rocsparse_direction_1EDF16_llDF16_EEvT4_S2_T3_PKT5_S2_PS4_PKS3_PKS2_21rocsparse_index_base_.uses_vcc, 1
	.set _ZN9rocsparseL23sddmm_csx_sample_kernelILi512ELi32EL20rocsparse_direction_1EDF16_llDF16_EEvT4_S2_T3_PKT5_S2_PS4_PKS3_PKS2_21rocsparse_index_base_.uses_flat_scratch, 0
	.set _ZN9rocsparseL23sddmm_csx_sample_kernelILi512ELi32EL20rocsparse_direction_1EDF16_llDF16_EEvT4_S2_T3_PKT5_S2_PS4_PKS3_PKS2_21rocsparse_index_base_.has_dyn_sized_stack, 0
	.set _ZN9rocsparseL23sddmm_csx_sample_kernelILi512ELi32EL20rocsparse_direction_1EDF16_llDF16_EEvT4_S2_T3_PKT5_S2_PS4_PKS3_PKS2_21rocsparse_index_base_.has_recursion, 0
	.set _ZN9rocsparseL23sddmm_csx_sample_kernelILi512ELi32EL20rocsparse_direction_1EDF16_llDF16_EEvT4_S2_T3_PKT5_S2_PS4_PKS3_PKS2_21rocsparse_index_base_.has_indirect_call, 0
	.section	.AMDGPU.csdata,"",@progbits
; Kernel info:
; codeLenInByte = 344
; TotalNumSgprs: 18
; NumVgprs: 12
; NumAgprs: 0
; TotalNumVgprs: 12
; ScratchSize: 0
; MemoryBound: 0
; FloatMode: 240
; IeeeMode: 1
; LDSByteSize: 0 bytes/workgroup (compile time only)
; SGPRBlocks: 2
; VGPRBlocks: 1
; NumSGPRsForWavesPerEU: 18
; NumVGPRsForWavesPerEU: 12
; AccumOffset: 12
; Occupancy: 8
; WaveLimiterHint : 1
; COMPUTE_PGM_RSRC2:SCRATCH_EN: 0
; COMPUTE_PGM_RSRC2:USER_SGPR: 2
; COMPUTE_PGM_RSRC2:TRAP_HANDLER: 0
; COMPUTE_PGM_RSRC2:TGID_X_EN: 1
; COMPUTE_PGM_RSRC2:TGID_Y_EN: 0
; COMPUTE_PGM_RSRC2:TGID_Z_EN: 0
; COMPUTE_PGM_RSRC2:TIDIG_COMP_CNT: 0
; COMPUTE_PGM_RSRC3_GFX90A:ACCUM_OFFSET: 2
; COMPUTE_PGM_RSRC3_GFX90A:TG_SPLIT: 0
	.section	.text._ZN9rocsparseL23sddmm_csx_sample_kernelILi512ELi16EL20rocsparse_direction_1EDF16_llDF16_EEvT4_S2_T3_PKT5_S2_PS4_PKS3_PKS2_21rocsparse_index_base_,"axG",@progbits,_ZN9rocsparseL23sddmm_csx_sample_kernelILi512ELi16EL20rocsparse_direction_1EDF16_llDF16_EEvT4_S2_T3_PKT5_S2_PS4_PKS3_PKS2_21rocsparse_index_base_,comdat
	.globl	_ZN9rocsparseL23sddmm_csx_sample_kernelILi512ELi16EL20rocsparse_direction_1EDF16_llDF16_EEvT4_S2_T3_PKT5_S2_PS4_PKS3_PKS2_21rocsparse_index_base_ ; -- Begin function _ZN9rocsparseL23sddmm_csx_sample_kernelILi512ELi16EL20rocsparse_direction_1EDF16_llDF16_EEvT4_S2_T3_PKT5_S2_PS4_PKS3_PKS2_21rocsparse_index_base_
	.p2align	8
	.type	_ZN9rocsparseL23sddmm_csx_sample_kernelILi512ELi16EL20rocsparse_direction_1EDF16_llDF16_EEvT4_S2_T3_PKT5_S2_PS4_PKS3_PKS2_21rocsparse_index_base_,@function
_ZN9rocsparseL23sddmm_csx_sample_kernelILi512ELi16EL20rocsparse_direction_1EDF16_llDF16_EEvT4_S2_T3_PKT5_S2_PS4_PKS3_PKS2_21rocsparse_index_base_: ; @_ZN9rocsparseL23sddmm_csx_sample_kernelILi512ELi16EL20rocsparse_direction_1EDF16_llDF16_EEvT4_S2_T3_PKT5_S2_PS4_PKS3_PKS2_21rocsparse_index_base_
; %bb.0:
	s_load_dwordx2 s[4:5], s[0:1], 0x8
	v_lshrrev_b32_e32 v1, 4, v0
	v_lshl_or_b32 v4, s2, 5, v1
	v_mov_b32_e32 v5, 0
	s_waitcnt lgkmcnt(0)
	v_cmp_gt_i64_e32 vcc, s[4:5], v[4:5]
	s_and_saveexec_b64 s[2:3], vcc
	s_cbranch_execz .LBB156_4
; %bb.1:
	s_load_dwordx2 s[2:3], s[0:1], 0x30
	s_load_dword s4, s[0:1], 0x40
	v_add_u32_e32 v2, 1, v4
	v_mov_b32_e32 v3, v5
	v_and_b32_e32 v0, 15, v0
	s_waitcnt lgkmcnt(0)
	v_lshl_add_u64 v[6:7], v[4:5], 3, s[2:3]
	v_lshl_add_u64 v[2:3], v[2:3], 3, s[2:3]
	global_load_dwordx2 v[6:7], v[6:7], off
	v_subrev_co_u32_e32 v0, vcc, s4, v0
	global_load_dwordx2 v[2:3], v[2:3], off
	s_nop 0
	v_subb_co_u32_e64 v1, s[2:3], 0, 0, vcc
	s_waitcnt vmcnt(1)
	v_lshl_add_u64 v[0:1], v[0:1], 0, v[6:7]
	s_waitcnt vmcnt(0)
	v_subrev_co_u32_e32 v2, vcc, s4, v2
	s_nop 1
	v_subbrev_co_u32_e32 v3, vcc, 0, v3, vcc
	v_cmp_lt_i64_e32 vcc, v[0:1], v[2:3]
	s_and_b64 exec, exec, vcc
	s_cbranch_execz .LBB156_4
; %bb.2:
	s_load_dwordx4 s[8:11], s[0:1], 0x18
	s_load_dwordx2 s[2:3], s[0:1], 0x28
	s_load_dwordx2 s[6:7], s[0:1], 0x38
	s_waitcnt lgkmcnt(0)
	v_mad_u64_u32 v[6:7], s[0:1], s10, v4, 0
	v_mov_b32_e32 v8, v7
	v_mad_u64_u32 v[4:5], s[0:1], s11, v4, v[8:9]
	v_mov_b32_e32 v7, v4
	v_lshl_add_u64 v[4:5], v[6:7], 1, s[8:9]
	v_lshl_add_u64 v[6:7], v[0:1], 1, s[2:3]
	;; [unrolled: 1-line block ×3, first 2 shown]
	s_mov_b64 s[0:1], 0
	s_mov_b64 s[2:3], 0x80
.LBB156_3:                              ; =>This Inner Loop Header: Depth=1
	global_load_dwordx2 v[10:11], v[8:9], off
	v_lshl_add_u64 v[0:1], v[0:1], 0, 16
	v_lshl_add_u64 v[8:9], v[8:9], 0, s[2:3]
	s_waitcnt vmcnt(0)
	v_subrev_co_u32_e32 v10, vcc, s4, v10
	s_nop 1
	v_subbrev_co_u32_e32 v11, vcc, 0, v11, vcc
	v_lshl_add_u64 v[10:11], v[10:11], 1, v[4:5]
	global_load_ushort v10, v[10:11], off
	v_cmp_ge_i64_e32 vcc, v[0:1], v[2:3]
	s_or_b64 s[0:1], vcc, s[0:1]
	s_waitcnt vmcnt(0)
	global_store_short v[6:7], v10, off
	v_lshl_add_u64 v[6:7], v[6:7], 0, 32
	s_andn2_b64 exec, exec, s[0:1]
	s_cbranch_execnz .LBB156_3
.LBB156_4:
	s_endpgm
	.section	.rodata,"a",@progbits
	.p2align	6, 0x0
	.amdhsa_kernel _ZN9rocsparseL23sddmm_csx_sample_kernelILi512ELi16EL20rocsparse_direction_1EDF16_llDF16_EEvT4_S2_T3_PKT5_S2_PS4_PKS3_PKS2_21rocsparse_index_base_
		.amdhsa_group_segment_fixed_size 0
		.amdhsa_private_segment_fixed_size 0
		.amdhsa_kernarg_size 68
		.amdhsa_user_sgpr_count 2
		.amdhsa_user_sgpr_dispatch_ptr 0
		.amdhsa_user_sgpr_queue_ptr 0
		.amdhsa_user_sgpr_kernarg_segment_ptr 1
		.amdhsa_user_sgpr_dispatch_id 0
		.amdhsa_user_sgpr_kernarg_preload_length 0
		.amdhsa_user_sgpr_kernarg_preload_offset 0
		.amdhsa_user_sgpr_private_segment_size 0
		.amdhsa_uses_dynamic_stack 0
		.amdhsa_enable_private_segment 0
		.amdhsa_system_sgpr_workgroup_id_x 1
		.amdhsa_system_sgpr_workgroup_id_y 0
		.amdhsa_system_sgpr_workgroup_id_z 0
		.amdhsa_system_sgpr_workgroup_info 0
		.amdhsa_system_vgpr_workitem_id 0
		.amdhsa_next_free_vgpr 12
		.amdhsa_next_free_sgpr 12
		.amdhsa_accum_offset 12
		.amdhsa_reserve_vcc 1
		.amdhsa_float_round_mode_32 0
		.amdhsa_float_round_mode_16_64 0
		.amdhsa_float_denorm_mode_32 3
		.amdhsa_float_denorm_mode_16_64 3
		.amdhsa_dx10_clamp 1
		.amdhsa_ieee_mode 1
		.amdhsa_fp16_overflow 0
		.amdhsa_tg_split 0
		.amdhsa_exception_fp_ieee_invalid_op 0
		.amdhsa_exception_fp_denorm_src 0
		.amdhsa_exception_fp_ieee_div_zero 0
		.amdhsa_exception_fp_ieee_overflow 0
		.amdhsa_exception_fp_ieee_underflow 0
		.amdhsa_exception_fp_ieee_inexact 0
		.amdhsa_exception_int_div_zero 0
	.end_amdhsa_kernel
	.section	.text._ZN9rocsparseL23sddmm_csx_sample_kernelILi512ELi16EL20rocsparse_direction_1EDF16_llDF16_EEvT4_S2_T3_PKT5_S2_PS4_PKS3_PKS2_21rocsparse_index_base_,"axG",@progbits,_ZN9rocsparseL23sddmm_csx_sample_kernelILi512ELi16EL20rocsparse_direction_1EDF16_llDF16_EEvT4_S2_T3_PKT5_S2_PS4_PKS3_PKS2_21rocsparse_index_base_,comdat
.Lfunc_end156:
	.size	_ZN9rocsparseL23sddmm_csx_sample_kernelILi512ELi16EL20rocsparse_direction_1EDF16_llDF16_EEvT4_S2_T3_PKT5_S2_PS4_PKS3_PKS2_21rocsparse_index_base_, .Lfunc_end156-_ZN9rocsparseL23sddmm_csx_sample_kernelILi512ELi16EL20rocsparse_direction_1EDF16_llDF16_EEvT4_S2_T3_PKT5_S2_PS4_PKS3_PKS2_21rocsparse_index_base_
                                        ; -- End function
	.set _ZN9rocsparseL23sddmm_csx_sample_kernelILi512ELi16EL20rocsparse_direction_1EDF16_llDF16_EEvT4_S2_T3_PKT5_S2_PS4_PKS3_PKS2_21rocsparse_index_base_.num_vgpr, 12
	.set _ZN9rocsparseL23sddmm_csx_sample_kernelILi512ELi16EL20rocsparse_direction_1EDF16_llDF16_EEvT4_S2_T3_PKT5_S2_PS4_PKS3_PKS2_21rocsparse_index_base_.num_agpr, 0
	.set _ZN9rocsparseL23sddmm_csx_sample_kernelILi512ELi16EL20rocsparse_direction_1EDF16_llDF16_EEvT4_S2_T3_PKT5_S2_PS4_PKS3_PKS2_21rocsparse_index_base_.numbered_sgpr, 12
	.set _ZN9rocsparseL23sddmm_csx_sample_kernelILi512ELi16EL20rocsparse_direction_1EDF16_llDF16_EEvT4_S2_T3_PKT5_S2_PS4_PKS3_PKS2_21rocsparse_index_base_.num_named_barrier, 0
	.set _ZN9rocsparseL23sddmm_csx_sample_kernelILi512ELi16EL20rocsparse_direction_1EDF16_llDF16_EEvT4_S2_T3_PKT5_S2_PS4_PKS3_PKS2_21rocsparse_index_base_.private_seg_size, 0
	.set _ZN9rocsparseL23sddmm_csx_sample_kernelILi512ELi16EL20rocsparse_direction_1EDF16_llDF16_EEvT4_S2_T3_PKT5_S2_PS4_PKS3_PKS2_21rocsparse_index_base_.uses_vcc, 1
	.set _ZN9rocsparseL23sddmm_csx_sample_kernelILi512ELi16EL20rocsparse_direction_1EDF16_llDF16_EEvT4_S2_T3_PKT5_S2_PS4_PKS3_PKS2_21rocsparse_index_base_.uses_flat_scratch, 0
	.set _ZN9rocsparseL23sddmm_csx_sample_kernelILi512ELi16EL20rocsparse_direction_1EDF16_llDF16_EEvT4_S2_T3_PKT5_S2_PS4_PKS3_PKS2_21rocsparse_index_base_.has_dyn_sized_stack, 0
	.set _ZN9rocsparseL23sddmm_csx_sample_kernelILi512ELi16EL20rocsparse_direction_1EDF16_llDF16_EEvT4_S2_T3_PKT5_S2_PS4_PKS3_PKS2_21rocsparse_index_base_.has_recursion, 0
	.set _ZN9rocsparseL23sddmm_csx_sample_kernelILi512ELi16EL20rocsparse_direction_1EDF16_llDF16_EEvT4_S2_T3_PKT5_S2_PS4_PKS3_PKS2_21rocsparse_index_base_.has_indirect_call, 0
	.section	.AMDGPU.csdata,"",@progbits
; Kernel info:
; codeLenInByte = 344
; TotalNumSgprs: 18
; NumVgprs: 12
; NumAgprs: 0
; TotalNumVgprs: 12
; ScratchSize: 0
; MemoryBound: 0
; FloatMode: 240
; IeeeMode: 1
; LDSByteSize: 0 bytes/workgroup (compile time only)
; SGPRBlocks: 2
; VGPRBlocks: 1
; NumSGPRsForWavesPerEU: 18
; NumVGPRsForWavesPerEU: 12
; AccumOffset: 12
; Occupancy: 8
; WaveLimiterHint : 1
; COMPUTE_PGM_RSRC2:SCRATCH_EN: 0
; COMPUTE_PGM_RSRC2:USER_SGPR: 2
; COMPUTE_PGM_RSRC2:TRAP_HANDLER: 0
; COMPUTE_PGM_RSRC2:TGID_X_EN: 1
; COMPUTE_PGM_RSRC2:TGID_Y_EN: 0
; COMPUTE_PGM_RSRC2:TGID_Z_EN: 0
; COMPUTE_PGM_RSRC2:TIDIG_COMP_CNT: 0
; COMPUTE_PGM_RSRC3_GFX90A:ACCUM_OFFSET: 2
; COMPUTE_PGM_RSRC3_GFX90A:TG_SPLIT: 0
	.section	.text._ZN9rocsparseL23sddmm_csx_sample_kernelILi512ELi8EL20rocsparse_direction_1EDF16_llDF16_EEvT4_S2_T3_PKT5_S2_PS4_PKS3_PKS2_21rocsparse_index_base_,"axG",@progbits,_ZN9rocsparseL23sddmm_csx_sample_kernelILi512ELi8EL20rocsparse_direction_1EDF16_llDF16_EEvT4_S2_T3_PKT5_S2_PS4_PKS3_PKS2_21rocsparse_index_base_,comdat
	.globl	_ZN9rocsparseL23sddmm_csx_sample_kernelILi512ELi8EL20rocsparse_direction_1EDF16_llDF16_EEvT4_S2_T3_PKT5_S2_PS4_PKS3_PKS2_21rocsparse_index_base_ ; -- Begin function _ZN9rocsparseL23sddmm_csx_sample_kernelILi512ELi8EL20rocsparse_direction_1EDF16_llDF16_EEvT4_S2_T3_PKT5_S2_PS4_PKS3_PKS2_21rocsparse_index_base_
	.p2align	8
	.type	_ZN9rocsparseL23sddmm_csx_sample_kernelILi512ELi8EL20rocsparse_direction_1EDF16_llDF16_EEvT4_S2_T3_PKT5_S2_PS4_PKS3_PKS2_21rocsparse_index_base_,@function
_ZN9rocsparseL23sddmm_csx_sample_kernelILi512ELi8EL20rocsparse_direction_1EDF16_llDF16_EEvT4_S2_T3_PKT5_S2_PS4_PKS3_PKS2_21rocsparse_index_base_: ; @_ZN9rocsparseL23sddmm_csx_sample_kernelILi512ELi8EL20rocsparse_direction_1EDF16_llDF16_EEvT4_S2_T3_PKT5_S2_PS4_PKS3_PKS2_21rocsparse_index_base_
; %bb.0:
	s_load_dwordx2 s[4:5], s[0:1], 0x8
	v_lshrrev_b32_e32 v1, 3, v0
	v_lshl_or_b32 v4, s2, 6, v1
	v_mov_b32_e32 v5, 0
	s_waitcnt lgkmcnt(0)
	v_cmp_gt_i64_e32 vcc, s[4:5], v[4:5]
	s_and_saveexec_b64 s[2:3], vcc
	s_cbranch_execz .LBB157_4
; %bb.1:
	s_load_dwordx2 s[4:5], s[0:1], 0x30
	s_load_dword s2, s[0:1], 0x40
	v_add_u32_e32 v2, 1, v4
	v_mov_b32_e32 v3, v5
	v_and_b32_e32 v0, 7, v0
	s_waitcnt lgkmcnt(0)
	v_lshl_add_u64 v[6:7], v[4:5], 3, s[4:5]
	v_lshl_add_u64 v[2:3], v[2:3], 3, s[4:5]
	global_load_dwordx2 v[6:7], v[6:7], off
	v_subrev_co_u32_e32 v0, vcc, s2, v0
	global_load_dwordx2 v[2:3], v[2:3], off
	s_nop 0
	v_subb_co_u32_e64 v1, s[4:5], 0, 0, vcc
	s_waitcnt vmcnt(1)
	v_lshl_add_u64 v[0:1], v[0:1], 0, v[6:7]
	s_waitcnt vmcnt(0)
	v_subrev_co_u32_e32 v2, vcc, s2, v2
	s_nop 1
	v_subbrev_co_u32_e32 v3, vcc, 0, v3, vcc
	v_cmp_lt_i64_e32 vcc, v[0:1], v[2:3]
	s_and_b64 exec, exec, vcc
	s_cbranch_execz .LBB157_4
; %bb.2:
	s_load_dwordx4 s[4:7], s[0:1], 0x18
	s_load_dwordx2 s[8:9], s[0:1], 0x28
	s_load_dwordx2 s[10:11], s[0:1], 0x38
	s_waitcnt lgkmcnt(0)
	v_mad_u64_u32 v[6:7], s[0:1], s6, v4, 0
	v_mov_b32_e32 v8, v7
	v_mad_u64_u32 v[4:5], s[0:1], s7, v4, v[8:9]
	v_mov_b32_e32 v7, v4
	v_lshl_add_u64 v[4:5], v[6:7], 1, s[4:5]
	v_lshl_add_u64 v[6:7], v[0:1], 1, s[8:9]
	;; [unrolled: 1-line block ×3, first 2 shown]
	s_mov_b64 s[0:1], 0
.LBB157_3:                              ; =>This Inner Loop Header: Depth=1
	global_load_dwordx2 v[10:11], v[8:9], off
	v_lshl_add_u64 v[0:1], v[0:1], 0, 8
	v_lshl_add_u64 v[8:9], v[8:9], 0, 64
	s_waitcnt vmcnt(0)
	v_subrev_co_u32_e32 v10, vcc, s2, v10
	s_nop 1
	v_subbrev_co_u32_e32 v11, vcc, 0, v11, vcc
	v_lshl_add_u64 v[10:11], v[10:11], 1, v[4:5]
	global_load_ushort v10, v[10:11], off
	v_cmp_ge_i64_e32 vcc, v[0:1], v[2:3]
	s_or_b64 s[0:1], vcc, s[0:1]
	s_waitcnt vmcnt(0)
	global_store_short v[6:7], v10, off
	v_lshl_add_u64 v[6:7], v[6:7], 0, 16
	s_andn2_b64 exec, exec, s[0:1]
	s_cbranch_execnz .LBB157_3
.LBB157_4:
	s_endpgm
	.section	.rodata,"a",@progbits
	.p2align	6, 0x0
	.amdhsa_kernel _ZN9rocsparseL23sddmm_csx_sample_kernelILi512ELi8EL20rocsparse_direction_1EDF16_llDF16_EEvT4_S2_T3_PKT5_S2_PS4_PKS3_PKS2_21rocsparse_index_base_
		.amdhsa_group_segment_fixed_size 0
		.amdhsa_private_segment_fixed_size 0
		.amdhsa_kernarg_size 68
		.amdhsa_user_sgpr_count 2
		.amdhsa_user_sgpr_dispatch_ptr 0
		.amdhsa_user_sgpr_queue_ptr 0
		.amdhsa_user_sgpr_kernarg_segment_ptr 1
		.amdhsa_user_sgpr_dispatch_id 0
		.amdhsa_user_sgpr_kernarg_preload_length 0
		.amdhsa_user_sgpr_kernarg_preload_offset 0
		.amdhsa_user_sgpr_private_segment_size 0
		.amdhsa_uses_dynamic_stack 0
		.amdhsa_enable_private_segment 0
		.amdhsa_system_sgpr_workgroup_id_x 1
		.amdhsa_system_sgpr_workgroup_id_y 0
		.amdhsa_system_sgpr_workgroup_id_z 0
		.amdhsa_system_sgpr_workgroup_info 0
		.amdhsa_system_vgpr_workitem_id 0
		.amdhsa_next_free_vgpr 12
		.amdhsa_next_free_sgpr 12
		.amdhsa_accum_offset 12
		.amdhsa_reserve_vcc 1
		.amdhsa_float_round_mode_32 0
		.amdhsa_float_round_mode_16_64 0
		.amdhsa_float_denorm_mode_32 3
		.amdhsa_float_denorm_mode_16_64 3
		.amdhsa_dx10_clamp 1
		.amdhsa_ieee_mode 1
		.amdhsa_fp16_overflow 0
		.amdhsa_tg_split 0
		.amdhsa_exception_fp_ieee_invalid_op 0
		.amdhsa_exception_fp_denorm_src 0
		.amdhsa_exception_fp_ieee_div_zero 0
		.amdhsa_exception_fp_ieee_overflow 0
		.amdhsa_exception_fp_ieee_underflow 0
		.amdhsa_exception_fp_ieee_inexact 0
		.amdhsa_exception_int_div_zero 0
	.end_amdhsa_kernel
	.section	.text._ZN9rocsparseL23sddmm_csx_sample_kernelILi512ELi8EL20rocsparse_direction_1EDF16_llDF16_EEvT4_S2_T3_PKT5_S2_PS4_PKS3_PKS2_21rocsparse_index_base_,"axG",@progbits,_ZN9rocsparseL23sddmm_csx_sample_kernelILi512ELi8EL20rocsparse_direction_1EDF16_llDF16_EEvT4_S2_T3_PKT5_S2_PS4_PKS3_PKS2_21rocsparse_index_base_,comdat
.Lfunc_end157:
	.size	_ZN9rocsparseL23sddmm_csx_sample_kernelILi512ELi8EL20rocsparse_direction_1EDF16_llDF16_EEvT4_S2_T3_PKT5_S2_PS4_PKS3_PKS2_21rocsparse_index_base_, .Lfunc_end157-_ZN9rocsparseL23sddmm_csx_sample_kernelILi512ELi8EL20rocsparse_direction_1EDF16_llDF16_EEvT4_S2_T3_PKT5_S2_PS4_PKS3_PKS2_21rocsparse_index_base_
                                        ; -- End function
	.set _ZN9rocsparseL23sddmm_csx_sample_kernelILi512ELi8EL20rocsparse_direction_1EDF16_llDF16_EEvT4_S2_T3_PKT5_S2_PS4_PKS3_PKS2_21rocsparse_index_base_.num_vgpr, 12
	.set _ZN9rocsparseL23sddmm_csx_sample_kernelILi512ELi8EL20rocsparse_direction_1EDF16_llDF16_EEvT4_S2_T3_PKT5_S2_PS4_PKS3_PKS2_21rocsparse_index_base_.num_agpr, 0
	.set _ZN9rocsparseL23sddmm_csx_sample_kernelILi512ELi8EL20rocsparse_direction_1EDF16_llDF16_EEvT4_S2_T3_PKT5_S2_PS4_PKS3_PKS2_21rocsparse_index_base_.numbered_sgpr, 12
	.set _ZN9rocsparseL23sddmm_csx_sample_kernelILi512ELi8EL20rocsparse_direction_1EDF16_llDF16_EEvT4_S2_T3_PKT5_S2_PS4_PKS3_PKS2_21rocsparse_index_base_.num_named_barrier, 0
	.set _ZN9rocsparseL23sddmm_csx_sample_kernelILi512ELi8EL20rocsparse_direction_1EDF16_llDF16_EEvT4_S2_T3_PKT5_S2_PS4_PKS3_PKS2_21rocsparse_index_base_.private_seg_size, 0
	.set _ZN9rocsparseL23sddmm_csx_sample_kernelILi512ELi8EL20rocsparse_direction_1EDF16_llDF16_EEvT4_S2_T3_PKT5_S2_PS4_PKS3_PKS2_21rocsparse_index_base_.uses_vcc, 1
	.set _ZN9rocsparseL23sddmm_csx_sample_kernelILi512ELi8EL20rocsparse_direction_1EDF16_llDF16_EEvT4_S2_T3_PKT5_S2_PS4_PKS3_PKS2_21rocsparse_index_base_.uses_flat_scratch, 0
	.set _ZN9rocsparseL23sddmm_csx_sample_kernelILi512ELi8EL20rocsparse_direction_1EDF16_llDF16_EEvT4_S2_T3_PKT5_S2_PS4_PKS3_PKS2_21rocsparse_index_base_.has_dyn_sized_stack, 0
	.set _ZN9rocsparseL23sddmm_csx_sample_kernelILi512ELi8EL20rocsparse_direction_1EDF16_llDF16_EEvT4_S2_T3_PKT5_S2_PS4_PKS3_PKS2_21rocsparse_index_base_.has_recursion, 0
	.set _ZN9rocsparseL23sddmm_csx_sample_kernelILi512ELi8EL20rocsparse_direction_1EDF16_llDF16_EEvT4_S2_T3_PKT5_S2_PS4_PKS3_PKS2_21rocsparse_index_base_.has_indirect_call, 0
	.section	.AMDGPU.csdata,"",@progbits
; Kernel info:
; codeLenInByte = 336
; TotalNumSgprs: 18
; NumVgprs: 12
; NumAgprs: 0
; TotalNumVgprs: 12
; ScratchSize: 0
; MemoryBound: 0
; FloatMode: 240
; IeeeMode: 1
; LDSByteSize: 0 bytes/workgroup (compile time only)
; SGPRBlocks: 2
; VGPRBlocks: 1
; NumSGPRsForWavesPerEU: 18
; NumVGPRsForWavesPerEU: 12
; AccumOffset: 12
; Occupancy: 8
; WaveLimiterHint : 1
; COMPUTE_PGM_RSRC2:SCRATCH_EN: 0
; COMPUTE_PGM_RSRC2:USER_SGPR: 2
; COMPUTE_PGM_RSRC2:TRAP_HANDLER: 0
; COMPUTE_PGM_RSRC2:TGID_X_EN: 1
; COMPUTE_PGM_RSRC2:TGID_Y_EN: 0
; COMPUTE_PGM_RSRC2:TGID_Z_EN: 0
; COMPUTE_PGM_RSRC2:TIDIG_COMP_CNT: 0
; COMPUTE_PGM_RSRC3_GFX90A:ACCUM_OFFSET: 2
; COMPUTE_PGM_RSRC3_GFX90A:TG_SPLIT: 0
	.section	.text._ZN9rocsparseL23sddmm_csx_sample_kernelILi512ELi4EL20rocsparse_direction_1EDF16_llDF16_EEvT4_S2_T3_PKT5_S2_PS4_PKS3_PKS2_21rocsparse_index_base_,"axG",@progbits,_ZN9rocsparseL23sddmm_csx_sample_kernelILi512ELi4EL20rocsparse_direction_1EDF16_llDF16_EEvT4_S2_T3_PKT5_S2_PS4_PKS3_PKS2_21rocsparse_index_base_,comdat
	.globl	_ZN9rocsparseL23sddmm_csx_sample_kernelILi512ELi4EL20rocsparse_direction_1EDF16_llDF16_EEvT4_S2_T3_PKT5_S2_PS4_PKS3_PKS2_21rocsparse_index_base_ ; -- Begin function _ZN9rocsparseL23sddmm_csx_sample_kernelILi512ELi4EL20rocsparse_direction_1EDF16_llDF16_EEvT4_S2_T3_PKT5_S2_PS4_PKS3_PKS2_21rocsparse_index_base_
	.p2align	8
	.type	_ZN9rocsparseL23sddmm_csx_sample_kernelILi512ELi4EL20rocsparse_direction_1EDF16_llDF16_EEvT4_S2_T3_PKT5_S2_PS4_PKS3_PKS2_21rocsparse_index_base_,@function
_ZN9rocsparseL23sddmm_csx_sample_kernelILi512ELi4EL20rocsparse_direction_1EDF16_llDF16_EEvT4_S2_T3_PKT5_S2_PS4_PKS3_PKS2_21rocsparse_index_base_: ; @_ZN9rocsparseL23sddmm_csx_sample_kernelILi512ELi4EL20rocsparse_direction_1EDF16_llDF16_EEvT4_S2_T3_PKT5_S2_PS4_PKS3_PKS2_21rocsparse_index_base_
; %bb.0:
	s_load_dwordx2 s[4:5], s[0:1], 0x8
	v_lshrrev_b32_e32 v1, 2, v0
	v_lshl_or_b32 v4, s2, 7, v1
	v_mov_b32_e32 v5, 0
	s_waitcnt lgkmcnt(0)
	v_cmp_gt_i64_e32 vcc, s[4:5], v[4:5]
	s_and_saveexec_b64 s[2:3], vcc
	s_cbranch_execz .LBB158_4
; %bb.1:
	s_load_dwordx2 s[4:5], s[0:1], 0x30
	s_load_dword s2, s[0:1], 0x40
	v_add_u32_e32 v2, 1, v4
	v_mov_b32_e32 v3, v5
	v_and_b32_e32 v0, 3, v0
	s_waitcnt lgkmcnt(0)
	v_lshl_add_u64 v[6:7], v[4:5], 3, s[4:5]
	v_lshl_add_u64 v[2:3], v[2:3], 3, s[4:5]
	global_load_dwordx2 v[6:7], v[6:7], off
	v_subrev_co_u32_e32 v0, vcc, s2, v0
	global_load_dwordx2 v[2:3], v[2:3], off
	s_nop 0
	v_subb_co_u32_e64 v1, s[4:5], 0, 0, vcc
	s_waitcnt vmcnt(1)
	v_lshl_add_u64 v[0:1], v[0:1], 0, v[6:7]
	s_waitcnt vmcnt(0)
	v_subrev_co_u32_e32 v2, vcc, s2, v2
	s_nop 1
	v_subbrev_co_u32_e32 v3, vcc, 0, v3, vcc
	v_cmp_lt_i64_e32 vcc, v[0:1], v[2:3]
	s_and_b64 exec, exec, vcc
	s_cbranch_execz .LBB158_4
; %bb.2:
	s_load_dwordx4 s[4:7], s[0:1], 0x18
	s_load_dwordx2 s[8:9], s[0:1], 0x28
	s_load_dwordx2 s[10:11], s[0:1], 0x38
	s_waitcnt lgkmcnt(0)
	v_mad_u64_u32 v[6:7], s[0:1], s6, v4, 0
	v_mov_b32_e32 v8, v7
	v_mad_u64_u32 v[4:5], s[0:1], s7, v4, v[8:9]
	v_mov_b32_e32 v7, v4
	v_lshl_add_u64 v[4:5], v[6:7], 1, s[4:5]
	v_lshl_add_u64 v[6:7], v[0:1], 1, s[8:9]
	;; [unrolled: 1-line block ×3, first 2 shown]
	s_mov_b64 s[0:1], 0
.LBB158_3:                              ; =>This Inner Loop Header: Depth=1
	global_load_dwordx2 v[10:11], v[8:9], off
	v_lshl_add_u64 v[0:1], v[0:1], 0, 4
	v_lshl_add_u64 v[8:9], v[8:9], 0, 32
	s_waitcnt vmcnt(0)
	v_subrev_co_u32_e32 v10, vcc, s2, v10
	s_nop 1
	v_subbrev_co_u32_e32 v11, vcc, 0, v11, vcc
	v_lshl_add_u64 v[10:11], v[10:11], 1, v[4:5]
	global_load_ushort v10, v[10:11], off
	v_cmp_ge_i64_e32 vcc, v[0:1], v[2:3]
	s_or_b64 s[0:1], vcc, s[0:1]
	s_waitcnt vmcnt(0)
	global_store_short v[6:7], v10, off
	v_lshl_add_u64 v[6:7], v[6:7], 0, 8
	s_andn2_b64 exec, exec, s[0:1]
	s_cbranch_execnz .LBB158_3
.LBB158_4:
	s_endpgm
	.section	.rodata,"a",@progbits
	.p2align	6, 0x0
	.amdhsa_kernel _ZN9rocsparseL23sddmm_csx_sample_kernelILi512ELi4EL20rocsparse_direction_1EDF16_llDF16_EEvT4_S2_T3_PKT5_S2_PS4_PKS3_PKS2_21rocsparse_index_base_
		.amdhsa_group_segment_fixed_size 0
		.amdhsa_private_segment_fixed_size 0
		.amdhsa_kernarg_size 68
		.amdhsa_user_sgpr_count 2
		.amdhsa_user_sgpr_dispatch_ptr 0
		.amdhsa_user_sgpr_queue_ptr 0
		.amdhsa_user_sgpr_kernarg_segment_ptr 1
		.amdhsa_user_sgpr_dispatch_id 0
		.amdhsa_user_sgpr_kernarg_preload_length 0
		.amdhsa_user_sgpr_kernarg_preload_offset 0
		.amdhsa_user_sgpr_private_segment_size 0
		.amdhsa_uses_dynamic_stack 0
		.amdhsa_enable_private_segment 0
		.amdhsa_system_sgpr_workgroup_id_x 1
		.amdhsa_system_sgpr_workgroup_id_y 0
		.amdhsa_system_sgpr_workgroup_id_z 0
		.amdhsa_system_sgpr_workgroup_info 0
		.amdhsa_system_vgpr_workitem_id 0
		.amdhsa_next_free_vgpr 12
		.amdhsa_next_free_sgpr 12
		.amdhsa_accum_offset 12
		.amdhsa_reserve_vcc 1
		.amdhsa_float_round_mode_32 0
		.amdhsa_float_round_mode_16_64 0
		.amdhsa_float_denorm_mode_32 3
		.amdhsa_float_denorm_mode_16_64 3
		.amdhsa_dx10_clamp 1
		.amdhsa_ieee_mode 1
		.amdhsa_fp16_overflow 0
		.amdhsa_tg_split 0
		.amdhsa_exception_fp_ieee_invalid_op 0
		.amdhsa_exception_fp_denorm_src 0
		.amdhsa_exception_fp_ieee_div_zero 0
		.amdhsa_exception_fp_ieee_overflow 0
		.amdhsa_exception_fp_ieee_underflow 0
		.amdhsa_exception_fp_ieee_inexact 0
		.amdhsa_exception_int_div_zero 0
	.end_amdhsa_kernel
	.section	.text._ZN9rocsparseL23sddmm_csx_sample_kernelILi512ELi4EL20rocsparse_direction_1EDF16_llDF16_EEvT4_S2_T3_PKT5_S2_PS4_PKS3_PKS2_21rocsparse_index_base_,"axG",@progbits,_ZN9rocsparseL23sddmm_csx_sample_kernelILi512ELi4EL20rocsparse_direction_1EDF16_llDF16_EEvT4_S2_T3_PKT5_S2_PS4_PKS3_PKS2_21rocsparse_index_base_,comdat
.Lfunc_end158:
	.size	_ZN9rocsparseL23sddmm_csx_sample_kernelILi512ELi4EL20rocsparse_direction_1EDF16_llDF16_EEvT4_S2_T3_PKT5_S2_PS4_PKS3_PKS2_21rocsparse_index_base_, .Lfunc_end158-_ZN9rocsparseL23sddmm_csx_sample_kernelILi512ELi4EL20rocsparse_direction_1EDF16_llDF16_EEvT4_S2_T3_PKT5_S2_PS4_PKS3_PKS2_21rocsparse_index_base_
                                        ; -- End function
	.set _ZN9rocsparseL23sddmm_csx_sample_kernelILi512ELi4EL20rocsparse_direction_1EDF16_llDF16_EEvT4_S2_T3_PKT5_S2_PS4_PKS3_PKS2_21rocsparse_index_base_.num_vgpr, 12
	.set _ZN9rocsparseL23sddmm_csx_sample_kernelILi512ELi4EL20rocsparse_direction_1EDF16_llDF16_EEvT4_S2_T3_PKT5_S2_PS4_PKS3_PKS2_21rocsparse_index_base_.num_agpr, 0
	.set _ZN9rocsparseL23sddmm_csx_sample_kernelILi512ELi4EL20rocsparse_direction_1EDF16_llDF16_EEvT4_S2_T3_PKT5_S2_PS4_PKS3_PKS2_21rocsparse_index_base_.numbered_sgpr, 12
	.set _ZN9rocsparseL23sddmm_csx_sample_kernelILi512ELi4EL20rocsparse_direction_1EDF16_llDF16_EEvT4_S2_T3_PKT5_S2_PS4_PKS3_PKS2_21rocsparse_index_base_.num_named_barrier, 0
	.set _ZN9rocsparseL23sddmm_csx_sample_kernelILi512ELi4EL20rocsparse_direction_1EDF16_llDF16_EEvT4_S2_T3_PKT5_S2_PS4_PKS3_PKS2_21rocsparse_index_base_.private_seg_size, 0
	.set _ZN9rocsparseL23sddmm_csx_sample_kernelILi512ELi4EL20rocsparse_direction_1EDF16_llDF16_EEvT4_S2_T3_PKT5_S2_PS4_PKS3_PKS2_21rocsparse_index_base_.uses_vcc, 1
	.set _ZN9rocsparseL23sddmm_csx_sample_kernelILi512ELi4EL20rocsparse_direction_1EDF16_llDF16_EEvT4_S2_T3_PKT5_S2_PS4_PKS3_PKS2_21rocsparse_index_base_.uses_flat_scratch, 0
	.set _ZN9rocsparseL23sddmm_csx_sample_kernelILi512ELi4EL20rocsparse_direction_1EDF16_llDF16_EEvT4_S2_T3_PKT5_S2_PS4_PKS3_PKS2_21rocsparse_index_base_.has_dyn_sized_stack, 0
	.set _ZN9rocsparseL23sddmm_csx_sample_kernelILi512ELi4EL20rocsparse_direction_1EDF16_llDF16_EEvT4_S2_T3_PKT5_S2_PS4_PKS3_PKS2_21rocsparse_index_base_.has_recursion, 0
	.set _ZN9rocsparseL23sddmm_csx_sample_kernelILi512ELi4EL20rocsparse_direction_1EDF16_llDF16_EEvT4_S2_T3_PKT5_S2_PS4_PKS3_PKS2_21rocsparse_index_base_.has_indirect_call, 0
	.section	.AMDGPU.csdata,"",@progbits
; Kernel info:
; codeLenInByte = 336
; TotalNumSgprs: 18
; NumVgprs: 12
; NumAgprs: 0
; TotalNumVgprs: 12
; ScratchSize: 0
; MemoryBound: 0
; FloatMode: 240
; IeeeMode: 1
; LDSByteSize: 0 bytes/workgroup (compile time only)
; SGPRBlocks: 2
; VGPRBlocks: 1
; NumSGPRsForWavesPerEU: 18
; NumVGPRsForWavesPerEU: 12
; AccumOffset: 12
; Occupancy: 8
; WaveLimiterHint : 1
; COMPUTE_PGM_RSRC2:SCRATCH_EN: 0
; COMPUTE_PGM_RSRC2:USER_SGPR: 2
; COMPUTE_PGM_RSRC2:TRAP_HANDLER: 0
; COMPUTE_PGM_RSRC2:TGID_X_EN: 1
; COMPUTE_PGM_RSRC2:TGID_Y_EN: 0
; COMPUTE_PGM_RSRC2:TGID_Z_EN: 0
; COMPUTE_PGM_RSRC2:TIDIG_COMP_CNT: 0
; COMPUTE_PGM_RSRC3_GFX90A:ACCUM_OFFSET: 2
; COMPUTE_PGM_RSRC3_GFX90A:TG_SPLIT: 0
	.section	.text._ZN9rocsparseL23sddmm_csx_sample_kernelILi512ELi2EL20rocsparse_direction_1EDF16_llDF16_EEvT4_S2_T3_PKT5_S2_PS4_PKS3_PKS2_21rocsparse_index_base_,"axG",@progbits,_ZN9rocsparseL23sddmm_csx_sample_kernelILi512ELi2EL20rocsparse_direction_1EDF16_llDF16_EEvT4_S2_T3_PKT5_S2_PS4_PKS3_PKS2_21rocsparse_index_base_,comdat
	.globl	_ZN9rocsparseL23sddmm_csx_sample_kernelILi512ELi2EL20rocsparse_direction_1EDF16_llDF16_EEvT4_S2_T3_PKT5_S2_PS4_PKS3_PKS2_21rocsparse_index_base_ ; -- Begin function _ZN9rocsparseL23sddmm_csx_sample_kernelILi512ELi2EL20rocsparse_direction_1EDF16_llDF16_EEvT4_S2_T3_PKT5_S2_PS4_PKS3_PKS2_21rocsparse_index_base_
	.p2align	8
	.type	_ZN9rocsparseL23sddmm_csx_sample_kernelILi512ELi2EL20rocsparse_direction_1EDF16_llDF16_EEvT4_S2_T3_PKT5_S2_PS4_PKS3_PKS2_21rocsparse_index_base_,@function
_ZN9rocsparseL23sddmm_csx_sample_kernelILi512ELi2EL20rocsparse_direction_1EDF16_llDF16_EEvT4_S2_T3_PKT5_S2_PS4_PKS3_PKS2_21rocsparse_index_base_: ; @_ZN9rocsparseL23sddmm_csx_sample_kernelILi512ELi2EL20rocsparse_direction_1EDF16_llDF16_EEvT4_S2_T3_PKT5_S2_PS4_PKS3_PKS2_21rocsparse_index_base_
; %bb.0:
	s_load_dwordx2 s[4:5], s[0:1], 0x8
	v_lshrrev_b32_e32 v1, 1, v0
	v_lshl_or_b32 v4, s2, 8, v1
	v_mov_b32_e32 v5, 0
	s_waitcnt lgkmcnt(0)
	v_cmp_gt_i64_e32 vcc, s[4:5], v[4:5]
	s_and_saveexec_b64 s[2:3], vcc
	s_cbranch_execz .LBB159_4
; %bb.1:
	s_load_dwordx2 s[4:5], s[0:1], 0x30
	s_load_dword s2, s[0:1], 0x40
	v_add_u32_e32 v2, 1, v4
	v_mov_b32_e32 v3, v5
	v_and_b32_e32 v0, 1, v0
	s_waitcnt lgkmcnt(0)
	v_lshl_add_u64 v[6:7], v[4:5], 3, s[4:5]
	v_lshl_add_u64 v[2:3], v[2:3], 3, s[4:5]
	global_load_dwordx2 v[6:7], v[6:7], off
	v_subrev_co_u32_e32 v0, vcc, s2, v0
	global_load_dwordx2 v[2:3], v[2:3], off
	s_nop 0
	v_subb_co_u32_e64 v1, s[4:5], 0, 0, vcc
	s_waitcnt vmcnt(1)
	v_lshl_add_u64 v[0:1], v[0:1], 0, v[6:7]
	s_waitcnt vmcnt(0)
	v_subrev_co_u32_e32 v2, vcc, s2, v2
	s_nop 1
	v_subbrev_co_u32_e32 v3, vcc, 0, v3, vcc
	v_cmp_lt_i64_e32 vcc, v[0:1], v[2:3]
	s_and_b64 exec, exec, vcc
	s_cbranch_execz .LBB159_4
; %bb.2:
	s_load_dwordx4 s[4:7], s[0:1], 0x18
	s_load_dwordx2 s[8:9], s[0:1], 0x28
	s_load_dwordx2 s[10:11], s[0:1], 0x38
	s_waitcnt lgkmcnt(0)
	v_mad_u64_u32 v[6:7], s[0:1], s6, v4, 0
	v_mov_b32_e32 v8, v7
	v_mad_u64_u32 v[4:5], s[0:1], s7, v4, v[8:9]
	v_mov_b32_e32 v7, v4
	v_lshl_add_u64 v[4:5], v[6:7], 1, s[4:5]
	v_lshl_add_u64 v[6:7], v[0:1], 1, s[8:9]
	;; [unrolled: 1-line block ×3, first 2 shown]
	s_mov_b64 s[0:1], 0
.LBB159_3:                              ; =>This Inner Loop Header: Depth=1
	global_load_dwordx2 v[10:11], v[8:9], off
	v_lshl_add_u64 v[0:1], v[0:1], 0, 2
	v_lshl_add_u64 v[8:9], v[8:9], 0, 16
	s_waitcnt vmcnt(0)
	v_subrev_co_u32_e32 v10, vcc, s2, v10
	s_nop 1
	v_subbrev_co_u32_e32 v11, vcc, 0, v11, vcc
	v_lshl_add_u64 v[10:11], v[10:11], 1, v[4:5]
	global_load_ushort v10, v[10:11], off
	v_cmp_ge_i64_e32 vcc, v[0:1], v[2:3]
	s_or_b64 s[0:1], vcc, s[0:1]
	s_waitcnt vmcnt(0)
	global_store_short v[6:7], v10, off
	v_lshl_add_u64 v[6:7], v[6:7], 0, 4
	s_andn2_b64 exec, exec, s[0:1]
	s_cbranch_execnz .LBB159_3
.LBB159_4:
	s_endpgm
	.section	.rodata,"a",@progbits
	.p2align	6, 0x0
	.amdhsa_kernel _ZN9rocsparseL23sddmm_csx_sample_kernelILi512ELi2EL20rocsparse_direction_1EDF16_llDF16_EEvT4_S2_T3_PKT5_S2_PS4_PKS3_PKS2_21rocsparse_index_base_
		.amdhsa_group_segment_fixed_size 0
		.amdhsa_private_segment_fixed_size 0
		.amdhsa_kernarg_size 68
		.amdhsa_user_sgpr_count 2
		.amdhsa_user_sgpr_dispatch_ptr 0
		.amdhsa_user_sgpr_queue_ptr 0
		.amdhsa_user_sgpr_kernarg_segment_ptr 1
		.amdhsa_user_sgpr_dispatch_id 0
		.amdhsa_user_sgpr_kernarg_preload_length 0
		.amdhsa_user_sgpr_kernarg_preload_offset 0
		.amdhsa_user_sgpr_private_segment_size 0
		.amdhsa_uses_dynamic_stack 0
		.amdhsa_enable_private_segment 0
		.amdhsa_system_sgpr_workgroup_id_x 1
		.amdhsa_system_sgpr_workgroup_id_y 0
		.amdhsa_system_sgpr_workgroup_id_z 0
		.amdhsa_system_sgpr_workgroup_info 0
		.amdhsa_system_vgpr_workitem_id 0
		.amdhsa_next_free_vgpr 12
		.amdhsa_next_free_sgpr 12
		.amdhsa_accum_offset 12
		.amdhsa_reserve_vcc 1
		.amdhsa_float_round_mode_32 0
		.amdhsa_float_round_mode_16_64 0
		.amdhsa_float_denorm_mode_32 3
		.amdhsa_float_denorm_mode_16_64 3
		.amdhsa_dx10_clamp 1
		.amdhsa_ieee_mode 1
		.amdhsa_fp16_overflow 0
		.amdhsa_tg_split 0
		.amdhsa_exception_fp_ieee_invalid_op 0
		.amdhsa_exception_fp_denorm_src 0
		.amdhsa_exception_fp_ieee_div_zero 0
		.amdhsa_exception_fp_ieee_overflow 0
		.amdhsa_exception_fp_ieee_underflow 0
		.amdhsa_exception_fp_ieee_inexact 0
		.amdhsa_exception_int_div_zero 0
	.end_amdhsa_kernel
	.section	.text._ZN9rocsparseL23sddmm_csx_sample_kernelILi512ELi2EL20rocsparse_direction_1EDF16_llDF16_EEvT4_S2_T3_PKT5_S2_PS4_PKS3_PKS2_21rocsparse_index_base_,"axG",@progbits,_ZN9rocsparseL23sddmm_csx_sample_kernelILi512ELi2EL20rocsparse_direction_1EDF16_llDF16_EEvT4_S2_T3_PKT5_S2_PS4_PKS3_PKS2_21rocsparse_index_base_,comdat
.Lfunc_end159:
	.size	_ZN9rocsparseL23sddmm_csx_sample_kernelILi512ELi2EL20rocsparse_direction_1EDF16_llDF16_EEvT4_S2_T3_PKT5_S2_PS4_PKS3_PKS2_21rocsparse_index_base_, .Lfunc_end159-_ZN9rocsparseL23sddmm_csx_sample_kernelILi512ELi2EL20rocsparse_direction_1EDF16_llDF16_EEvT4_S2_T3_PKT5_S2_PS4_PKS3_PKS2_21rocsparse_index_base_
                                        ; -- End function
	.set _ZN9rocsparseL23sddmm_csx_sample_kernelILi512ELi2EL20rocsparse_direction_1EDF16_llDF16_EEvT4_S2_T3_PKT5_S2_PS4_PKS3_PKS2_21rocsparse_index_base_.num_vgpr, 12
	.set _ZN9rocsparseL23sddmm_csx_sample_kernelILi512ELi2EL20rocsparse_direction_1EDF16_llDF16_EEvT4_S2_T3_PKT5_S2_PS4_PKS3_PKS2_21rocsparse_index_base_.num_agpr, 0
	.set _ZN9rocsparseL23sddmm_csx_sample_kernelILi512ELi2EL20rocsparse_direction_1EDF16_llDF16_EEvT4_S2_T3_PKT5_S2_PS4_PKS3_PKS2_21rocsparse_index_base_.numbered_sgpr, 12
	.set _ZN9rocsparseL23sddmm_csx_sample_kernelILi512ELi2EL20rocsparse_direction_1EDF16_llDF16_EEvT4_S2_T3_PKT5_S2_PS4_PKS3_PKS2_21rocsparse_index_base_.num_named_barrier, 0
	.set _ZN9rocsparseL23sddmm_csx_sample_kernelILi512ELi2EL20rocsparse_direction_1EDF16_llDF16_EEvT4_S2_T3_PKT5_S2_PS4_PKS3_PKS2_21rocsparse_index_base_.private_seg_size, 0
	.set _ZN9rocsparseL23sddmm_csx_sample_kernelILi512ELi2EL20rocsparse_direction_1EDF16_llDF16_EEvT4_S2_T3_PKT5_S2_PS4_PKS3_PKS2_21rocsparse_index_base_.uses_vcc, 1
	.set _ZN9rocsparseL23sddmm_csx_sample_kernelILi512ELi2EL20rocsparse_direction_1EDF16_llDF16_EEvT4_S2_T3_PKT5_S2_PS4_PKS3_PKS2_21rocsparse_index_base_.uses_flat_scratch, 0
	.set _ZN9rocsparseL23sddmm_csx_sample_kernelILi512ELi2EL20rocsparse_direction_1EDF16_llDF16_EEvT4_S2_T3_PKT5_S2_PS4_PKS3_PKS2_21rocsparse_index_base_.has_dyn_sized_stack, 0
	.set _ZN9rocsparseL23sddmm_csx_sample_kernelILi512ELi2EL20rocsparse_direction_1EDF16_llDF16_EEvT4_S2_T3_PKT5_S2_PS4_PKS3_PKS2_21rocsparse_index_base_.has_recursion, 0
	.set _ZN9rocsparseL23sddmm_csx_sample_kernelILi512ELi2EL20rocsparse_direction_1EDF16_llDF16_EEvT4_S2_T3_PKT5_S2_PS4_PKS3_PKS2_21rocsparse_index_base_.has_indirect_call, 0
	.section	.AMDGPU.csdata,"",@progbits
; Kernel info:
; codeLenInByte = 336
; TotalNumSgprs: 18
; NumVgprs: 12
; NumAgprs: 0
; TotalNumVgprs: 12
; ScratchSize: 0
; MemoryBound: 0
; FloatMode: 240
; IeeeMode: 1
; LDSByteSize: 0 bytes/workgroup (compile time only)
; SGPRBlocks: 2
; VGPRBlocks: 1
; NumSGPRsForWavesPerEU: 18
; NumVGPRsForWavesPerEU: 12
; AccumOffset: 12
; Occupancy: 8
; WaveLimiterHint : 1
; COMPUTE_PGM_RSRC2:SCRATCH_EN: 0
; COMPUTE_PGM_RSRC2:USER_SGPR: 2
; COMPUTE_PGM_RSRC2:TRAP_HANDLER: 0
; COMPUTE_PGM_RSRC2:TGID_X_EN: 1
; COMPUTE_PGM_RSRC2:TGID_Y_EN: 0
; COMPUTE_PGM_RSRC2:TGID_Z_EN: 0
; COMPUTE_PGM_RSRC2:TIDIG_COMP_CNT: 0
; COMPUTE_PGM_RSRC3_GFX90A:ACCUM_OFFSET: 2
; COMPUTE_PGM_RSRC3_GFX90A:TG_SPLIT: 0
	.section	.text._ZN9rocsparseL23sddmm_csx_sample_kernelILi512ELi1EL20rocsparse_direction_1EDF16_llDF16_EEvT4_S2_T3_PKT5_S2_PS4_PKS3_PKS2_21rocsparse_index_base_,"axG",@progbits,_ZN9rocsparseL23sddmm_csx_sample_kernelILi512ELi1EL20rocsparse_direction_1EDF16_llDF16_EEvT4_S2_T3_PKT5_S2_PS4_PKS3_PKS2_21rocsparse_index_base_,comdat
	.globl	_ZN9rocsparseL23sddmm_csx_sample_kernelILi512ELi1EL20rocsparse_direction_1EDF16_llDF16_EEvT4_S2_T3_PKT5_S2_PS4_PKS3_PKS2_21rocsparse_index_base_ ; -- Begin function _ZN9rocsparseL23sddmm_csx_sample_kernelILi512ELi1EL20rocsparse_direction_1EDF16_llDF16_EEvT4_S2_T3_PKT5_S2_PS4_PKS3_PKS2_21rocsparse_index_base_
	.p2align	8
	.type	_ZN9rocsparseL23sddmm_csx_sample_kernelILi512ELi1EL20rocsparse_direction_1EDF16_llDF16_EEvT4_S2_T3_PKT5_S2_PS4_PKS3_PKS2_21rocsparse_index_base_,@function
_ZN9rocsparseL23sddmm_csx_sample_kernelILi512ELi1EL20rocsparse_direction_1EDF16_llDF16_EEvT4_S2_T3_PKT5_S2_PS4_PKS3_PKS2_21rocsparse_index_base_: ; @_ZN9rocsparseL23sddmm_csx_sample_kernelILi512ELi1EL20rocsparse_direction_1EDF16_llDF16_EEvT4_S2_T3_PKT5_S2_PS4_PKS3_PKS2_21rocsparse_index_base_
; %bb.0:
	s_load_dwordx2 s[4:5], s[0:1], 0x8
	v_lshl_or_b32 v4, s2, 9, v0
	v_mov_b32_e32 v5, 0
	s_waitcnt lgkmcnt(0)
	v_cmp_gt_i64_e32 vcc, s[4:5], v[4:5]
	s_and_saveexec_b64 s[2:3], vcc
	s_cbranch_execz .LBB160_4
; %bb.1:
	s_load_dwordx2 s[2:3], s[0:1], 0x30
	v_add_u32_e32 v0, 1, v4
	v_mov_b32_e32 v1, v5
	s_waitcnt lgkmcnt(0)
	v_lshl_add_u64 v[2:3], v[4:5], 3, s[2:3]
	v_lshl_add_u64 v[8:9], v[0:1], 3, s[2:3]
	global_load_dwordx2 v[6:7], v[2:3], off
	global_load_dwordx2 v[0:1], v[8:9], off
	s_waitcnt vmcnt(0)
	v_cmp_lt_i64_e32 vcc, v[6:7], v[0:1]
	s_and_b64 exec, exec, vcc
	s_cbranch_execz .LBB160_4
; %bb.2:
	s_load_dwordx2 s[8:9], s[0:1], 0x38
	s_load_dword s2, s[0:1], 0x40
	s_load_dwordx4 s[4:7], s[0:1], 0x18
	s_load_dwordx2 s[10:11], s[0:1], 0x28
	s_mov_b32 s3, 0
	s_waitcnt lgkmcnt(0)
	v_subrev_co_u32_e32 v0, vcc, s2, v0
	v_mad_u64_u32 v[8:9], s[0:1], s6, v4, 0
	v_mov_b32_e32 v10, v9
	v_subbrev_co_u32_e32 v1, vcc, 0, v1, vcc
	v_mad_u64_u32 v[4:5], s[0:1], s7, v4, v[10:11]
	v_subrev_co_u32_e32 v2, vcc, s2, v6
	v_mov_b32_e32 v9, v4
	s_nop 0
	v_subbrev_co_u32_e32 v3, vcc, 0, v7, vcc
	v_lshl_add_u64 v[4:5], v[8:9], 1, s[4:5]
	v_lshlrev_b64 v[8:9], 1, v[6:7]
	s_lshl_b64 s[0:1], s[2:3], 1
	v_mov_b32_e32 v10, s1
	v_subrev_co_u32_e32 v8, vcc, s0, v8
	v_lshlrev_b64 v[6:7], 3, v[6:7]
	s_nop 0
	v_subb_co_u32_e32 v9, vcc, v9, v10, vcc
	s_lshl_b64 s[0:1], s[2:3], 3
	v_mov_b32_e32 v10, s1
	v_subrev_co_u32_e32 v6, vcc, s0, v6
	v_lshl_add_u64 v[8:9], s[10:11], 0, v[8:9]
	s_nop 0
	v_subb_co_u32_e32 v7, vcc, v7, v10, vcc
	v_lshl_add_u64 v[6:7], s[8:9], 0, v[6:7]
	s_mov_b64 s[0:1], 0
.LBB160_3:                              ; =>This Inner Loop Header: Depth=1
	global_load_dwordx2 v[10:11], v[6:7], off
	v_lshl_add_u64 v[2:3], v[2:3], 0, 1
	v_lshl_add_u64 v[6:7], v[6:7], 0, 8
	s_waitcnt vmcnt(0)
	v_subrev_co_u32_e32 v10, vcc, s2, v10
	s_nop 1
	v_subbrev_co_u32_e32 v11, vcc, 0, v11, vcc
	v_lshl_add_u64 v[10:11], v[10:11], 1, v[4:5]
	global_load_ushort v10, v[10:11], off
	v_cmp_ge_i64_e32 vcc, v[2:3], v[0:1]
	s_or_b64 s[0:1], vcc, s[0:1]
	s_waitcnt vmcnt(0)
	global_store_short v[8:9], v10, off
	v_lshl_add_u64 v[8:9], v[8:9], 0, 2
	s_andn2_b64 exec, exec, s[0:1]
	s_cbranch_execnz .LBB160_3
.LBB160_4:
	s_endpgm
	.section	.rodata,"a",@progbits
	.p2align	6, 0x0
	.amdhsa_kernel _ZN9rocsparseL23sddmm_csx_sample_kernelILi512ELi1EL20rocsparse_direction_1EDF16_llDF16_EEvT4_S2_T3_PKT5_S2_PS4_PKS3_PKS2_21rocsparse_index_base_
		.amdhsa_group_segment_fixed_size 0
		.amdhsa_private_segment_fixed_size 0
		.amdhsa_kernarg_size 68
		.amdhsa_user_sgpr_count 2
		.amdhsa_user_sgpr_dispatch_ptr 0
		.amdhsa_user_sgpr_queue_ptr 0
		.amdhsa_user_sgpr_kernarg_segment_ptr 1
		.amdhsa_user_sgpr_dispatch_id 0
		.amdhsa_user_sgpr_kernarg_preload_length 0
		.amdhsa_user_sgpr_kernarg_preload_offset 0
		.amdhsa_user_sgpr_private_segment_size 0
		.amdhsa_uses_dynamic_stack 0
		.amdhsa_enable_private_segment 0
		.amdhsa_system_sgpr_workgroup_id_x 1
		.amdhsa_system_sgpr_workgroup_id_y 0
		.amdhsa_system_sgpr_workgroup_id_z 0
		.amdhsa_system_sgpr_workgroup_info 0
		.amdhsa_system_vgpr_workitem_id 0
		.amdhsa_next_free_vgpr 12
		.amdhsa_next_free_sgpr 12
		.amdhsa_accum_offset 12
		.amdhsa_reserve_vcc 1
		.amdhsa_float_round_mode_32 0
		.amdhsa_float_round_mode_16_64 0
		.amdhsa_float_denorm_mode_32 3
		.amdhsa_float_denorm_mode_16_64 3
		.amdhsa_dx10_clamp 1
		.amdhsa_ieee_mode 1
		.amdhsa_fp16_overflow 0
		.amdhsa_tg_split 0
		.amdhsa_exception_fp_ieee_invalid_op 0
		.amdhsa_exception_fp_denorm_src 0
		.amdhsa_exception_fp_ieee_div_zero 0
		.amdhsa_exception_fp_ieee_overflow 0
		.amdhsa_exception_fp_ieee_underflow 0
		.amdhsa_exception_fp_ieee_inexact 0
		.amdhsa_exception_int_div_zero 0
	.end_amdhsa_kernel
	.section	.text._ZN9rocsparseL23sddmm_csx_sample_kernelILi512ELi1EL20rocsparse_direction_1EDF16_llDF16_EEvT4_S2_T3_PKT5_S2_PS4_PKS3_PKS2_21rocsparse_index_base_,"axG",@progbits,_ZN9rocsparseL23sddmm_csx_sample_kernelILi512ELi1EL20rocsparse_direction_1EDF16_llDF16_EEvT4_S2_T3_PKT5_S2_PS4_PKS3_PKS2_21rocsparse_index_base_,comdat
.Lfunc_end160:
	.size	_ZN9rocsparseL23sddmm_csx_sample_kernelILi512ELi1EL20rocsparse_direction_1EDF16_llDF16_EEvT4_S2_T3_PKT5_S2_PS4_PKS3_PKS2_21rocsparse_index_base_, .Lfunc_end160-_ZN9rocsparseL23sddmm_csx_sample_kernelILi512ELi1EL20rocsparse_direction_1EDF16_llDF16_EEvT4_S2_T3_PKT5_S2_PS4_PKS3_PKS2_21rocsparse_index_base_
                                        ; -- End function
	.set _ZN9rocsparseL23sddmm_csx_sample_kernelILi512ELi1EL20rocsparse_direction_1EDF16_llDF16_EEvT4_S2_T3_PKT5_S2_PS4_PKS3_PKS2_21rocsparse_index_base_.num_vgpr, 12
	.set _ZN9rocsparseL23sddmm_csx_sample_kernelILi512ELi1EL20rocsparse_direction_1EDF16_llDF16_EEvT4_S2_T3_PKT5_S2_PS4_PKS3_PKS2_21rocsparse_index_base_.num_agpr, 0
	.set _ZN9rocsparseL23sddmm_csx_sample_kernelILi512ELi1EL20rocsparse_direction_1EDF16_llDF16_EEvT4_S2_T3_PKT5_S2_PS4_PKS3_PKS2_21rocsparse_index_base_.numbered_sgpr, 12
	.set _ZN9rocsparseL23sddmm_csx_sample_kernelILi512ELi1EL20rocsparse_direction_1EDF16_llDF16_EEvT4_S2_T3_PKT5_S2_PS4_PKS3_PKS2_21rocsparse_index_base_.num_named_barrier, 0
	.set _ZN9rocsparseL23sddmm_csx_sample_kernelILi512ELi1EL20rocsparse_direction_1EDF16_llDF16_EEvT4_S2_T3_PKT5_S2_PS4_PKS3_PKS2_21rocsparse_index_base_.private_seg_size, 0
	.set _ZN9rocsparseL23sddmm_csx_sample_kernelILi512ELi1EL20rocsparse_direction_1EDF16_llDF16_EEvT4_S2_T3_PKT5_S2_PS4_PKS3_PKS2_21rocsparse_index_base_.uses_vcc, 1
	.set _ZN9rocsparseL23sddmm_csx_sample_kernelILi512ELi1EL20rocsparse_direction_1EDF16_llDF16_EEvT4_S2_T3_PKT5_S2_PS4_PKS3_PKS2_21rocsparse_index_base_.uses_flat_scratch, 0
	.set _ZN9rocsparseL23sddmm_csx_sample_kernelILi512ELi1EL20rocsparse_direction_1EDF16_llDF16_EEvT4_S2_T3_PKT5_S2_PS4_PKS3_PKS2_21rocsparse_index_base_.has_dyn_sized_stack, 0
	.set _ZN9rocsparseL23sddmm_csx_sample_kernelILi512ELi1EL20rocsparse_direction_1EDF16_llDF16_EEvT4_S2_T3_PKT5_S2_PS4_PKS3_PKS2_21rocsparse_index_base_.has_recursion, 0
	.set _ZN9rocsparseL23sddmm_csx_sample_kernelILi512ELi1EL20rocsparse_direction_1EDF16_llDF16_EEvT4_S2_T3_PKT5_S2_PS4_PKS3_PKS2_21rocsparse_index_base_.has_indirect_call, 0
	.section	.AMDGPU.csdata,"",@progbits
; Kernel info:
; codeLenInByte = 368
; TotalNumSgprs: 18
; NumVgprs: 12
; NumAgprs: 0
; TotalNumVgprs: 12
; ScratchSize: 0
; MemoryBound: 0
; FloatMode: 240
; IeeeMode: 1
; LDSByteSize: 0 bytes/workgroup (compile time only)
; SGPRBlocks: 2
; VGPRBlocks: 1
; NumSGPRsForWavesPerEU: 18
; NumVGPRsForWavesPerEU: 12
; AccumOffset: 12
; Occupancy: 8
; WaveLimiterHint : 1
; COMPUTE_PGM_RSRC2:SCRATCH_EN: 0
; COMPUTE_PGM_RSRC2:USER_SGPR: 2
; COMPUTE_PGM_RSRC2:TRAP_HANDLER: 0
; COMPUTE_PGM_RSRC2:TGID_X_EN: 1
; COMPUTE_PGM_RSRC2:TGID_Y_EN: 0
; COMPUTE_PGM_RSRC2:TGID_Z_EN: 0
; COMPUTE_PGM_RSRC2:TIDIG_COMP_CNT: 0
; COMPUTE_PGM_RSRC3_GFX90A:ACCUM_OFFSET: 2
; COMPUTE_PGM_RSRC3_GFX90A:TG_SPLIT: 0
	.section	.text._ZN9rocsparseL16sddmm_csx_kernelILi512ELi8EL20rocsparse_direction_0EDF16_llDF16_DF16_DF16_EEv20rocsparse_operation_S2_16rocsparse_order_S3_T4_S4_S4_T3_NS_24const_host_device_scalarIT2_EEPKT5_lPKT6_lS8_PT7_PKS5_PKS4_21rocsparse_index_base_b,"axG",@progbits,_ZN9rocsparseL16sddmm_csx_kernelILi512ELi8EL20rocsparse_direction_0EDF16_llDF16_DF16_DF16_EEv20rocsparse_operation_S2_16rocsparse_order_S3_T4_S4_S4_T3_NS_24const_host_device_scalarIT2_EEPKT5_lPKT6_lS8_PT7_PKS5_PKS4_21rocsparse_index_base_b,comdat
	.globl	_ZN9rocsparseL16sddmm_csx_kernelILi512ELi8EL20rocsparse_direction_0EDF16_llDF16_DF16_DF16_EEv20rocsparse_operation_S2_16rocsparse_order_S3_T4_S4_S4_T3_NS_24const_host_device_scalarIT2_EEPKT5_lPKT6_lS8_PT7_PKS5_PKS4_21rocsparse_index_base_b ; -- Begin function _ZN9rocsparseL16sddmm_csx_kernelILi512ELi8EL20rocsparse_direction_0EDF16_llDF16_DF16_DF16_EEv20rocsparse_operation_S2_16rocsparse_order_S3_T4_S4_S4_T3_NS_24const_host_device_scalarIT2_EEPKT5_lPKT6_lS8_PT7_PKS5_PKS4_21rocsparse_index_base_b
	.p2align	8
	.type	_ZN9rocsparseL16sddmm_csx_kernelILi512ELi8EL20rocsparse_direction_0EDF16_llDF16_DF16_DF16_EEv20rocsparse_operation_S2_16rocsparse_order_S3_T4_S4_S4_T3_NS_24const_host_device_scalarIT2_EEPKT5_lPKT6_lS8_PT7_PKS5_PKS4_21rocsparse_index_base_b,@function
_ZN9rocsparseL16sddmm_csx_kernelILi512ELi8EL20rocsparse_direction_0EDF16_llDF16_DF16_DF16_EEv20rocsparse_operation_S2_16rocsparse_order_S3_T4_S4_S4_T3_NS_24const_host_device_scalarIT2_EEPKT5_lPKT6_lS8_PT7_PKS5_PKS4_21rocsparse_index_base_b: ; @_ZN9rocsparseL16sddmm_csx_kernelILi512ELi8EL20rocsparse_direction_0EDF16_llDF16_DF16_DF16_EEv20rocsparse_operation_S2_16rocsparse_order_S3_T4_S4_S4_T3_NS_24const_host_device_scalarIT2_EEPKT5_lPKT6_lS8_PT7_PKS5_PKS4_21rocsparse_index_base_b
; %bb.0:
	s_load_dwordx2 s[14:15], s[0:1], 0x78
	s_load_dwordx2 s[6:7], s[0:1], 0x30
	s_load_dwordx4 s[16:19], s[0:1], 0x50
	s_waitcnt lgkmcnt(0)
	s_bitcmp1_b32 s15, 0
	s_cselect_b64 s[8:9], -1, 0
	s_xor_b64 s[4:5], s[8:9], -1
	s_and_b64 vcc, exec, s[8:9]
	v_mov_b32_e32 v16, s6
	s_cbranch_vccnz .LBB161_2
; %bb.1:
	v_mov_b32_e32 v1, 0
	global_load_ushort v16, v1, s[6:7]
.LBB161_2:
	s_andn2_b64 vcc, exec, s[4:5]
	v_mov_b32_e32 v17, s18
	s_cbranch_vccnz .LBB161_4
; %bb.3:
	v_mov_b32_e32 v1, 0
	global_load_ushort v17, v1, s[18:19]
.LBB161_4:
	s_waitcnt vmcnt(0)
	v_cmp_eq_f16_e32 vcc, 0, v16
	v_cmp_eq_f16_e64 s[4:5], 1.0, v17
	s_and_b64 s[4:5], vcc, s[4:5]
	s_and_b64 vcc, exec, s[4:5]
	s_cbranch_vccnz .LBB161_36
; %bb.5:
	s_load_dwordx2 s[4:5], s[0:1], 0x10
	v_lshrrev_b32_e32 v6, 3, v0
	v_lshl_or_b32 v2, s2, 6, v6
	v_mov_b32_e32 v3, 0
	s_waitcnt lgkmcnt(0)
	v_cmp_gt_i64_e32 vcc, s[4:5], v[2:3]
	s_and_saveexec_b64 s[2:3], vcc
	s_cbranch_execz .LBB161_36
; %bb.6:
	s_load_dwordx4 s[4:7], s[0:1], 0x0
	s_load_dwordx2 s[12:13], s[0:1], 0x68
	s_load_dwordx2 s[2:3], s[0:1], 0x40
	s_waitcnt lgkmcnt(0)
	s_cmp_eq_u32 s6, 1
	s_cselect_b64 s[8:9], -1, 0
	s_cmpk_eq_i32 s4, 0x6f
	s_cselect_b64 s[10:11], -1, 0
	s_cmpk_lg_i32 s4, 0x6f
	s_cselect_b64 s[18:19], -1, 0
	s_cmp_lg_u32 s6, 1
	s_cbranch_scc0 .LBB161_10
; %bb.7:
	s_andn2_b64 vcc, exec, s[10:11]
	v_mov_b64_e32 v[8:9], v[2:3]
	s_cbranch_vccnz .LBB161_9
; %bb.8:
	v_mad_u64_u32 v[8:9], s[20:21], s2, v2, 0
	v_mov_b32_e32 v4, v9
	v_mad_u64_u32 v[4:5], s[20:21], s3, v2, v[4:5]
	v_mov_b32_e32 v9, v4
.LBB161_9:
	s_cbranch_execz .LBB161_11
	s_branch .LBB161_13
.LBB161_10:
                                        ; implicit-def: $vgpr8_vgpr9
.LBB161_11:
	s_andn2_b64 vcc, exec, s[18:19]
	v_mov_b64_e32 v[8:9], v[2:3]
	s_cbranch_vccnz .LBB161_13
; %bb.12:
	v_mad_u64_u32 v[8:9], s[18:19], s2, v2, 0
	v_mov_b32_e32 v4, v9
	v_mad_u64_u32 v[4:5], s[18:19], s3, v2, v[4:5]
	v_mov_b32_e32 v9, v4
.LBB161_13:
	v_lshl_add_u64 v[2:3], v[2:3], 3, s[12:13]
	global_load_dwordx4 v[2:5], v[2:3], off
	s_waitcnt vmcnt(0)
	v_cmp_lt_i64_e32 vcc, v[2:3], v[4:5]
	s_and_b64 exec, exec, vcc
	s_cbranch_execz .LBB161_36
; %bb.14:
	s_xor_b64 s[8:9], s[10:11], s[8:9]
	s_and_b64 s[8:9], s[8:9], exec
	s_cselect_b32 s9, 0, s3
	s_cselect_b32 s8, 1, s2
	s_cmp_lg_u32 s7, 1
	s_cselect_b64 s[20:21], -1, 0
	s_cmp_eq_u32 s7, 1
	s_cselect_b64 s[2:3], -1, 0
	s_cmpk_eq_i32 s5, 0x6f
	s_cselect_b64 s[6:7], -1, 0
	s_cmpk_lg_i32 s5, 0x6f
	s_cselect_b64 s[10:11], -1, 0
	s_xor_b64 s[2:3], s[6:7], s[2:3]
	s_and_b64 s[2:3], s[2:3], exec
	s_cselect_b32 s12, s16, 1
	v_and_b32_e32 v0, 7, v0
	v_lshlrev_b32_e32 v18, 4, v6
	v_mad_u64_u32 v[6:7], s[30:31], s12, v0, 0
	s_cselect_b32 s13, s17, 0
	v_mov_b32_e32 v10, v7
	s_load_dwordx2 s[26:27], s[0:1], 0x48
	s_load_dwordx2 s[22:23], s[0:1], 0x60
	;; [unrolled: 1-line block ×4, first 2 shown]
	v_mad_u64_u32 v[10:11], s[30:31], s13, v0, v[10:11]
	v_mov_b32_e32 v7, v10
	s_waitcnt lgkmcnt(0)
	v_lshl_add_u64 v[6:7], v[6:7], 1, s[26:27]
	s_lshl_b64 s[26:27], s[12:13], 4
	v_mad_u64_u32 v[10:11], s[12:13], s8, v0, 0
	s_load_dwordx2 s[18:19], s[0:1], 0x70
	v_mov_b32_e32 v12, v11
	v_subrev_co_u32_e32 v2, vcc, s14, v2
	v_mad_u64_u32 v[12:13], s[12:13], s9, v0, v[12:13]
	s_nop 0
	v_subbrev_co_u32_e32 v3, vcc, 0, v3, vcc
	v_mov_b32_e32 v11, v12
	v_lshlrev_b64 v[8:9], 1, v[8:9]
	v_cndmask_b32_e64 v14, 0, 1, s[6:7]
	v_mov_b32_e32 v1, 0
	v_subrev_co_u32_e32 v4, vcc, s14, v4
	v_lshl_add_u64 v[8:9], v[10:11], 1, v[8:9]
	v_cndmask_b32_e64 v10, 0, 1, s[10:11]
	v_cmp_gt_i64_e64 s[0:1], s[24:25], v[0:1]
	v_lshl_or_b32 v19, v0, 1, v18
	v_cmp_eq_u32_e64 s[2:3], 0, v0
	v_cmp_gt_u32_e64 s[4:5], 4, v0
	v_cmp_gt_u32_e64 s[6:7], 2, v0
	v_subbrev_co_u32_e32 v5, vcc, 0, v5, vcc
	v_lshl_add_u64 v[8:9], s[28:29], 0, v[8:9]
	s_lshl_b64 s[28:29], s[8:9], 4
	s_mov_b64 s[30:31], 0
	v_cmp_ne_u32_e64 s[8:9], 1, v10
	v_cmp_ne_u32_e64 s[10:11], 1, v14
	s_branch .LBB161_16
.LBB161_15:                             ;   in Loop: Header=BB161_16 Depth=1
	s_or_b64 exec, exec, s[12:13]
	v_lshl_add_u64 v[2:3], v[2:3], 0, 1
	v_cmp_ge_i64_e32 vcc, v[2:3], v[4:5]
	s_or_b64 s[30:31], vcc, s[30:31]
	s_andn2_b64 exec, exec, s[30:31]
	s_cbranch_execz .LBB161_36
.LBB161_16:                             ; =>This Loop Header: Depth=1
                                        ;     Child Loop BB161_26 Depth 2
	s_waitcnt lgkmcnt(0)
	v_lshl_add_u64 v[10:11], v[2:3], 3, s[18:19]
	global_load_dwordx2 v[10:11], v[10:11], off
	s_mov_b64 s[34:35], -1
	s_and_b64 vcc, exec, s[20:21]
                                        ; implicit-def: $vgpr12_vgpr13
	s_waitcnt vmcnt(0)
	v_subrev_co_u32_e64 v10, s[12:13], s14, v10
	s_nop 1
	v_subbrev_co_u32_e64 v11, s[12:13], 0, v11, s[12:13]
	s_cbranch_vccnz .LBB161_19
; %bb.17:                               ;   in Loop: Header=BB161_16 Depth=1
	s_andn2_b64 vcc, exec, s[34:35]
	s_cbranch_vccz .LBB161_22
.LBB161_18:                             ;   in Loop: Header=BB161_16 Depth=1
	v_mov_b32_e32 v20, 0
	s_and_saveexec_b64 s[12:13], s[0:1]
	s_cbranch_execnz .LBB161_25
	s_branch .LBB161_28
.LBB161_19:                             ;   in Loop: Header=BB161_16 Depth=1
	s_and_b64 vcc, exec, s[8:9]
	v_mov_b64_e32 v[12:13], v[10:11]
	s_cbranch_vccnz .LBB161_21
; %bb.20:                               ;   in Loop: Header=BB161_16 Depth=1
	v_mul_lo_u32 v14, v11, s16
	v_mul_lo_u32 v15, v10, s17
	v_mad_u64_u32 v[12:13], s[12:13], v10, s16, 0
	v_add3_u32 v13, v13, v15, v14
.LBB161_21:                             ;   in Loop: Header=BB161_16 Depth=1
	s_cbranch_execnz .LBB161_18
.LBB161_22:                             ;   in Loop: Header=BB161_16 Depth=1
	s_and_b64 vcc, exec, s[10:11]
	s_cbranch_vccnz .LBB161_24
; %bb.23:                               ;   in Loop: Header=BB161_16 Depth=1
	v_mul_lo_u32 v12, v11, s16
	v_mul_lo_u32 v13, v10, s17
	v_mad_u64_u32 v[10:11], s[12:13], v10, s16, 0
	v_add3_u32 v11, v11, v13, v12
.LBB161_24:                             ;   in Loop: Header=BB161_16 Depth=1
	v_mov_b64_e32 v[12:13], v[10:11]
	v_mov_b32_e32 v20, 0
	s_and_saveexec_b64 s[12:13], s[0:1]
	s_cbranch_execz .LBB161_28
.LBB161_25:                             ;   in Loop: Header=BB161_16 Depth=1
	v_lshl_add_u64 v[10:11], v[12:13], 1, v[6:7]
	v_mov_b32_e32 v20, 0
	s_mov_b64 s[34:35], 0
	v_mov_b64_e32 v[12:13], v[8:9]
	v_mov_b64_e32 v[14:15], v[0:1]
.LBB161_26:                             ;   Parent Loop BB161_16 Depth=1
                                        ; =>  This Inner Loop Header: Depth=2
	global_load_ushort v21, v[12:13], off
	global_load_ushort v22, v[10:11], off
	v_lshl_add_u64 v[14:15], v[14:15], 0, 8
	v_cmp_le_i64_e32 vcc, s[24:25], v[14:15]
	v_lshl_add_u64 v[10:11], v[10:11], 0, s[26:27]
	v_lshl_add_u64 v[12:13], v[12:13], 0, s[28:29]
	s_or_b64 s[34:35], vcc, s[34:35]
	s_waitcnt vmcnt(0)
	v_fma_f16 v20, v21, v22, v20
	s_andn2_b64 exec, exec, s[34:35]
	s_cbranch_execnz .LBB161_26
; %bb.27:                               ;   in Loop: Header=BB161_16 Depth=1
	s_or_b64 exec, exec, s[34:35]
.LBB161_28:                             ;   in Loop: Header=BB161_16 Depth=1
	s_or_b64 exec, exec, s[12:13]
	ds_write_b16 v19, v20
	s_waitcnt lgkmcnt(0)
	s_barrier
	s_and_saveexec_b64 s[12:13], s[4:5]
	s_cbranch_execz .LBB161_30
; %bb.29:                               ;   in Loop: Header=BB161_16 Depth=1
	ds_read_u16 v10, v19
	ds_read_u16 v11, v19 offset:8
	s_waitcnt lgkmcnt(0)
	v_add_f16_e32 v10, v11, v10
	ds_write_b16 v19, v10
.LBB161_30:                             ;   in Loop: Header=BB161_16 Depth=1
	s_or_b64 exec, exec, s[12:13]
	s_waitcnt lgkmcnt(0)
	s_barrier
	s_and_saveexec_b64 s[12:13], s[6:7]
	s_cbranch_execz .LBB161_32
; %bb.31:                               ;   in Loop: Header=BB161_16 Depth=1
	ds_read_u16 v10, v19
	ds_read_u16 v11, v19 offset:4
	s_waitcnt lgkmcnt(0)
	v_add_f16_e32 v10, v11, v10
	ds_write_b16 v19, v10
.LBB161_32:                             ;   in Loop: Header=BB161_16 Depth=1
	s_or_b64 exec, exec, s[12:13]
	;; [unrolled: 12-line block ×3, first 2 shown]
	s_waitcnt lgkmcnt(0)
	s_barrier
	s_and_saveexec_b64 s[12:13], s[2:3]
	s_cbranch_execz .LBB161_15
; %bb.35:                               ;   in Loop: Header=BB161_16 Depth=1
	v_lshl_add_u64 v[10:11], v[2:3], 1, s[22:23]
	global_load_ushort v12, v[10:11], off
	ds_read_u16 v13, v18
	s_waitcnt lgkmcnt(0)
	v_mul_f16_e32 v13, v16, v13
	s_waitcnt vmcnt(0)
	v_fma_f16 v12, v17, v12, v13
	global_store_short v[10:11], v12, off
	s_branch .LBB161_15
.LBB161_36:
	s_endpgm
	.section	.rodata,"a",@progbits
	.p2align	6, 0x0
	.amdhsa_kernel _ZN9rocsparseL16sddmm_csx_kernelILi512ELi8EL20rocsparse_direction_0EDF16_llDF16_DF16_DF16_EEv20rocsparse_operation_S2_16rocsparse_order_S3_T4_S4_S4_T3_NS_24const_host_device_scalarIT2_EEPKT5_lPKT6_lS8_PT7_PKS5_PKS4_21rocsparse_index_base_b
		.amdhsa_group_segment_fixed_size 1024
		.amdhsa_private_segment_fixed_size 0
		.amdhsa_kernarg_size 128
		.amdhsa_user_sgpr_count 2
		.amdhsa_user_sgpr_dispatch_ptr 0
		.amdhsa_user_sgpr_queue_ptr 0
		.amdhsa_user_sgpr_kernarg_segment_ptr 1
		.amdhsa_user_sgpr_dispatch_id 0
		.amdhsa_user_sgpr_kernarg_preload_length 0
		.amdhsa_user_sgpr_kernarg_preload_offset 0
		.amdhsa_user_sgpr_private_segment_size 0
		.amdhsa_uses_dynamic_stack 0
		.amdhsa_enable_private_segment 0
		.amdhsa_system_sgpr_workgroup_id_x 1
		.amdhsa_system_sgpr_workgroup_id_y 0
		.amdhsa_system_sgpr_workgroup_id_z 0
		.amdhsa_system_sgpr_workgroup_info 0
		.amdhsa_system_vgpr_workitem_id 0
		.amdhsa_next_free_vgpr 23
		.amdhsa_next_free_sgpr 36
		.amdhsa_accum_offset 24
		.amdhsa_reserve_vcc 1
		.amdhsa_float_round_mode_32 0
		.amdhsa_float_round_mode_16_64 0
		.amdhsa_float_denorm_mode_32 3
		.amdhsa_float_denorm_mode_16_64 3
		.amdhsa_dx10_clamp 1
		.amdhsa_ieee_mode 1
		.amdhsa_fp16_overflow 0
		.amdhsa_tg_split 0
		.amdhsa_exception_fp_ieee_invalid_op 0
		.amdhsa_exception_fp_denorm_src 0
		.amdhsa_exception_fp_ieee_div_zero 0
		.amdhsa_exception_fp_ieee_overflow 0
		.amdhsa_exception_fp_ieee_underflow 0
		.amdhsa_exception_fp_ieee_inexact 0
		.amdhsa_exception_int_div_zero 0
	.end_amdhsa_kernel
	.section	.text._ZN9rocsparseL16sddmm_csx_kernelILi512ELi8EL20rocsparse_direction_0EDF16_llDF16_DF16_DF16_EEv20rocsparse_operation_S2_16rocsparse_order_S3_T4_S4_S4_T3_NS_24const_host_device_scalarIT2_EEPKT5_lPKT6_lS8_PT7_PKS5_PKS4_21rocsparse_index_base_b,"axG",@progbits,_ZN9rocsparseL16sddmm_csx_kernelILi512ELi8EL20rocsparse_direction_0EDF16_llDF16_DF16_DF16_EEv20rocsparse_operation_S2_16rocsparse_order_S3_T4_S4_S4_T3_NS_24const_host_device_scalarIT2_EEPKT5_lPKT6_lS8_PT7_PKS5_PKS4_21rocsparse_index_base_b,comdat
.Lfunc_end161:
	.size	_ZN9rocsparseL16sddmm_csx_kernelILi512ELi8EL20rocsparse_direction_0EDF16_llDF16_DF16_DF16_EEv20rocsparse_operation_S2_16rocsparse_order_S3_T4_S4_S4_T3_NS_24const_host_device_scalarIT2_EEPKT5_lPKT6_lS8_PT7_PKS5_PKS4_21rocsparse_index_base_b, .Lfunc_end161-_ZN9rocsparseL16sddmm_csx_kernelILi512ELi8EL20rocsparse_direction_0EDF16_llDF16_DF16_DF16_EEv20rocsparse_operation_S2_16rocsparse_order_S3_T4_S4_S4_T3_NS_24const_host_device_scalarIT2_EEPKT5_lPKT6_lS8_PT7_PKS5_PKS4_21rocsparse_index_base_b
                                        ; -- End function
	.set _ZN9rocsparseL16sddmm_csx_kernelILi512ELi8EL20rocsparse_direction_0EDF16_llDF16_DF16_DF16_EEv20rocsparse_operation_S2_16rocsparse_order_S3_T4_S4_S4_T3_NS_24const_host_device_scalarIT2_EEPKT5_lPKT6_lS8_PT7_PKS5_PKS4_21rocsparse_index_base_b.num_vgpr, 23
	.set _ZN9rocsparseL16sddmm_csx_kernelILi512ELi8EL20rocsparse_direction_0EDF16_llDF16_DF16_DF16_EEv20rocsparse_operation_S2_16rocsparse_order_S3_T4_S4_S4_T3_NS_24const_host_device_scalarIT2_EEPKT5_lPKT6_lS8_PT7_PKS5_PKS4_21rocsparse_index_base_b.num_agpr, 0
	.set _ZN9rocsparseL16sddmm_csx_kernelILi512ELi8EL20rocsparse_direction_0EDF16_llDF16_DF16_DF16_EEv20rocsparse_operation_S2_16rocsparse_order_S3_T4_S4_S4_T3_NS_24const_host_device_scalarIT2_EEPKT5_lPKT6_lS8_PT7_PKS5_PKS4_21rocsparse_index_base_b.numbered_sgpr, 36
	.set _ZN9rocsparseL16sddmm_csx_kernelILi512ELi8EL20rocsparse_direction_0EDF16_llDF16_DF16_DF16_EEv20rocsparse_operation_S2_16rocsparse_order_S3_T4_S4_S4_T3_NS_24const_host_device_scalarIT2_EEPKT5_lPKT6_lS8_PT7_PKS5_PKS4_21rocsparse_index_base_b.num_named_barrier, 0
	.set _ZN9rocsparseL16sddmm_csx_kernelILi512ELi8EL20rocsparse_direction_0EDF16_llDF16_DF16_DF16_EEv20rocsparse_operation_S2_16rocsparse_order_S3_T4_S4_S4_T3_NS_24const_host_device_scalarIT2_EEPKT5_lPKT6_lS8_PT7_PKS5_PKS4_21rocsparse_index_base_b.private_seg_size, 0
	.set _ZN9rocsparseL16sddmm_csx_kernelILi512ELi8EL20rocsparse_direction_0EDF16_llDF16_DF16_DF16_EEv20rocsparse_operation_S2_16rocsparse_order_S3_T4_S4_S4_T3_NS_24const_host_device_scalarIT2_EEPKT5_lPKT6_lS8_PT7_PKS5_PKS4_21rocsparse_index_base_b.uses_vcc, 1
	.set _ZN9rocsparseL16sddmm_csx_kernelILi512ELi8EL20rocsparse_direction_0EDF16_llDF16_DF16_DF16_EEv20rocsparse_operation_S2_16rocsparse_order_S3_T4_S4_S4_T3_NS_24const_host_device_scalarIT2_EEPKT5_lPKT6_lS8_PT7_PKS5_PKS4_21rocsparse_index_base_b.uses_flat_scratch, 0
	.set _ZN9rocsparseL16sddmm_csx_kernelILi512ELi8EL20rocsparse_direction_0EDF16_llDF16_DF16_DF16_EEv20rocsparse_operation_S2_16rocsparse_order_S3_T4_S4_S4_T3_NS_24const_host_device_scalarIT2_EEPKT5_lPKT6_lS8_PT7_PKS5_PKS4_21rocsparse_index_base_b.has_dyn_sized_stack, 0
	.set _ZN9rocsparseL16sddmm_csx_kernelILi512ELi8EL20rocsparse_direction_0EDF16_llDF16_DF16_DF16_EEv20rocsparse_operation_S2_16rocsparse_order_S3_T4_S4_S4_T3_NS_24const_host_device_scalarIT2_EEPKT5_lPKT6_lS8_PT7_PKS5_PKS4_21rocsparse_index_base_b.has_recursion, 0
	.set _ZN9rocsparseL16sddmm_csx_kernelILi512ELi8EL20rocsparse_direction_0EDF16_llDF16_DF16_DF16_EEv20rocsparse_operation_S2_16rocsparse_order_S3_T4_S4_S4_T3_NS_24const_host_device_scalarIT2_EEPKT5_lPKT6_lS8_PT7_PKS5_PKS4_21rocsparse_index_base_b.has_indirect_call, 0
	.section	.AMDGPU.csdata,"",@progbits
; Kernel info:
; codeLenInByte = 1188
; TotalNumSgprs: 42
; NumVgprs: 23
; NumAgprs: 0
; TotalNumVgprs: 23
; ScratchSize: 0
; MemoryBound: 0
; FloatMode: 240
; IeeeMode: 1
; LDSByteSize: 1024 bytes/workgroup (compile time only)
; SGPRBlocks: 5
; VGPRBlocks: 2
; NumSGPRsForWavesPerEU: 42
; NumVGPRsForWavesPerEU: 23
; AccumOffset: 24
; Occupancy: 8
; WaveLimiterHint : 0
; COMPUTE_PGM_RSRC2:SCRATCH_EN: 0
; COMPUTE_PGM_RSRC2:USER_SGPR: 2
; COMPUTE_PGM_RSRC2:TRAP_HANDLER: 0
; COMPUTE_PGM_RSRC2:TGID_X_EN: 1
; COMPUTE_PGM_RSRC2:TGID_Y_EN: 0
; COMPUTE_PGM_RSRC2:TGID_Z_EN: 0
; COMPUTE_PGM_RSRC2:TIDIG_COMP_CNT: 0
; COMPUTE_PGM_RSRC3_GFX90A:ACCUM_OFFSET: 5
; COMPUTE_PGM_RSRC3_GFX90A:TG_SPLIT: 0
	.section	.text._ZN9rocsparseL16sddmm_csx_kernelILi512ELi4EL20rocsparse_direction_0EDF16_llDF16_DF16_DF16_EEv20rocsparse_operation_S2_16rocsparse_order_S3_T4_S4_S4_T3_NS_24const_host_device_scalarIT2_EEPKT5_lPKT6_lS8_PT7_PKS5_PKS4_21rocsparse_index_base_b,"axG",@progbits,_ZN9rocsparseL16sddmm_csx_kernelILi512ELi4EL20rocsparse_direction_0EDF16_llDF16_DF16_DF16_EEv20rocsparse_operation_S2_16rocsparse_order_S3_T4_S4_S4_T3_NS_24const_host_device_scalarIT2_EEPKT5_lPKT6_lS8_PT7_PKS5_PKS4_21rocsparse_index_base_b,comdat
	.globl	_ZN9rocsparseL16sddmm_csx_kernelILi512ELi4EL20rocsparse_direction_0EDF16_llDF16_DF16_DF16_EEv20rocsparse_operation_S2_16rocsparse_order_S3_T4_S4_S4_T3_NS_24const_host_device_scalarIT2_EEPKT5_lPKT6_lS8_PT7_PKS5_PKS4_21rocsparse_index_base_b ; -- Begin function _ZN9rocsparseL16sddmm_csx_kernelILi512ELi4EL20rocsparse_direction_0EDF16_llDF16_DF16_DF16_EEv20rocsparse_operation_S2_16rocsparse_order_S3_T4_S4_S4_T3_NS_24const_host_device_scalarIT2_EEPKT5_lPKT6_lS8_PT7_PKS5_PKS4_21rocsparse_index_base_b
	.p2align	8
	.type	_ZN9rocsparseL16sddmm_csx_kernelILi512ELi4EL20rocsparse_direction_0EDF16_llDF16_DF16_DF16_EEv20rocsparse_operation_S2_16rocsparse_order_S3_T4_S4_S4_T3_NS_24const_host_device_scalarIT2_EEPKT5_lPKT6_lS8_PT7_PKS5_PKS4_21rocsparse_index_base_b,@function
_ZN9rocsparseL16sddmm_csx_kernelILi512ELi4EL20rocsparse_direction_0EDF16_llDF16_DF16_DF16_EEv20rocsparse_operation_S2_16rocsparse_order_S3_T4_S4_S4_T3_NS_24const_host_device_scalarIT2_EEPKT5_lPKT6_lS8_PT7_PKS5_PKS4_21rocsparse_index_base_b: ; @_ZN9rocsparseL16sddmm_csx_kernelILi512ELi4EL20rocsparse_direction_0EDF16_llDF16_DF16_DF16_EEv20rocsparse_operation_S2_16rocsparse_order_S3_T4_S4_S4_T3_NS_24const_host_device_scalarIT2_EEPKT5_lPKT6_lS8_PT7_PKS5_PKS4_21rocsparse_index_base_b
; %bb.0:
	s_load_dwordx2 s[16:17], s[0:1], 0x78
	s_load_dwordx2 s[6:7], s[0:1], 0x30
	s_load_dwordx4 s[12:15], s[0:1], 0x50
	s_waitcnt lgkmcnt(0)
	s_bitcmp1_b32 s17, 0
	s_cselect_b64 s[8:9], -1, 0
	s_xor_b64 s[4:5], s[8:9], -1
	s_and_b64 vcc, exec, s[8:9]
	v_mov_b32_e32 v16, s6
	s_cbranch_vccnz .LBB162_2
; %bb.1:
	v_mov_b32_e32 v1, 0
	global_load_ushort v16, v1, s[6:7]
.LBB162_2:
	s_andn2_b64 vcc, exec, s[4:5]
	v_mov_b32_e32 v17, s14
	s_cbranch_vccnz .LBB162_4
; %bb.3:
	v_mov_b32_e32 v1, 0
	global_load_ushort v17, v1, s[14:15]
.LBB162_4:
	s_waitcnt vmcnt(0)
	v_cmp_eq_f16_e32 vcc, 0, v16
	v_cmp_eq_f16_e64 s[4:5], 1.0, v17
	s_and_b64 s[4:5], vcc, s[4:5]
	s_and_b64 vcc, exec, s[4:5]
	s_cbranch_vccnz .LBB162_34
; %bb.5:
	s_load_dwordx2 s[4:5], s[0:1], 0x10
	v_lshrrev_b32_e32 v6, 2, v0
	v_lshl_or_b32 v2, s2, 7, v6
	v_mov_b32_e32 v3, 0
	s_waitcnt lgkmcnt(0)
	v_cmp_gt_i64_e32 vcc, s[4:5], v[2:3]
	s_and_saveexec_b64 s[2:3], vcc
	s_cbranch_execz .LBB162_34
; %bb.6:
	s_load_dwordx4 s[4:7], s[0:1], 0x0
	s_load_dwordx2 s[14:15], s[0:1], 0x68
	s_load_dwordx2 s[2:3], s[0:1], 0x40
	s_waitcnt lgkmcnt(0)
	s_cmp_eq_u32 s6, 1
	s_cselect_b64 s[8:9], -1, 0
	s_cmpk_eq_i32 s4, 0x6f
	s_cselect_b64 s[10:11], -1, 0
	s_cmpk_lg_i32 s4, 0x6f
	s_cselect_b64 s[18:19], -1, 0
	s_cmp_lg_u32 s6, 1
	s_cbranch_scc0 .LBB162_10
; %bb.7:
	s_andn2_b64 vcc, exec, s[10:11]
	v_mov_b64_e32 v[8:9], v[2:3]
	s_cbranch_vccnz .LBB162_9
; %bb.8:
	v_mad_u64_u32 v[8:9], s[20:21], s2, v2, 0
	v_mov_b32_e32 v4, v9
	v_mad_u64_u32 v[4:5], s[20:21], s3, v2, v[4:5]
	v_mov_b32_e32 v9, v4
.LBB162_9:
	s_cbranch_execz .LBB162_11
	s_branch .LBB162_13
.LBB162_10:
                                        ; implicit-def: $vgpr8_vgpr9
.LBB162_11:
	s_andn2_b64 vcc, exec, s[18:19]
	v_mov_b64_e32 v[8:9], v[2:3]
	s_cbranch_vccnz .LBB162_13
; %bb.12:
	v_mad_u64_u32 v[8:9], s[18:19], s2, v2, 0
	v_mov_b32_e32 v4, v9
	v_mad_u64_u32 v[4:5], s[18:19], s3, v2, v[4:5]
	v_mov_b32_e32 v9, v4
.LBB162_13:
	v_lshl_add_u64 v[2:3], v[2:3], 3, s[14:15]
	global_load_dwordx4 v[2:5], v[2:3], off
	s_waitcnt vmcnt(0)
	v_cmp_lt_i64_e32 vcc, v[2:3], v[4:5]
	s_and_b64 exec, exec, vcc
	s_cbranch_execz .LBB162_34
; %bb.14:
	s_xor_b64 s[8:9], s[10:11], s[8:9]
	s_and_b64 s[8:9], s[8:9], exec
	s_cselect_b32 s9, 0, s3
	s_cselect_b32 s8, 1, s2
	s_cmp_lg_u32 s7, 1
	s_cselect_b64 s[18:19], -1, 0
	s_cmp_eq_u32 s7, 1
	s_cselect_b64 s[2:3], -1, 0
	s_cmpk_eq_i32 s5, 0x6f
	s_cselect_b64 s[6:7], -1, 0
	s_cmpk_lg_i32 s5, 0x6f
	s_cselect_b64 s[10:11], -1, 0
	s_xor_b64 s[2:3], s[6:7], s[2:3]
	s_and_b64 s[2:3], s[2:3], exec
	v_cndmask_b32_e64 v14, 0, 1, s[6:7]
	s_cselect_b32 s6, s12, 1
	v_and_b32_e32 v0, 3, v0
	v_lshlrev_b32_e32 v18, 3, v6
	v_mad_u64_u32 v[6:7], s[28:29], s6, v0, 0
	s_cselect_b32 s7, s13, 0
	v_mov_b32_e32 v10, v7
	s_load_dwordx2 s[24:25], s[0:1], 0x48
	s_load_dwordx2 s[20:21], s[0:1], 0x60
	;; [unrolled: 1-line block ×4, first 2 shown]
	v_mad_u64_u32 v[10:11], s[28:29], s7, v0, v[10:11]
	v_mov_b32_e32 v7, v10
	s_waitcnt lgkmcnt(0)
	v_lshl_add_u64 v[6:7], v[6:7], 1, s[24:25]
	s_lshl_b64 s[24:25], s[6:7], 3
	v_mad_u64_u32 v[10:11], s[6:7], s8, v0, 0
	s_load_dwordx2 s[14:15], s[0:1], 0x70
	v_mov_b32_e32 v12, v11
	v_subrev_co_u32_e32 v2, vcc, s16, v2
	v_mad_u64_u32 v[12:13], s[6:7], s9, v0, v[12:13]
	s_nop 0
	v_subbrev_co_u32_e32 v3, vcc, 0, v3, vcc
	v_mov_b32_e32 v11, v12
	v_lshlrev_b64 v[8:9], 1, v[8:9]
	v_mov_b32_e32 v1, 0
	v_subrev_co_u32_e32 v4, vcc, s16, v4
	v_lshl_add_u64 v[8:9], v[10:11], 1, v[8:9]
	v_cndmask_b32_e64 v10, 0, 1, s[10:11]
	v_cmp_gt_i64_e64 s[0:1], s[22:23], v[0:1]
	v_lshl_or_b32 v19, v0, 1, v18
	v_cmp_eq_u32_e64 s[2:3], 0, v0
	v_cmp_gt_u32_e64 s[4:5], 2, v0
	v_subbrev_co_u32_e32 v5, vcc, 0, v5, vcc
	v_lshl_add_u64 v[8:9], s[26:27], 0, v[8:9]
	s_lshl_b64 s[26:27], s[8:9], 3
	s_mov_b64 s[28:29], 0
	v_cmp_ne_u32_e64 s[6:7], 1, v10
	v_cmp_ne_u32_e64 s[8:9], 1, v14
	s_branch .LBB162_16
.LBB162_15:                             ;   in Loop: Header=BB162_16 Depth=1
	s_or_b64 exec, exec, s[10:11]
	v_lshl_add_u64 v[2:3], v[2:3], 0, 1
	v_cmp_ge_i64_e32 vcc, v[2:3], v[4:5]
	s_or_b64 s[28:29], vcc, s[28:29]
	s_andn2_b64 exec, exec, s[28:29]
	s_cbranch_execz .LBB162_34
.LBB162_16:                             ; =>This Loop Header: Depth=1
                                        ;     Child Loop BB162_26 Depth 2
	s_waitcnt lgkmcnt(0)
	v_lshl_add_u64 v[10:11], v[2:3], 3, s[14:15]
	global_load_dwordx2 v[10:11], v[10:11], off
	s_mov_b64 s[30:31], -1
	s_and_b64 vcc, exec, s[18:19]
                                        ; implicit-def: $vgpr12_vgpr13
	s_waitcnt vmcnt(0)
	v_subrev_co_u32_e64 v10, s[10:11], s16, v10
	s_nop 1
	v_subbrev_co_u32_e64 v11, s[10:11], 0, v11, s[10:11]
	s_cbranch_vccnz .LBB162_19
; %bb.17:                               ;   in Loop: Header=BB162_16 Depth=1
	s_andn2_b64 vcc, exec, s[30:31]
	s_cbranch_vccz .LBB162_22
.LBB162_18:                             ;   in Loop: Header=BB162_16 Depth=1
	v_mov_b32_e32 v20, 0
	s_and_saveexec_b64 s[10:11], s[0:1]
	s_cbranch_execnz .LBB162_25
	s_branch .LBB162_28
.LBB162_19:                             ;   in Loop: Header=BB162_16 Depth=1
	s_and_b64 vcc, exec, s[6:7]
	v_mov_b64_e32 v[12:13], v[10:11]
	s_cbranch_vccnz .LBB162_21
; %bb.20:                               ;   in Loop: Header=BB162_16 Depth=1
	v_mul_lo_u32 v14, v11, s12
	v_mul_lo_u32 v15, v10, s13
	v_mad_u64_u32 v[12:13], s[10:11], v10, s12, 0
	v_add3_u32 v13, v13, v15, v14
.LBB162_21:                             ;   in Loop: Header=BB162_16 Depth=1
	s_cbranch_execnz .LBB162_18
.LBB162_22:                             ;   in Loop: Header=BB162_16 Depth=1
	s_and_b64 vcc, exec, s[8:9]
	s_cbranch_vccnz .LBB162_24
; %bb.23:                               ;   in Loop: Header=BB162_16 Depth=1
	v_mul_lo_u32 v12, v11, s12
	v_mul_lo_u32 v13, v10, s13
	v_mad_u64_u32 v[10:11], s[10:11], v10, s12, 0
	v_add3_u32 v11, v11, v13, v12
.LBB162_24:                             ;   in Loop: Header=BB162_16 Depth=1
	v_mov_b64_e32 v[12:13], v[10:11]
	v_mov_b32_e32 v20, 0
	s_and_saveexec_b64 s[10:11], s[0:1]
	s_cbranch_execz .LBB162_28
.LBB162_25:                             ;   in Loop: Header=BB162_16 Depth=1
	v_lshl_add_u64 v[10:11], v[12:13], 1, v[6:7]
	v_mov_b32_e32 v20, 0
	s_mov_b64 s[30:31], 0
	v_mov_b64_e32 v[12:13], v[8:9]
	v_mov_b64_e32 v[14:15], v[0:1]
.LBB162_26:                             ;   Parent Loop BB162_16 Depth=1
                                        ; =>  This Inner Loop Header: Depth=2
	global_load_ushort v21, v[12:13], off
	global_load_ushort v22, v[10:11], off
	v_lshl_add_u64 v[14:15], v[14:15], 0, 4
	v_cmp_le_i64_e32 vcc, s[22:23], v[14:15]
	v_lshl_add_u64 v[10:11], v[10:11], 0, s[24:25]
	v_lshl_add_u64 v[12:13], v[12:13], 0, s[26:27]
	s_or_b64 s[30:31], vcc, s[30:31]
	s_waitcnt vmcnt(0)
	v_fma_f16 v20, v21, v22, v20
	s_andn2_b64 exec, exec, s[30:31]
	s_cbranch_execnz .LBB162_26
; %bb.27:                               ;   in Loop: Header=BB162_16 Depth=1
	s_or_b64 exec, exec, s[30:31]
.LBB162_28:                             ;   in Loop: Header=BB162_16 Depth=1
	s_or_b64 exec, exec, s[10:11]
	ds_write_b16 v19, v20
	s_waitcnt lgkmcnt(0)
	s_barrier
	s_and_saveexec_b64 s[10:11], s[4:5]
	s_cbranch_execz .LBB162_30
; %bb.29:                               ;   in Loop: Header=BB162_16 Depth=1
	ds_read_u16 v10, v19
	ds_read_u16 v11, v19 offset:4
	s_waitcnt lgkmcnt(0)
	v_add_f16_e32 v10, v11, v10
	ds_write_b16 v19, v10
.LBB162_30:                             ;   in Loop: Header=BB162_16 Depth=1
	s_or_b64 exec, exec, s[10:11]
	s_waitcnt lgkmcnt(0)
	s_barrier
	s_and_saveexec_b64 s[10:11], s[2:3]
	s_cbranch_execz .LBB162_32
; %bb.31:                               ;   in Loop: Header=BB162_16 Depth=1
	ds_read_u16 v10, v19
	ds_read_u16 v11, v19 offset:2
	s_waitcnt lgkmcnt(0)
	v_add_f16_e32 v10, v11, v10
	ds_write_b16 v19, v10
.LBB162_32:                             ;   in Loop: Header=BB162_16 Depth=1
	s_or_b64 exec, exec, s[10:11]
	s_waitcnt lgkmcnt(0)
	s_barrier
	s_and_saveexec_b64 s[10:11], s[2:3]
	s_cbranch_execz .LBB162_15
; %bb.33:                               ;   in Loop: Header=BB162_16 Depth=1
	v_lshl_add_u64 v[10:11], v[2:3], 1, s[20:21]
	global_load_ushort v12, v[10:11], off
	ds_read_u16 v13, v18
	s_waitcnt lgkmcnt(0)
	v_mul_f16_e32 v13, v16, v13
	s_waitcnt vmcnt(0)
	v_fma_f16 v12, v17, v12, v13
	global_store_short v[10:11], v12, off
	s_branch .LBB162_15
.LBB162_34:
	s_endpgm
	.section	.rodata,"a",@progbits
	.p2align	6, 0x0
	.amdhsa_kernel _ZN9rocsparseL16sddmm_csx_kernelILi512ELi4EL20rocsparse_direction_0EDF16_llDF16_DF16_DF16_EEv20rocsparse_operation_S2_16rocsparse_order_S3_T4_S4_S4_T3_NS_24const_host_device_scalarIT2_EEPKT5_lPKT6_lS8_PT7_PKS5_PKS4_21rocsparse_index_base_b
		.amdhsa_group_segment_fixed_size 1024
		.amdhsa_private_segment_fixed_size 0
		.amdhsa_kernarg_size 128
		.amdhsa_user_sgpr_count 2
		.amdhsa_user_sgpr_dispatch_ptr 0
		.amdhsa_user_sgpr_queue_ptr 0
		.amdhsa_user_sgpr_kernarg_segment_ptr 1
		.amdhsa_user_sgpr_dispatch_id 0
		.amdhsa_user_sgpr_kernarg_preload_length 0
		.amdhsa_user_sgpr_kernarg_preload_offset 0
		.amdhsa_user_sgpr_private_segment_size 0
		.amdhsa_uses_dynamic_stack 0
		.amdhsa_enable_private_segment 0
		.amdhsa_system_sgpr_workgroup_id_x 1
		.amdhsa_system_sgpr_workgroup_id_y 0
		.amdhsa_system_sgpr_workgroup_id_z 0
		.amdhsa_system_sgpr_workgroup_info 0
		.amdhsa_system_vgpr_workitem_id 0
		.amdhsa_next_free_vgpr 23
		.amdhsa_next_free_sgpr 32
		.amdhsa_accum_offset 24
		.amdhsa_reserve_vcc 1
		.amdhsa_float_round_mode_32 0
		.amdhsa_float_round_mode_16_64 0
		.amdhsa_float_denorm_mode_32 3
		.amdhsa_float_denorm_mode_16_64 3
		.amdhsa_dx10_clamp 1
		.amdhsa_ieee_mode 1
		.amdhsa_fp16_overflow 0
		.amdhsa_tg_split 0
		.amdhsa_exception_fp_ieee_invalid_op 0
		.amdhsa_exception_fp_denorm_src 0
		.amdhsa_exception_fp_ieee_div_zero 0
		.amdhsa_exception_fp_ieee_overflow 0
		.amdhsa_exception_fp_ieee_underflow 0
		.amdhsa_exception_fp_ieee_inexact 0
		.amdhsa_exception_int_div_zero 0
	.end_amdhsa_kernel
	.section	.text._ZN9rocsparseL16sddmm_csx_kernelILi512ELi4EL20rocsparse_direction_0EDF16_llDF16_DF16_DF16_EEv20rocsparse_operation_S2_16rocsparse_order_S3_T4_S4_S4_T3_NS_24const_host_device_scalarIT2_EEPKT5_lPKT6_lS8_PT7_PKS5_PKS4_21rocsparse_index_base_b,"axG",@progbits,_ZN9rocsparseL16sddmm_csx_kernelILi512ELi4EL20rocsparse_direction_0EDF16_llDF16_DF16_DF16_EEv20rocsparse_operation_S2_16rocsparse_order_S3_T4_S4_S4_T3_NS_24const_host_device_scalarIT2_EEPKT5_lPKT6_lS8_PT7_PKS5_PKS4_21rocsparse_index_base_b,comdat
.Lfunc_end162:
	.size	_ZN9rocsparseL16sddmm_csx_kernelILi512ELi4EL20rocsparse_direction_0EDF16_llDF16_DF16_DF16_EEv20rocsparse_operation_S2_16rocsparse_order_S3_T4_S4_S4_T3_NS_24const_host_device_scalarIT2_EEPKT5_lPKT6_lS8_PT7_PKS5_PKS4_21rocsparse_index_base_b, .Lfunc_end162-_ZN9rocsparseL16sddmm_csx_kernelILi512ELi4EL20rocsparse_direction_0EDF16_llDF16_DF16_DF16_EEv20rocsparse_operation_S2_16rocsparse_order_S3_T4_S4_S4_T3_NS_24const_host_device_scalarIT2_EEPKT5_lPKT6_lS8_PT7_PKS5_PKS4_21rocsparse_index_base_b
                                        ; -- End function
	.set _ZN9rocsparseL16sddmm_csx_kernelILi512ELi4EL20rocsparse_direction_0EDF16_llDF16_DF16_DF16_EEv20rocsparse_operation_S2_16rocsparse_order_S3_T4_S4_S4_T3_NS_24const_host_device_scalarIT2_EEPKT5_lPKT6_lS8_PT7_PKS5_PKS4_21rocsparse_index_base_b.num_vgpr, 23
	.set _ZN9rocsparseL16sddmm_csx_kernelILi512ELi4EL20rocsparse_direction_0EDF16_llDF16_DF16_DF16_EEv20rocsparse_operation_S2_16rocsparse_order_S3_T4_S4_S4_T3_NS_24const_host_device_scalarIT2_EEPKT5_lPKT6_lS8_PT7_PKS5_PKS4_21rocsparse_index_base_b.num_agpr, 0
	.set _ZN9rocsparseL16sddmm_csx_kernelILi512ELi4EL20rocsparse_direction_0EDF16_llDF16_DF16_DF16_EEv20rocsparse_operation_S2_16rocsparse_order_S3_T4_S4_S4_T3_NS_24const_host_device_scalarIT2_EEPKT5_lPKT6_lS8_PT7_PKS5_PKS4_21rocsparse_index_base_b.numbered_sgpr, 32
	.set _ZN9rocsparseL16sddmm_csx_kernelILi512ELi4EL20rocsparse_direction_0EDF16_llDF16_DF16_DF16_EEv20rocsparse_operation_S2_16rocsparse_order_S3_T4_S4_S4_T3_NS_24const_host_device_scalarIT2_EEPKT5_lPKT6_lS8_PT7_PKS5_PKS4_21rocsparse_index_base_b.num_named_barrier, 0
	.set _ZN9rocsparseL16sddmm_csx_kernelILi512ELi4EL20rocsparse_direction_0EDF16_llDF16_DF16_DF16_EEv20rocsparse_operation_S2_16rocsparse_order_S3_T4_S4_S4_T3_NS_24const_host_device_scalarIT2_EEPKT5_lPKT6_lS8_PT7_PKS5_PKS4_21rocsparse_index_base_b.private_seg_size, 0
	.set _ZN9rocsparseL16sddmm_csx_kernelILi512ELi4EL20rocsparse_direction_0EDF16_llDF16_DF16_DF16_EEv20rocsparse_operation_S2_16rocsparse_order_S3_T4_S4_S4_T3_NS_24const_host_device_scalarIT2_EEPKT5_lPKT6_lS8_PT7_PKS5_PKS4_21rocsparse_index_base_b.uses_vcc, 1
	.set _ZN9rocsparseL16sddmm_csx_kernelILi512ELi4EL20rocsparse_direction_0EDF16_llDF16_DF16_DF16_EEv20rocsparse_operation_S2_16rocsparse_order_S3_T4_S4_S4_T3_NS_24const_host_device_scalarIT2_EEPKT5_lPKT6_lS8_PT7_PKS5_PKS4_21rocsparse_index_base_b.uses_flat_scratch, 0
	.set _ZN9rocsparseL16sddmm_csx_kernelILi512ELi4EL20rocsparse_direction_0EDF16_llDF16_DF16_DF16_EEv20rocsparse_operation_S2_16rocsparse_order_S3_T4_S4_S4_T3_NS_24const_host_device_scalarIT2_EEPKT5_lPKT6_lS8_PT7_PKS5_PKS4_21rocsparse_index_base_b.has_dyn_sized_stack, 0
	.set _ZN9rocsparseL16sddmm_csx_kernelILi512ELi4EL20rocsparse_direction_0EDF16_llDF16_DF16_DF16_EEv20rocsparse_operation_S2_16rocsparse_order_S3_T4_S4_S4_T3_NS_24const_host_device_scalarIT2_EEPKT5_lPKT6_lS8_PT7_PKS5_PKS4_21rocsparse_index_base_b.has_recursion, 0
	.set _ZN9rocsparseL16sddmm_csx_kernelILi512ELi4EL20rocsparse_direction_0EDF16_llDF16_DF16_DF16_EEv20rocsparse_operation_S2_16rocsparse_order_S3_T4_S4_S4_T3_NS_24const_host_device_scalarIT2_EEPKT5_lPKT6_lS8_PT7_PKS5_PKS4_21rocsparse_index_base_b.has_indirect_call, 0
	.section	.AMDGPU.csdata,"",@progbits
; Kernel info:
; codeLenInByte = 1128
; TotalNumSgprs: 38
; NumVgprs: 23
; NumAgprs: 0
; TotalNumVgprs: 23
; ScratchSize: 0
; MemoryBound: 0
; FloatMode: 240
; IeeeMode: 1
; LDSByteSize: 1024 bytes/workgroup (compile time only)
; SGPRBlocks: 4
; VGPRBlocks: 2
; NumSGPRsForWavesPerEU: 38
; NumVGPRsForWavesPerEU: 23
; AccumOffset: 24
; Occupancy: 8
; WaveLimiterHint : 0
; COMPUTE_PGM_RSRC2:SCRATCH_EN: 0
; COMPUTE_PGM_RSRC2:USER_SGPR: 2
; COMPUTE_PGM_RSRC2:TRAP_HANDLER: 0
; COMPUTE_PGM_RSRC2:TGID_X_EN: 1
; COMPUTE_PGM_RSRC2:TGID_Y_EN: 0
; COMPUTE_PGM_RSRC2:TGID_Z_EN: 0
; COMPUTE_PGM_RSRC2:TIDIG_COMP_CNT: 0
; COMPUTE_PGM_RSRC3_GFX90A:ACCUM_OFFSET: 5
; COMPUTE_PGM_RSRC3_GFX90A:TG_SPLIT: 0
	.section	.text._ZN9rocsparseL16sddmm_csx_kernelILi512ELi2EL20rocsparse_direction_0EDF16_llDF16_DF16_DF16_EEv20rocsparse_operation_S2_16rocsparse_order_S3_T4_S4_S4_T3_NS_24const_host_device_scalarIT2_EEPKT5_lPKT6_lS8_PT7_PKS5_PKS4_21rocsparse_index_base_b,"axG",@progbits,_ZN9rocsparseL16sddmm_csx_kernelILi512ELi2EL20rocsparse_direction_0EDF16_llDF16_DF16_DF16_EEv20rocsparse_operation_S2_16rocsparse_order_S3_T4_S4_S4_T3_NS_24const_host_device_scalarIT2_EEPKT5_lPKT6_lS8_PT7_PKS5_PKS4_21rocsparse_index_base_b,comdat
	.globl	_ZN9rocsparseL16sddmm_csx_kernelILi512ELi2EL20rocsparse_direction_0EDF16_llDF16_DF16_DF16_EEv20rocsparse_operation_S2_16rocsparse_order_S3_T4_S4_S4_T3_NS_24const_host_device_scalarIT2_EEPKT5_lPKT6_lS8_PT7_PKS5_PKS4_21rocsparse_index_base_b ; -- Begin function _ZN9rocsparseL16sddmm_csx_kernelILi512ELi2EL20rocsparse_direction_0EDF16_llDF16_DF16_DF16_EEv20rocsparse_operation_S2_16rocsparse_order_S3_T4_S4_S4_T3_NS_24const_host_device_scalarIT2_EEPKT5_lPKT6_lS8_PT7_PKS5_PKS4_21rocsparse_index_base_b
	.p2align	8
	.type	_ZN9rocsparseL16sddmm_csx_kernelILi512ELi2EL20rocsparse_direction_0EDF16_llDF16_DF16_DF16_EEv20rocsparse_operation_S2_16rocsparse_order_S3_T4_S4_S4_T3_NS_24const_host_device_scalarIT2_EEPKT5_lPKT6_lS8_PT7_PKS5_PKS4_21rocsparse_index_base_b,@function
_ZN9rocsparseL16sddmm_csx_kernelILi512ELi2EL20rocsparse_direction_0EDF16_llDF16_DF16_DF16_EEv20rocsparse_operation_S2_16rocsparse_order_S3_T4_S4_S4_T3_NS_24const_host_device_scalarIT2_EEPKT5_lPKT6_lS8_PT7_PKS5_PKS4_21rocsparse_index_base_b: ; @_ZN9rocsparseL16sddmm_csx_kernelILi512ELi2EL20rocsparse_direction_0EDF16_llDF16_DF16_DF16_EEv20rocsparse_operation_S2_16rocsparse_order_S3_T4_S4_S4_T3_NS_24const_host_device_scalarIT2_EEPKT5_lPKT6_lS8_PT7_PKS5_PKS4_21rocsparse_index_base_b
; %bb.0:
	s_load_dwordx2 s[10:11], s[0:1], 0x78
	s_load_dwordx2 s[6:7], s[0:1], 0x30
	s_load_dwordx4 s[12:15], s[0:1], 0x50
	s_waitcnt lgkmcnt(0)
	s_bitcmp1_b32 s11, 0
	s_cselect_b64 s[8:9], -1, 0
	s_xor_b64 s[4:5], s[8:9], -1
	s_and_b64 vcc, exec, s[8:9]
	v_mov_b32_e32 v16, s6
	s_cbranch_vccnz .LBB163_2
; %bb.1:
	v_mov_b32_e32 v1, 0
	global_load_ushort v16, v1, s[6:7]
.LBB163_2:
	s_andn2_b64 vcc, exec, s[4:5]
	v_mov_b32_e32 v17, s14
	s_cbranch_vccnz .LBB163_4
; %bb.3:
	v_mov_b32_e32 v1, 0
	global_load_ushort v17, v1, s[14:15]
.LBB163_4:
	s_waitcnt vmcnt(0)
	v_cmp_eq_f16_e32 vcc, 0, v16
	v_cmp_eq_f16_e64 s[4:5], 1.0, v17
	s_and_b64 s[4:5], vcc, s[4:5]
	s_and_b64 vcc, exec, s[4:5]
	s_cbranch_vccnz .LBB163_32
; %bb.5:
	s_load_dwordx2 s[4:5], s[0:1], 0x10
	v_lshrrev_b32_e32 v6, 1, v0
	v_lshl_or_b32 v2, s2, 8, v6
	v_mov_b32_e32 v3, 0
	s_waitcnt lgkmcnt(0)
	v_cmp_gt_i64_e32 vcc, s[4:5], v[2:3]
	s_and_saveexec_b64 s[2:3], vcc
	s_cbranch_execz .LBB163_32
; %bb.6:
	s_load_dwordx4 s[4:7], s[0:1], 0x0
	s_load_dwordx2 s[14:15], s[0:1], 0x68
	s_load_dwordx2 s[2:3], s[0:1], 0x40
	s_waitcnt lgkmcnt(0)
	s_cmp_eq_u32 s6, 1
	s_cselect_b64 s[8:9], -1, 0
	s_cmpk_eq_i32 s4, 0x6f
	s_cselect_b64 s[16:17], -1, 0
	s_cmpk_lg_i32 s4, 0x6f
	s_cselect_b64 s[18:19], -1, 0
	s_cmp_lg_u32 s6, 1
	s_cbranch_scc0 .LBB163_10
; %bb.7:
	s_andn2_b64 vcc, exec, s[16:17]
	v_mov_b64_e32 v[8:9], v[2:3]
	s_cbranch_vccnz .LBB163_9
; %bb.8:
	v_mad_u64_u32 v[8:9], s[20:21], s2, v2, 0
	v_mov_b32_e32 v4, v9
	v_mad_u64_u32 v[4:5], s[20:21], s3, v2, v[4:5]
	v_mov_b32_e32 v9, v4
.LBB163_9:
	s_cbranch_execz .LBB163_11
	s_branch .LBB163_13
.LBB163_10:
                                        ; implicit-def: $vgpr8_vgpr9
.LBB163_11:
	s_andn2_b64 vcc, exec, s[18:19]
	v_mov_b64_e32 v[8:9], v[2:3]
	s_cbranch_vccnz .LBB163_13
; %bb.12:
	v_mad_u64_u32 v[8:9], s[18:19], s2, v2, 0
	v_mov_b32_e32 v4, v9
	v_mad_u64_u32 v[4:5], s[18:19], s3, v2, v[4:5]
	v_mov_b32_e32 v9, v4
.LBB163_13:
	v_lshl_add_u64 v[2:3], v[2:3], 3, s[14:15]
	global_load_dwordx4 v[2:5], v[2:3], off
	s_waitcnt vmcnt(0)
	v_cmp_lt_i64_e32 vcc, v[2:3], v[4:5]
	s_and_b64 exec, exec, vcc
	s_cbranch_execz .LBB163_32
; %bb.14:
	s_xor_b64 s[8:9], s[16:17], s[8:9]
	s_and_b64 s[8:9], s[8:9], exec
	s_cselect_b32 s9, 0, s3
	s_cselect_b32 s8, 1, s2
	s_cmp_lg_u32 s7, 1
	s_cselect_b64 s[16:17], -1, 0
	s_cmp_eq_u32 s7, 1
	s_cselect_b64 s[2:3], -1, 0
	s_cmpk_eq_i32 s5, 0x6f
	s_cselect_b64 s[6:7], -1, 0
	s_cmpk_lg_i32 s5, 0x6f
	s_load_dwordx2 s[22:23], s[0:1], 0x48
	s_load_dwordx2 s[18:19], s[0:1], 0x60
	;; [unrolled: 1-line block ×5, first 2 shown]
	s_cselect_b64 s[4:5], -1, 0
	s_xor_b64 s[2:3], s[6:7], s[2:3]
	s_and_b64 s[2:3], s[2:3], exec
	v_and_b32_e32 v0, 1, v0
	v_subrev_co_u32_e32 v2, vcc, s10, v2
	v_cndmask_b32_e64 v12, 0, 1, s[6:7]
	s_cselect_b32 s7, s13, 0
	s_cselect_b32 s6, s12, 1
	v_subbrev_co_u32_e32 v3, vcc, 0, v3, vcc
	v_mul_lo_u32 v11, s9, v0
	v_mul_lo_u32 v10, s8, v0
	v_lshlrev_b64 v[8:9], 1, v[8:9]
	v_mov_b32_e32 v1, 0
	v_lshlrev_b32_e32 v18, 2, v6
	v_subrev_co_u32_e32 v4, vcc, s10, v4
	v_mul_lo_u32 v7, s7, v0
	v_mul_lo_u32 v6, s6, v0
	v_lshl_add_u64 v[8:9], v[10:11], 1, v[8:9]
	v_cndmask_b32_e64 v10, 0, 1, s[4:5]
	s_waitcnt lgkmcnt(0)
	v_cmp_gt_i64_e64 s[0:1], s[20:21], v[0:1]
	v_lshl_or_b32 v19, v0, 1, v18
	v_cmp_eq_u32_e64 s[2:3], 0, v0
	v_subbrev_co_u32_e32 v5, vcc, 0, v5, vcc
	v_lshl_add_u64 v[6:7], v[6:7], 1, s[22:23]
	s_lshl_b64 s[22:23], s[6:7], 2
	v_lshl_add_u64 v[8:9], s[24:25], 0, v[8:9]
	s_lshl_b64 s[24:25], s[8:9], 2
	s_mov_b64 s[26:27], 0
	v_cmp_ne_u32_e64 s[4:5], 1, v10
	v_cmp_ne_u32_e64 s[6:7], 1, v12
	s_branch .LBB163_16
.LBB163_15:                             ;   in Loop: Header=BB163_16 Depth=1
	s_or_b64 exec, exec, s[8:9]
	v_lshl_add_u64 v[2:3], v[2:3], 0, 1
	v_cmp_ge_i64_e32 vcc, v[2:3], v[4:5]
	s_or_b64 s[26:27], vcc, s[26:27]
	s_andn2_b64 exec, exec, s[26:27]
	s_cbranch_execz .LBB163_32
.LBB163_16:                             ; =>This Loop Header: Depth=1
                                        ;     Child Loop BB163_26 Depth 2
	v_lshl_add_u64 v[10:11], v[2:3], 3, s[14:15]
	global_load_dwordx2 v[10:11], v[10:11], off
	s_mov_b64 s[28:29], -1
	s_and_b64 vcc, exec, s[16:17]
                                        ; implicit-def: $vgpr12_vgpr13
	s_waitcnt vmcnt(0)
	v_subrev_co_u32_e64 v10, s[8:9], s10, v10
	s_nop 1
	v_subbrev_co_u32_e64 v11, s[8:9], 0, v11, s[8:9]
	s_cbranch_vccnz .LBB163_19
; %bb.17:                               ;   in Loop: Header=BB163_16 Depth=1
	s_andn2_b64 vcc, exec, s[28:29]
	s_cbranch_vccz .LBB163_22
.LBB163_18:                             ;   in Loop: Header=BB163_16 Depth=1
	v_mov_b32_e32 v20, 0
	s_and_saveexec_b64 s[8:9], s[0:1]
	s_cbranch_execnz .LBB163_25
	s_branch .LBB163_28
.LBB163_19:                             ;   in Loop: Header=BB163_16 Depth=1
	s_and_b64 vcc, exec, s[4:5]
	v_mov_b64_e32 v[12:13], v[10:11]
	s_cbranch_vccnz .LBB163_21
; %bb.20:                               ;   in Loop: Header=BB163_16 Depth=1
	v_mul_lo_u32 v14, v11, s12
	v_mul_lo_u32 v15, v10, s13
	v_mad_u64_u32 v[12:13], s[8:9], v10, s12, 0
	v_add3_u32 v13, v13, v15, v14
.LBB163_21:                             ;   in Loop: Header=BB163_16 Depth=1
	s_cbranch_execnz .LBB163_18
.LBB163_22:                             ;   in Loop: Header=BB163_16 Depth=1
	s_and_b64 vcc, exec, s[6:7]
	s_cbranch_vccnz .LBB163_24
; %bb.23:                               ;   in Loop: Header=BB163_16 Depth=1
	v_mul_lo_u32 v12, v11, s12
	v_mul_lo_u32 v13, v10, s13
	v_mad_u64_u32 v[10:11], s[8:9], v10, s12, 0
	v_add3_u32 v11, v11, v13, v12
.LBB163_24:                             ;   in Loop: Header=BB163_16 Depth=1
	v_mov_b64_e32 v[12:13], v[10:11]
	v_mov_b32_e32 v20, 0
	s_and_saveexec_b64 s[8:9], s[0:1]
	s_cbranch_execz .LBB163_28
.LBB163_25:                             ;   in Loop: Header=BB163_16 Depth=1
	v_lshl_add_u64 v[10:11], v[12:13], 1, v[6:7]
	v_mov_b32_e32 v20, 0
	s_mov_b64 s[28:29], 0
	v_mov_b64_e32 v[12:13], v[8:9]
	v_mov_b64_e32 v[14:15], v[0:1]
.LBB163_26:                             ;   Parent Loop BB163_16 Depth=1
                                        ; =>  This Inner Loop Header: Depth=2
	global_load_ushort v21, v[12:13], off
	global_load_ushort v22, v[10:11], off
	v_lshl_add_u64 v[14:15], v[14:15], 0, 2
	v_cmp_le_i64_e32 vcc, s[20:21], v[14:15]
	v_lshl_add_u64 v[10:11], v[10:11], 0, s[22:23]
	v_lshl_add_u64 v[12:13], v[12:13], 0, s[24:25]
	s_or_b64 s[28:29], vcc, s[28:29]
	s_waitcnt vmcnt(0)
	v_fma_f16 v20, v21, v22, v20
	s_andn2_b64 exec, exec, s[28:29]
	s_cbranch_execnz .LBB163_26
; %bb.27:                               ;   in Loop: Header=BB163_16 Depth=1
	s_or_b64 exec, exec, s[28:29]
.LBB163_28:                             ;   in Loop: Header=BB163_16 Depth=1
	s_or_b64 exec, exec, s[8:9]
	ds_write_b16 v19, v20
	s_waitcnt lgkmcnt(0)
	s_barrier
	s_and_saveexec_b64 s[8:9], s[2:3]
	s_cbranch_execz .LBB163_30
; %bb.29:                               ;   in Loop: Header=BB163_16 Depth=1
	ds_read_u16 v10, v18 offset:2
	ds_read_u16 v11, v19
	s_waitcnt lgkmcnt(0)
	v_add_f16_e32 v10, v10, v11
	ds_write_b16 v19, v10
.LBB163_30:                             ;   in Loop: Header=BB163_16 Depth=1
	s_or_b64 exec, exec, s[8:9]
	s_waitcnt lgkmcnt(0)
	s_barrier
	s_and_saveexec_b64 s[8:9], s[2:3]
	s_cbranch_execz .LBB163_15
; %bb.31:                               ;   in Loop: Header=BB163_16 Depth=1
	v_lshl_add_u64 v[10:11], v[2:3], 1, s[18:19]
	global_load_ushort v12, v[10:11], off
	ds_read_u16 v13, v18
	s_waitcnt lgkmcnt(0)
	v_mul_f16_e32 v13, v16, v13
	s_waitcnt vmcnt(0)
	v_fma_f16 v12, v17, v12, v13
	global_store_short v[10:11], v12, off
	s_branch .LBB163_15
.LBB163_32:
	s_endpgm
	.section	.rodata,"a",@progbits
	.p2align	6, 0x0
	.amdhsa_kernel _ZN9rocsparseL16sddmm_csx_kernelILi512ELi2EL20rocsparse_direction_0EDF16_llDF16_DF16_DF16_EEv20rocsparse_operation_S2_16rocsparse_order_S3_T4_S4_S4_T3_NS_24const_host_device_scalarIT2_EEPKT5_lPKT6_lS8_PT7_PKS5_PKS4_21rocsparse_index_base_b
		.amdhsa_group_segment_fixed_size 1024
		.amdhsa_private_segment_fixed_size 0
		.amdhsa_kernarg_size 128
		.amdhsa_user_sgpr_count 2
		.amdhsa_user_sgpr_dispatch_ptr 0
		.amdhsa_user_sgpr_queue_ptr 0
		.amdhsa_user_sgpr_kernarg_segment_ptr 1
		.amdhsa_user_sgpr_dispatch_id 0
		.amdhsa_user_sgpr_kernarg_preload_length 0
		.amdhsa_user_sgpr_kernarg_preload_offset 0
		.amdhsa_user_sgpr_private_segment_size 0
		.amdhsa_uses_dynamic_stack 0
		.amdhsa_enable_private_segment 0
		.amdhsa_system_sgpr_workgroup_id_x 1
		.amdhsa_system_sgpr_workgroup_id_y 0
		.amdhsa_system_sgpr_workgroup_id_z 0
		.amdhsa_system_sgpr_workgroup_info 0
		.amdhsa_system_vgpr_workitem_id 0
		.amdhsa_next_free_vgpr 23
		.amdhsa_next_free_sgpr 30
		.amdhsa_accum_offset 24
		.amdhsa_reserve_vcc 1
		.amdhsa_float_round_mode_32 0
		.amdhsa_float_round_mode_16_64 0
		.amdhsa_float_denorm_mode_32 3
		.amdhsa_float_denorm_mode_16_64 3
		.amdhsa_dx10_clamp 1
		.amdhsa_ieee_mode 1
		.amdhsa_fp16_overflow 0
		.amdhsa_tg_split 0
		.amdhsa_exception_fp_ieee_invalid_op 0
		.amdhsa_exception_fp_denorm_src 0
		.amdhsa_exception_fp_ieee_div_zero 0
		.amdhsa_exception_fp_ieee_overflow 0
		.amdhsa_exception_fp_ieee_underflow 0
		.amdhsa_exception_fp_ieee_inexact 0
		.amdhsa_exception_int_div_zero 0
	.end_amdhsa_kernel
	.section	.text._ZN9rocsparseL16sddmm_csx_kernelILi512ELi2EL20rocsparse_direction_0EDF16_llDF16_DF16_DF16_EEv20rocsparse_operation_S2_16rocsparse_order_S3_T4_S4_S4_T3_NS_24const_host_device_scalarIT2_EEPKT5_lPKT6_lS8_PT7_PKS5_PKS4_21rocsparse_index_base_b,"axG",@progbits,_ZN9rocsparseL16sddmm_csx_kernelILi512ELi2EL20rocsparse_direction_0EDF16_llDF16_DF16_DF16_EEv20rocsparse_operation_S2_16rocsparse_order_S3_T4_S4_S4_T3_NS_24const_host_device_scalarIT2_EEPKT5_lPKT6_lS8_PT7_PKS5_PKS4_21rocsparse_index_base_b,comdat
.Lfunc_end163:
	.size	_ZN9rocsparseL16sddmm_csx_kernelILi512ELi2EL20rocsparse_direction_0EDF16_llDF16_DF16_DF16_EEv20rocsparse_operation_S2_16rocsparse_order_S3_T4_S4_S4_T3_NS_24const_host_device_scalarIT2_EEPKT5_lPKT6_lS8_PT7_PKS5_PKS4_21rocsparse_index_base_b, .Lfunc_end163-_ZN9rocsparseL16sddmm_csx_kernelILi512ELi2EL20rocsparse_direction_0EDF16_llDF16_DF16_DF16_EEv20rocsparse_operation_S2_16rocsparse_order_S3_T4_S4_S4_T3_NS_24const_host_device_scalarIT2_EEPKT5_lPKT6_lS8_PT7_PKS5_PKS4_21rocsparse_index_base_b
                                        ; -- End function
	.set _ZN9rocsparseL16sddmm_csx_kernelILi512ELi2EL20rocsparse_direction_0EDF16_llDF16_DF16_DF16_EEv20rocsparse_operation_S2_16rocsparse_order_S3_T4_S4_S4_T3_NS_24const_host_device_scalarIT2_EEPKT5_lPKT6_lS8_PT7_PKS5_PKS4_21rocsparse_index_base_b.num_vgpr, 23
	.set _ZN9rocsparseL16sddmm_csx_kernelILi512ELi2EL20rocsparse_direction_0EDF16_llDF16_DF16_DF16_EEv20rocsparse_operation_S2_16rocsparse_order_S3_T4_S4_S4_T3_NS_24const_host_device_scalarIT2_EEPKT5_lPKT6_lS8_PT7_PKS5_PKS4_21rocsparse_index_base_b.num_agpr, 0
	.set _ZN9rocsparseL16sddmm_csx_kernelILi512ELi2EL20rocsparse_direction_0EDF16_llDF16_DF16_DF16_EEv20rocsparse_operation_S2_16rocsparse_order_S3_T4_S4_S4_T3_NS_24const_host_device_scalarIT2_EEPKT5_lPKT6_lS8_PT7_PKS5_PKS4_21rocsparse_index_base_b.numbered_sgpr, 30
	.set _ZN9rocsparseL16sddmm_csx_kernelILi512ELi2EL20rocsparse_direction_0EDF16_llDF16_DF16_DF16_EEv20rocsparse_operation_S2_16rocsparse_order_S3_T4_S4_S4_T3_NS_24const_host_device_scalarIT2_EEPKT5_lPKT6_lS8_PT7_PKS5_PKS4_21rocsparse_index_base_b.num_named_barrier, 0
	.set _ZN9rocsparseL16sddmm_csx_kernelILi512ELi2EL20rocsparse_direction_0EDF16_llDF16_DF16_DF16_EEv20rocsparse_operation_S2_16rocsparse_order_S3_T4_S4_S4_T3_NS_24const_host_device_scalarIT2_EEPKT5_lPKT6_lS8_PT7_PKS5_PKS4_21rocsparse_index_base_b.private_seg_size, 0
	.set _ZN9rocsparseL16sddmm_csx_kernelILi512ELi2EL20rocsparse_direction_0EDF16_llDF16_DF16_DF16_EEv20rocsparse_operation_S2_16rocsparse_order_S3_T4_S4_S4_T3_NS_24const_host_device_scalarIT2_EEPKT5_lPKT6_lS8_PT7_PKS5_PKS4_21rocsparse_index_base_b.uses_vcc, 1
	.set _ZN9rocsparseL16sddmm_csx_kernelILi512ELi2EL20rocsparse_direction_0EDF16_llDF16_DF16_DF16_EEv20rocsparse_operation_S2_16rocsparse_order_S3_T4_S4_S4_T3_NS_24const_host_device_scalarIT2_EEPKT5_lPKT6_lS8_PT7_PKS5_PKS4_21rocsparse_index_base_b.uses_flat_scratch, 0
	.set _ZN9rocsparseL16sddmm_csx_kernelILi512ELi2EL20rocsparse_direction_0EDF16_llDF16_DF16_DF16_EEv20rocsparse_operation_S2_16rocsparse_order_S3_T4_S4_S4_T3_NS_24const_host_device_scalarIT2_EEPKT5_lPKT6_lS8_PT7_PKS5_PKS4_21rocsparse_index_base_b.has_dyn_sized_stack, 0
	.set _ZN9rocsparseL16sddmm_csx_kernelILi512ELi2EL20rocsparse_direction_0EDF16_llDF16_DF16_DF16_EEv20rocsparse_operation_S2_16rocsparse_order_S3_T4_S4_S4_T3_NS_24const_host_device_scalarIT2_EEPKT5_lPKT6_lS8_PT7_PKS5_PKS4_21rocsparse_index_base_b.has_recursion, 0
	.set _ZN9rocsparseL16sddmm_csx_kernelILi512ELi2EL20rocsparse_direction_0EDF16_llDF16_DF16_DF16_EEv20rocsparse_operation_S2_16rocsparse_order_S3_T4_S4_S4_T3_NS_24const_host_device_scalarIT2_EEPKT5_lPKT6_lS8_PT7_PKS5_PKS4_21rocsparse_index_base_b.has_indirect_call, 0
	.section	.AMDGPU.csdata,"",@progbits
; Kernel info:
; codeLenInByte = 1044
; TotalNumSgprs: 36
; NumVgprs: 23
; NumAgprs: 0
; TotalNumVgprs: 23
; ScratchSize: 0
; MemoryBound: 0
; FloatMode: 240
; IeeeMode: 1
; LDSByteSize: 1024 bytes/workgroup (compile time only)
; SGPRBlocks: 4
; VGPRBlocks: 2
; NumSGPRsForWavesPerEU: 36
; NumVGPRsForWavesPerEU: 23
; AccumOffset: 24
; Occupancy: 8
; WaveLimiterHint : 0
; COMPUTE_PGM_RSRC2:SCRATCH_EN: 0
; COMPUTE_PGM_RSRC2:USER_SGPR: 2
; COMPUTE_PGM_RSRC2:TRAP_HANDLER: 0
; COMPUTE_PGM_RSRC2:TGID_X_EN: 1
; COMPUTE_PGM_RSRC2:TGID_Y_EN: 0
; COMPUTE_PGM_RSRC2:TGID_Z_EN: 0
; COMPUTE_PGM_RSRC2:TIDIG_COMP_CNT: 0
; COMPUTE_PGM_RSRC3_GFX90A:ACCUM_OFFSET: 5
; COMPUTE_PGM_RSRC3_GFX90A:TG_SPLIT: 0
	.section	.text._ZN9rocsparseL16sddmm_csx_kernelILi512ELi1EL20rocsparse_direction_0EDF16_llDF16_DF16_DF16_EEv20rocsparse_operation_S2_16rocsparse_order_S3_T4_S4_S4_T3_NS_24const_host_device_scalarIT2_EEPKT5_lPKT6_lS8_PT7_PKS5_PKS4_21rocsparse_index_base_b,"axG",@progbits,_ZN9rocsparseL16sddmm_csx_kernelILi512ELi1EL20rocsparse_direction_0EDF16_llDF16_DF16_DF16_EEv20rocsparse_operation_S2_16rocsparse_order_S3_T4_S4_S4_T3_NS_24const_host_device_scalarIT2_EEPKT5_lPKT6_lS8_PT7_PKS5_PKS4_21rocsparse_index_base_b,comdat
	.globl	_ZN9rocsparseL16sddmm_csx_kernelILi512ELi1EL20rocsparse_direction_0EDF16_llDF16_DF16_DF16_EEv20rocsparse_operation_S2_16rocsparse_order_S3_T4_S4_S4_T3_NS_24const_host_device_scalarIT2_EEPKT5_lPKT6_lS8_PT7_PKS5_PKS4_21rocsparse_index_base_b ; -- Begin function _ZN9rocsparseL16sddmm_csx_kernelILi512ELi1EL20rocsparse_direction_0EDF16_llDF16_DF16_DF16_EEv20rocsparse_operation_S2_16rocsparse_order_S3_T4_S4_S4_T3_NS_24const_host_device_scalarIT2_EEPKT5_lPKT6_lS8_PT7_PKS5_PKS4_21rocsparse_index_base_b
	.p2align	8
	.type	_ZN9rocsparseL16sddmm_csx_kernelILi512ELi1EL20rocsparse_direction_0EDF16_llDF16_DF16_DF16_EEv20rocsparse_operation_S2_16rocsparse_order_S3_T4_S4_S4_T3_NS_24const_host_device_scalarIT2_EEPKT5_lPKT6_lS8_PT7_PKS5_PKS4_21rocsparse_index_base_b,@function
_ZN9rocsparseL16sddmm_csx_kernelILi512ELi1EL20rocsparse_direction_0EDF16_llDF16_DF16_DF16_EEv20rocsparse_operation_S2_16rocsparse_order_S3_T4_S4_S4_T3_NS_24const_host_device_scalarIT2_EEPKT5_lPKT6_lS8_PT7_PKS5_PKS4_21rocsparse_index_base_b: ; @_ZN9rocsparseL16sddmm_csx_kernelILi512ELi1EL20rocsparse_direction_0EDF16_llDF16_DF16_DF16_EEv20rocsparse_operation_S2_16rocsparse_order_S3_T4_S4_S4_T3_NS_24const_host_device_scalarIT2_EEPKT5_lPKT6_lS8_PT7_PKS5_PKS4_21rocsparse_index_base_b
; %bb.0:
	s_load_dwordx2 s[12:13], s[0:1], 0x78
	s_load_dwordx2 s[6:7], s[0:1], 0x30
	s_load_dwordx4 s[8:11], s[0:1], 0x50
	s_waitcnt lgkmcnt(0)
	s_bitcmp1_b32 s13, 0
	s_cselect_b64 s[14:15], -1, 0
	s_xor_b64 s[4:5], s[14:15], -1
	s_and_b64 vcc, exec, s[14:15]
	v_mov_b32_e32 v10, s6
	s_cbranch_vccnz .LBB164_2
; %bb.1:
	v_mov_b32_e32 v1, 0
	global_load_ushort v10, v1, s[6:7]
.LBB164_2:
	s_andn2_b64 vcc, exec, s[4:5]
	v_mov_b32_e32 v11, s10
	s_cbranch_vccnz .LBB164_4
; %bb.3:
	v_mov_b32_e32 v1, 0
	global_load_ushort v11, v1, s[10:11]
.LBB164_4:
	s_waitcnt vmcnt(0)
	v_cmp_eq_f16_e32 vcc, 0, v10
	v_cmp_eq_f16_e64 s[4:5], 1.0, v11
	s_and_b64 s[4:5], vcc, s[4:5]
	s_and_b64 vcc, exec, s[4:5]
	s_cbranch_vccnz .LBB164_28
; %bb.5:
	s_load_dwordx2 s[4:5], s[0:1], 0x10
	v_lshl_or_b32 v2, s2, 9, v0
	v_mov_b32_e32 v3, 0
	s_waitcnt lgkmcnt(0)
	v_cmp_gt_i64_e32 vcc, s[4:5], v[2:3]
	s_and_saveexec_b64 s[2:3], vcc
	s_cbranch_execz .LBB164_28
; %bb.6:
	s_load_dwordx4 s[4:7], s[0:1], 0x0
	s_load_dwordx2 s[10:11], s[0:1], 0x68
	s_load_dwordx2 s[2:3], s[0:1], 0x40
	s_waitcnt lgkmcnt(0)
	s_cmp_eq_u32 s6, 1
	s_cselect_b64 s[20:21], -1, 0
	s_cmpk_eq_i32 s4, 0x6f
	s_cselect_b64 s[22:23], -1, 0
	s_cmpk_lg_i32 s4, 0x6f
	s_cselect_b64 s[14:15], -1, 0
	s_cmp_lg_u32 s6, 1
	s_cbranch_scc0 .LBB164_10
; %bb.7:
	s_andn2_b64 vcc, exec, s[22:23]
	v_mov_b64_e32 v[6:7], v[2:3]
	s_cbranch_vccnz .LBB164_9
; %bb.8:
	v_mad_u64_u32 v[6:7], s[16:17], s2, v2, 0
	v_mov_b32_e32 v4, v7
	v_mad_u64_u32 v[4:5], s[16:17], s3, v2, v[4:5]
	v_mov_b32_e32 v7, v4
.LBB164_9:
	s_cbranch_execz .LBB164_11
	s_branch .LBB164_13
.LBB164_10:
                                        ; implicit-def: $vgpr6_vgpr7
.LBB164_11:
	s_andn2_b64 vcc, exec, s[14:15]
	v_mov_b64_e32 v[6:7], v[2:3]
	s_cbranch_vccnz .LBB164_13
; %bb.12:
	v_mad_u64_u32 v[6:7], s[14:15], s2, v2, 0
	v_mov_b32_e32 v4, v7
	v_mad_u64_u32 v[4:5], s[14:15], s3, v2, v[4:5]
	v_mov_b32_e32 v7, v4
.LBB164_13:
	v_lshl_add_u64 v[2:3], v[2:3], 3, s[10:11]
	global_load_dwordx4 v[2:5], v[2:3], off
	s_waitcnt vmcnt(0)
	v_cmp_lt_i64_e32 vcc, v[2:3], v[4:5]
	s_and_b64 exec, exec, vcc
	s_cbranch_execz .LBB164_28
; %bb.14:
	s_load_dwordx2 s[24:25], s[0:1], 0x38
	s_load_dwordx2 s[10:11], s[0:1], 0x70
	;; [unrolled: 1-line block ×5, first 2 shown]
	s_xor_b64 s[0:1], s[22:23], s[20:21]
	s_and_b64 s[0:1], s[0:1], exec
	s_cselect_b32 s1, 0, s3
	s_cselect_b32 s0, 1, s2
	s_cmp_lg_u32 s7, 1
	s_cselect_b64 s[20:21], -1, 0
	s_cmp_eq_u32 s7, 1
	s_cselect_b64 s[2:3], -1, 0
	s_cmpk_eq_i32 s5, 0x6f
	s_cselect_b64 s[6:7], -1, 0
	s_cmpk_lg_i32 s5, 0x6f
	v_subrev_co_u32_e32 v2, vcc, s12, v2
	s_cselect_b64 s[4:5], -1, 0
	s_xor_b64 s[2:3], s[6:7], s[2:3]
	v_subbrev_co_u32_e32 v3, vcc, 0, v3, vcc
	s_and_b64 s[2:3], s[2:3], exec
	v_lshlrev_b32_e32 v12, 1, v0
	v_subrev_co_u32_e32 v0, vcc, s12, v4
	v_cndmask_b32_e64 v4, 0, 1, s[4:5]
	s_waitcnt lgkmcnt(0)
	v_cmp_gt_i64_e64 s[4:5], s[18:19], 0
	v_cndmask_b32_e64 v8, 0, 1, s[6:7]
	s_cselect_b32 s3, s9, 0
	s_cselect_b32 s2, s8, 1
	s_lshl_b64 s[26:27], s[0:1], 1
	v_cmp_ne_u32_e64 s[0:1], 1, v4
	v_cndmask_b32_e64 v4, 0, 1, s[4:5]
	v_lshl_add_u64 v[6:7], v[6:7], 1, s[24:25]
	s_mov_b64 s[22:23], 0
	v_subbrev_co_u32_e32 v1, vcc, 0, v5, vcc
	s_lshl_b64 s[24:25], s[2:3], 1
	v_cmp_ne_u32_e64 s[2:3], 1, v8
	v_cmp_ne_u32_e64 s[4:5], 1, v4
	s_branch .LBB164_17
.LBB164_15:                             ;   in Loop: Header=BB164_17 Depth=1
	v_mov_b32_e32 v13, 0
.LBB164_16:                             ;   in Loop: Header=BB164_17 Depth=1
	v_lshl_add_u64 v[4:5], v[2:3], 1, s[16:17]
	ds_write_b16 v12, v13
	s_waitcnt lgkmcnt(0)
	s_barrier
	global_load_ushort v8, v[4:5], off
	ds_read_u16 v9, v12
	v_lshl_add_u64 v[2:3], v[2:3], 0, 1
	v_cmp_ge_i64_e32 vcc, v[2:3], v[0:1]
	s_or_b64 s[22:23], vcc, s[22:23]
	s_waitcnt lgkmcnt(0)
	v_mul_f16_e32 v9, v10, v9
	s_waitcnt vmcnt(0)
	v_fma_f16 v8, v11, v8, v9
	global_store_short v[4:5], v8, off
	s_andn2_b64 exec, exec, s[22:23]
	s_cbranch_execz .LBB164_28
.LBB164_17:                             ; =>This Loop Header: Depth=1
                                        ;     Child Loop BB164_27 Depth 2
	v_lshl_add_u64 v[4:5], v[2:3], 3, s[10:11]
	global_load_dwordx2 v[4:5], v[4:5], off
	s_and_b64 vcc, exec, s[20:21]
	s_mov_b64 s[28:29], -1
                                        ; implicit-def: $vgpr8_vgpr9
	s_waitcnt vmcnt(0)
	v_subrev_co_u32_e64 v4, s[6:7], s12, v4
	s_nop 1
	v_subbrev_co_u32_e64 v5, s[6:7], 0, v5, s[6:7]
	s_cbranch_vccnz .LBB164_20
; %bb.18:                               ;   in Loop: Header=BB164_17 Depth=1
	s_andn2_b64 vcc, exec, s[28:29]
	s_cbranch_vccz .LBB164_23
.LBB164_19:                             ;   in Loop: Header=BB164_17 Depth=1
	s_and_b64 vcc, exec, s[4:5]
	s_cbranch_vccz .LBB164_26
	s_branch .LBB164_15
.LBB164_20:                             ;   in Loop: Header=BB164_17 Depth=1
	s_and_b64 vcc, exec, s[0:1]
	v_mov_b64_e32 v[8:9], v[4:5]
	s_cbranch_vccnz .LBB164_22
; %bb.21:                               ;   in Loop: Header=BB164_17 Depth=1
	v_mul_lo_u32 v13, v5, s8
	v_mul_lo_u32 v14, v4, s9
	v_mad_u64_u32 v[8:9], s[6:7], v4, s8, 0
	v_add3_u32 v9, v9, v14, v13
.LBB164_22:                             ;   in Loop: Header=BB164_17 Depth=1
	s_cbranch_execnz .LBB164_19
.LBB164_23:                             ;   in Loop: Header=BB164_17 Depth=1
	s_and_b64 vcc, exec, s[2:3]
	s_cbranch_vccnz .LBB164_25
; %bb.24:                               ;   in Loop: Header=BB164_17 Depth=1
	v_mul_lo_u32 v8, v5, s8
	v_mul_lo_u32 v9, v4, s9
	v_mad_u64_u32 v[4:5], s[6:7], v4, s8, 0
	v_add3_u32 v5, v5, v9, v8
.LBB164_25:                             ;   in Loop: Header=BB164_17 Depth=1
	v_mov_b64_e32 v[8:9], v[4:5]
	s_and_b64 vcc, exec, s[4:5]
	s_cbranch_vccnz .LBB164_15
.LBB164_26:                             ;   in Loop: Header=BB164_17 Depth=1
	v_lshl_add_u64 v[4:5], v[8:9], 1, s[14:15]
	v_mov_b32_e32 v13, 0
	v_mov_b64_e32 v[8:9], v[6:7]
	s_mov_b64 s[6:7], s[18:19]
.LBB164_27:                             ;   Parent Loop BB164_17 Depth=1
                                        ; =>  This Inner Loop Header: Depth=2
	global_load_ushort v14, v[8:9], off
	global_load_ushort v15, v[4:5], off
	s_add_u32 s6, s6, -1
	s_addc_u32 s7, s7, -1
	v_lshl_add_u64 v[4:5], v[4:5], 0, s[24:25]
	v_lshl_add_u64 v[8:9], v[8:9], 0, s[26:27]
	s_cmp_eq_u64 s[6:7], 0
	s_waitcnt vmcnt(0)
	v_fma_f16 v13, v14, v15, v13
	s_cbranch_scc0 .LBB164_27
	s_branch .LBB164_16
.LBB164_28:
	s_endpgm
	.section	.rodata,"a",@progbits
	.p2align	6, 0x0
	.amdhsa_kernel _ZN9rocsparseL16sddmm_csx_kernelILi512ELi1EL20rocsparse_direction_0EDF16_llDF16_DF16_DF16_EEv20rocsparse_operation_S2_16rocsparse_order_S3_T4_S4_S4_T3_NS_24const_host_device_scalarIT2_EEPKT5_lPKT6_lS8_PT7_PKS5_PKS4_21rocsparse_index_base_b
		.amdhsa_group_segment_fixed_size 1024
		.amdhsa_private_segment_fixed_size 0
		.amdhsa_kernarg_size 128
		.amdhsa_user_sgpr_count 2
		.amdhsa_user_sgpr_dispatch_ptr 0
		.amdhsa_user_sgpr_queue_ptr 0
		.amdhsa_user_sgpr_kernarg_segment_ptr 1
		.amdhsa_user_sgpr_dispatch_id 0
		.amdhsa_user_sgpr_kernarg_preload_length 0
		.amdhsa_user_sgpr_kernarg_preload_offset 0
		.amdhsa_user_sgpr_private_segment_size 0
		.amdhsa_uses_dynamic_stack 0
		.amdhsa_enable_private_segment 0
		.amdhsa_system_sgpr_workgroup_id_x 1
		.amdhsa_system_sgpr_workgroup_id_y 0
		.amdhsa_system_sgpr_workgroup_id_z 0
		.amdhsa_system_sgpr_workgroup_info 0
		.amdhsa_system_vgpr_workitem_id 0
		.amdhsa_next_free_vgpr 16
		.amdhsa_next_free_sgpr 30
		.amdhsa_accum_offset 16
		.amdhsa_reserve_vcc 1
		.amdhsa_float_round_mode_32 0
		.amdhsa_float_round_mode_16_64 0
		.amdhsa_float_denorm_mode_32 3
		.amdhsa_float_denorm_mode_16_64 3
		.amdhsa_dx10_clamp 1
		.amdhsa_ieee_mode 1
		.amdhsa_fp16_overflow 0
		.amdhsa_tg_split 0
		.amdhsa_exception_fp_ieee_invalid_op 0
		.amdhsa_exception_fp_denorm_src 0
		.amdhsa_exception_fp_ieee_div_zero 0
		.amdhsa_exception_fp_ieee_overflow 0
		.amdhsa_exception_fp_ieee_underflow 0
		.amdhsa_exception_fp_ieee_inexact 0
		.amdhsa_exception_int_div_zero 0
	.end_amdhsa_kernel
	.section	.text._ZN9rocsparseL16sddmm_csx_kernelILi512ELi1EL20rocsparse_direction_0EDF16_llDF16_DF16_DF16_EEv20rocsparse_operation_S2_16rocsparse_order_S3_T4_S4_S4_T3_NS_24const_host_device_scalarIT2_EEPKT5_lPKT6_lS8_PT7_PKS5_PKS4_21rocsparse_index_base_b,"axG",@progbits,_ZN9rocsparseL16sddmm_csx_kernelILi512ELi1EL20rocsparse_direction_0EDF16_llDF16_DF16_DF16_EEv20rocsparse_operation_S2_16rocsparse_order_S3_T4_S4_S4_T3_NS_24const_host_device_scalarIT2_EEPKT5_lPKT6_lS8_PT7_PKS5_PKS4_21rocsparse_index_base_b,comdat
.Lfunc_end164:
	.size	_ZN9rocsparseL16sddmm_csx_kernelILi512ELi1EL20rocsparse_direction_0EDF16_llDF16_DF16_DF16_EEv20rocsparse_operation_S2_16rocsparse_order_S3_T4_S4_S4_T3_NS_24const_host_device_scalarIT2_EEPKT5_lPKT6_lS8_PT7_PKS5_PKS4_21rocsparse_index_base_b, .Lfunc_end164-_ZN9rocsparseL16sddmm_csx_kernelILi512ELi1EL20rocsparse_direction_0EDF16_llDF16_DF16_DF16_EEv20rocsparse_operation_S2_16rocsparse_order_S3_T4_S4_S4_T3_NS_24const_host_device_scalarIT2_EEPKT5_lPKT6_lS8_PT7_PKS5_PKS4_21rocsparse_index_base_b
                                        ; -- End function
	.set _ZN9rocsparseL16sddmm_csx_kernelILi512ELi1EL20rocsparse_direction_0EDF16_llDF16_DF16_DF16_EEv20rocsparse_operation_S2_16rocsparse_order_S3_T4_S4_S4_T3_NS_24const_host_device_scalarIT2_EEPKT5_lPKT6_lS8_PT7_PKS5_PKS4_21rocsparse_index_base_b.num_vgpr, 16
	.set _ZN9rocsparseL16sddmm_csx_kernelILi512ELi1EL20rocsparse_direction_0EDF16_llDF16_DF16_DF16_EEv20rocsparse_operation_S2_16rocsparse_order_S3_T4_S4_S4_T3_NS_24const_host_device_scalarIT2_EEPKT5_lPKT6_lS8_PT7_PKS5_PKS4_21rocsparse_index_base_b.num_agpr, 0
	.set _ZN9rocsparseL16sddmm_csx_kernelILi512ELi1EL20rocsparse_direction_0EDF16_llDF16_DF16_DF16_EEv20rocsparse_operation_S2_16rocsparse_order_S3_T4_S4_S4_T3_NS_24const_host_device_scalarIT2_EEPKT5_lPKT6_lS8_PT7_PKS5_PKS4_21rocsparse_index_base_b.numbered_sgpr, 30
	.set _ZN9rocsparseL16sddmm_csx_kernelILi512ELi1EL20rocsparse_direction_0EDF16_llDF16_DF16_DF16_EEv20rocsparse_operation_S2_16rocsparse_order_S3_T4_S4_S4_T3_NS_24const_host_device_scalarIT2_EEPKT5_lPKT6_lS8_PT7_PKS5_PKS4_21rocsparse_index_base_b.num_named_barrier, 0
	.set _ZN9rocsparseL16sddmm_csx_kernelILi512ELi1EL20rocsparse_direction_0EDF16_llDF16_DF16_DF16_EEv20rocsparse_operation_S2_16rocsparse_order_S3_T4_S4_S4_T3_NS_24const_host_device_scalarIT2_EEPKT5_lPKT6_lS8_PT7_PKS5_PKS4_21rocsparse_index_base_b.private_seg_size, 0
	.set _ZN9rocsparseL16sddmm_csx_kernelILi512ELi1EL20rocsparse_direction_0EDF16_llDF16_DF16_DF16_EEv20rocsparse_operation_S2_16rocsparse_order_S3_T4_S4_S4_T3_NS_24const_host_device_scalarIT2_EEPKT5_lPKT6_lS8_PT7_PKS5_PKS4_21rocsparse_index_base_b.uses_vcc, 1
	.set _ZN9rocsparseL16sddmm_csx_kernelILi512ELi1EL20rocsparse_direction_0EDF16_llDF16_DF16_DF16_EEv20rocsparse_operation_S2_16rocsparse_order_S3_T4_S4_S4_T3_NS_24const_host_device_scalarIT2_EEPKT5_lPKT6_lS8_PT7_PKS5_PKS4_21rocsparse_index_base_b.uses_flat_scratch, 0
	.set _ZN9rocsparseL16sddmm_csx_kernelILi512ELi1EL20rocsparse_direction_0EDF16_llDF16_DF16_DF16_EEv20rocsparse_operation_S2_16rocsparse_order_S3_T4_S4_S4_T3_NS_24const_host_device_scalarIT2_EEPKT5_lPKT6_lS8_PT7_PKS5_PKS4_21rocsparse_index_base_b.has_dyn_sized_stack, 0
	.set _ZN9rocsparseL16sddmm_csx_kernelILi512ELi1EL20rocsparse_direction_0EDF16_llDF16_DF16_DF16_EEv20rocsparse_operation_S2_16rocsparse_order_S3_T4_S4_S4_T3_NS_24const_host_device_scalarIT2_EEPKT5_lPKT6_lS8_PT7_PKS5_PKS4_21rocsparse_index_base_b.has_recursion, 0
	.set _ZN9rocsparseL16sddmm_csx_kernelILi512ELi1EL20rocsparse_direction_0EDF16_llDF16_DF16_DF16_EEv20rocsparse_operation_S2_16rocsparse_order_S3_T4_S4_S4_T3_NS_24const_host_device_scalarIT2_EEPKT5_lPKT6_lS8_PT7_PKS5_PKS4_21rocsparse_index_base_b.has_indirect_call, 0
	.section	.AMDGPU.csdata,"",@progbits
; Kernel info:
; codeLenInByte = 888
; TotalNumSgprs: 36
; NumVgprs: 16
; NumAgprs: 0
; TotalNumVgprs: 16
; ScratchSize: 0
; MemoryBound: 0
; FloatMode: 240
; IeeeMode: 1
; LDSByteSize: 1024 bytes/workgroup (compile time only)
; SGPRBlocks: 4
; VGPRBlocks: 1
; NumSGPRsForWavesPerEU: 36
; NumVGPRsForWavesPerEU: 16
; AccumOffset: 16
; Occupancy: 8
; WaveLimiterHint : 0
; COMPUTE_PGM_RSRC2:SCRATCH_EN: 0
; COMPUTE_PGM_RSRC2:USER_SGPR: 2
; COMPUTE_PGM_RSRC2:TRAP_HANDLER: 0
; COMPUTE_PGM_RSRC2:TGID_X_EN: 1
; COMPUTE_PGM_RSRC2:TGID_Y_EN: 0
; COMPUTE_PGM_RSRC2:TGID_Z_EN: 0
; COMPUTE_PGM_RSRC2:TIDIG_COMP_CNT: 0
; COMPUTE_PGM_RSRC3_GFX90A:ACCUM_OFFSET: 3
; COMPUTE_PGM_RSRC3_GFX90A:TG_SPLIT: 0
	.section	.text._ZN9rocsparseL16csr2dense_kernelILi16ELi32EllfEEviT2_S1_PKT3_PKT1_PKS1_PS2_l16rocsparse_order_,"axG",@progbits,_ZN9rocsparseL16csr2dense_kernelILi16ELi32EllfEEviT2_S1_PKT3_PKT1_PKS1_PS2_l16rocsparse_order_,comdat
	.globl	_ZN9rocsparseL16csr2dense_kernelILi16ELi32EllfEEviT2_S1_PKT3_PKT1_PKS1_PS2_l16rocsparse_order_ ; -- Begin function _ZN9rocsparseL16csr2dense_kernelILi16ELi32EllfEEviT2_S1_PKT3_PKT1_PKS1_PS2_l16rocsparse_order_
	.p2align	8
	.type	_ZN9rocsparseL16csr2dense_kernelILi16ELi32EllfEEviT2_S1_PKT3_PKT1_PKS1_PS2_l16rocsparse_order_,@function
_ZN9rocsparseL16csr2dense_kernelILi16ELi32EllfEEviT2_S1_PKT3_PKT1_PKS1_PS2_l16rocsparse_order_: ; @_ZN9rocsparseL16csr2dense_kernelILi16ELi32EllfEEviT2_S1_PKT3_PKT1_PKS1_PS2_l16rocsparse_order_
; %bb.0:
	s_load_dwordx2 s[4:5], s[0:1], 0x8
	v_lshrrev_b32_e32 v1, 5, v0
	v_lshl_or_b32 v8, s2, 4, v1
	v_mov_b32_e32 v1, 0
	v_mov_b32_e32 v9, v1
	s_waitcnt lgkmcnt(0)
	v_cmp_gt_i64_e32 vcc, s[4:5], v[8:9]
	s_and_saveexec_b64 s[2:3], vcc
	s_cbranch_execz .LBB165_8
; %bb.1:
	s_load_dwordx2 s[2:3], s[0:1], 0x20
	v_and_b32_e32 v0, 31, v0
	s_waitcnt lgkmcnt(0)
	v_lshl_add_u64 v[2:3], v[8:9], 3, s[2:3]
	global_load_dwordx4 v[2:5], v[2:3], off
	s_waitcnt vmcnt(0)
	v_sub_co_u32_e32 v4, vcc, v4, v2
	s_nop 1
	v_subb_co_u32_e32 v5, vcc, v5, v3, vcc
	v_cmp_gt_i64_e32 vcc, v[4:5], v[0:1]
	s_and_b64 exec, exec, vcc
	s_cbranch_execz .LBB165_8
; %bb.2:
	s_load_dword s14, s[0:1], 0x0
	s_load_dwordx4 s[8:11], s[0:1], 0x28
	s_load_dword s4, s[0:1], 0x40
	s_load_dwordx2 s[6:7], s[0:1], 0x18
	s_load_dwordx2 s[2:3], s[0:1], 0x38
	s_waitcnt lgkmcnt(0)
	s_ashr_i32 s12, s14, 31
	v_lshl_add_u64 v[6:7], v[8:9], 2, s[10:11]
	v_lshl_add_u64 v[2:3], v[2:3], 0, v[0:1]
	s_cmp_lg_u32 s4, 1
	v_mad_u64_u32 v[10:11], s[0:1], s2, v8, 0
	v_mov_b32_e32 v12, v11
	v_mad_u64_u32 v[8:9], s[0:1], s3, v8, v[12:13]
	v_mov_b32_e32 v11, v8
	v_lshl_add_u64 v[8:9], v[10:11], 2, s[10:11]
	v_mov_b32_e32 v11, s12
	v_subrev_co_u32_e32 v10, vcc, s14, v2
	s_cselect_b64 s[4:5], -1, 0
	s_nop 0
	v_subb_co_u32_e32 v11, vcc, v3, v11, vcc
	v_lshl_add_u64 v[2:3], v[10:11], 3, s[8:9]
	v_lshl_add_u64 v[10:11], v[10:11], 2, s[6:7]
	s_mov_b64 s[6:7], 0
	v_mov_b32_e32 v14, s12
	s_mov_b64 s[8:9], 0x100
	s_mov_b64 s[10:11], 0x80
	s_branch .LBB165_4
.LBB165_3:                              ;   in Loop: Header=BB165_4 Depth=1
	v_lshl_add_u64 v[0:1], v[0:1], 0, 32
	v_cmp_ge_i64_e32 vcc, v[0:1], v[4:5]
	v_lshl_add_u64 v[2:3], v[2:3], 0, s[8:9]
	s_or_b64 s[6:7], vcc, s[6:7]
	v_lshl_add_u64 v[10:11], v[10:11], 0, s[10:11]
	s_andn2_b64 exec, exec, s[6:7]
	s_cbranch_execz .LBB165_8
.LBB165_4:                              ; =>This Inner Loop Header: Depth=1
	s_barrier
	global_load_dwordx2 v[12:13], v[2:3], off
	global_load_dword v15, v[10:11], off
	s_mov_b64 s[12:13], -1
	s_and_b64 vcc, exec, s[4:5]
	s_waitcnt vmcnt(1)
	v_subrev_co_u32_e64 v12, s[0:1], s14, v12
	s_nop 1
	v_subb_co_u32_e64 v13, s[0:1], v13, v14, s[0:1]
	s_cbranch_vccz .LBB165_6
; %bb.5:                                ;   in Loop: Header=BB165_4 Depth=1
	v_lshl_add_u64 v[16:17], v[12:13], 2, v[8:9]
	s_waitcnt vmcnt(0)
	global_store_dword v[16:17], v15, off
	s_mov_b64 s[12:13], 0
.LBB165_6:                              ;   in Loop: Header=BB165_4 Depth=1
	s_andn2_b64 vcc, exec, s[12:13]
	s_cbranch_vccnz .LBB165_3
; %bb.7:                                ;   in Loop: Header=BB165_4 Depth=1
	v_mul_lo_u32 v16, v13, s2
	v_mul_lo_u32 v17, v12, s3
	v_mad_u64_u32 v[12:13], s[0:1], v12, s2, 0
	v_add3_u32 v13, v13, v17, v16
	v_lshl_add_u64 v[12:13], v[12:13], 2, v[6:7]
	s_waitcnt vmcnt(0)
	global_store_dword v[12:13], v15, off
	s_branch .LBB165_3
.LBB165_8:
	s_endpgm
	.section	.rodata,"a",@progbits
	.p2align	6, 0x0
	.amdhsa_kernel _ZN9rocsparseL16csr2dense_kernelILi16ELi32EllfEEviT2_S1_PKT3_PKT1_PKS1_PS2_l16rocsparse_order_
		.amdhsa_group_segment_fixed_size 0
		.amdhsa_private_segment_fixed_size 0
		.amdhsa_kernarg_size 68
		.amdhsa_user_sgpr_count 2
		.amdhsa_user_sgpr_dispatch_ptr 0
		.amdhsa_user_sgpr_queue_ptr 0
		.amdhsa_user_sgpr_kernarg_segment_ptr 1
		.amdhsa_user_sgpr_dispatch_id 0
		.amdhsa_user_sgpr_kernarg_preload_length 0
		.amdhsa_user_sgpr_kernarg_preload_offset 0
		.amdhsa_user_sgpr_private_segment_size 0
		.amdhsa_uses_dynamic_stack 0
		.amdhsa_enable_private_segment 0
		.amdhsa_system_sgpr_workgroup_id_x 1
		.amdhsa_system_sgpr_workgroup_id_y 0
		.amdhsa_system_sgpr_workgroup_id_z 0
		.amdhsa_system_sgpr_workgroup_info 0
		.amdhsa_system_vgpr_workitem_id 0
		.amdhsa_next_free_vgpr 18
		.amdhsa_next_free_sgpr 15
		.amdhsa_accum_offset 20
		.amdhsa_reserve_vcc 1
		.amdhsa_float_round_mode_32 0
		.amdhsa_float_round_mode_16_64 0
		.amdhsa_float_denorm_mode_32 3
		.amdhsa_float_denorm_mode_16_64 3
		.amdhsa_dx10_clamp 1
		.amdhsa_ieee_mode 1
		.amdhsa_fp16_overflow 0
		.amdhsa_tg_split 0
		.amdhsa_exception_fp_ieee_invalid_op 0
		.amdhsa_exception_fp_denorm_src 0
		.amdhsa_exception_fp_ieee_div_zero 0
		.amdhsa_exception_fp_ieee_overflow 0
		.amdhsa_exception_fp_ieee_underflow 0
		.amdhsa_exception_fp_ieee_inexact 0
		.amdhsa_exception_int_div_zero 0
	.end_amdhsa_kernel
	.section	.text._ZN9rocsparseL16csr2dense_kernelILi16ELi32EllfEEviT2_S1_PKT3_PKT1_PKS1_PS2_l16rocsparse_order_,"axG",@progbits,_ZN9rocsparseL16csr2dense_kernelILi16ELi32EllfEEviT2_S1_PKT3_PKT1_PKS1_PS2_l16rocsparse_order_,comdat
.Lfunc_end165:
	.size	_ZN9rocsparseL16csr2dense_kernelILi16ELi32EllfEEviT2_S1_PKT3_PKT1_PKS1_PS2_l16rocsparse_order_, .Lfunc_end165-_ZN9rocsparseL16csr2dense_kernelILi16ELi32EllfEEviT2_S1_PKT3_PKT1_PKS1_PS2_l16rocsparse_order_
                                        ; -- End function
	.set _ZN9rocsparseL16csr2dense_kernelILi16ELi32EllfEEviT2_S1_PKT3_PKT1_PKS1_PS2_l16rocsparse_order_.num_vgpr, 18
	.set _ZN9rocsparseL16csr2dense_kernelILi16ELi32EllfEEviT2_S1_PKT3_PKT1_PKS1_PS2_l16rocsparse_order_.num_agpr, 0
	.set _ZN9rocsparseL16csr2dense_kernelILi16ELi32EllfEEviT2_S1_PKT3_PKT1_PKS1_PS2_l16rocsparse_order_.numbered_sgpr, 15
	.set _ZN9rocsparseL16csr2dense_kernelILi16ELi32EllfEEviT2_S1_PKT3_PKT1_PKS1_PS2_l16rocsparse_order_.num_named_barrier, 0
	.set _ZN9rocsparseL16csr2dense_kernelILi16ELi32EllfEEviT2_S1_PKT3_PKT1_PKS1_PS2_l16rocsparse_order_.private_seg_size, 0
	.set _ZN9rocsparseL16csr2dense_kernelILi16ELi32EllfEEviT2_S1_PKT3_PKT1_PKS1_PS2_l16rocsparse_order_.uses_vcc, 1
	.set _ZN9rocsparseL16csr2dense_kernelILi16ELi32EllfEEviT2_S1_PKT3_PKT1_PKS1_PS2_l16rocsparse_order_.uses_flat_scratch, 0
	.set _ZN9rocsparseL16csr2dense_kernelILi16ELi32EllfEEviT2_S1_PKT3_PKT1_PKS1_PS2_l16rocsparse_order_.has_dyn_sized_stack, 0
	.set _ZN9rocsparseL16csr2dense_kernelILi16ELi32EllfEEviT2_S1_PKT3_PKT1_PKS1_PS2_l16rocsparse_order_.has_recursion, 0
	.set _ZN9rocsparseL16csr2dense_kernelILi16ELi32EllfEEviT2_S1_PKT3_PKT1_PKS1_PS2_l16rocsparse_order_.has_indirect_call, 0
	.section	.AMDGPU.csdata,"",@progbits
; Kernel info:
; codeLenInByte = 456
; TotalNumSgprs: 21
; NumVgprs: 18
; NumAgprs: 0
; TotalNumVgprs: 18
; ScratchSize: 0
; MemoryBound: 0
; FloatMode: 240
; IeeeMode: 1
; LDSByteSize: 0 bytes/workgroup (compile time only)
; SGPRBlocks: 2
; VGPRBlocks: 2
; NumSGPRsForWavesPerEU: 21
; NumVGPRsForWavesPerEU: 18
; AccumOffset: 20
; Occupancy: 8
; WaveLimiterHint : 1
; COMPUTE_PGM_RSRC2:SCRATCH_EN: 0
; COMPUTE_PGM_RSRC2:USER_SGPR: 2
; COMPUTE_PGM_RSRC2:TRAP_HANDLER: 0
; COMPUTE_PGM_RSRC2:TGID_X_EN: 1
; COMPUTE_PGM_RSRC2:TGID_Y_EN: 0
; COMPUTE_PGM_RSRC2:TGID_Z_EN: 0
; COMPUTE_PGM_RSRC2:TIDIG_COMP_CNT: 0
; COMPUTE_PGM_RSRC3_GFX90A:ACCUM_OFFSET: 4
; COMPUTE_PGM_RSRC3_GFX90A:TG_SPLIT: 0
	.section	.text._ZN9rocsparseL16csr2dense_kernelILi16ELi64EllfEEviT2_S1_PKT3_PKT1_PKS1_PS2_l16rocsparse_order_,"axG",@progbits,_ZN9rocsparseL16csr2dense_kernelILi16ELi64EllfEEviT2_S1_PKT3_PKT1_PKS1_PS2_l16rocsparse_order_,comdat
	.globl	_ZN9rocsparseL16csr2dense_kernelILi16ELi64EllfEEviT2_S1_PKT3_PKT1_PKS1_PS2_l16rocsparse_order_ ; -- Begin function _ZN9rocsparseL16csr2dense_kernelILi16ELi64EllfEEviT2_S1_PKT3_PKT1_PKS1_PS2_l16rocsparse_order_
	.p2align	8
	.type	_ZN9rocsparseL16csr2dense_kernelILi16ELi64EllfEEviT2_S1_PKT3_PKT1_PKS1_PS2_l16rocsparse_order_,@function
_ZN9rocsparseL16csr2dense_kernelILi16ELi64EllfEEviT2_S1_PKT3_PKT1_PKS1_PS2_l16rocsparse_order_: ; @_ZN9rocsparseL16csr2dense_kernelILi16ELi64EllfEEviT2_S1_PKT3_PKT1_PKS1_PS2_l16rocsparse_order_
; %bb.0:
	s_load_dwordx2 s[4:5], s[0:1], 0x8
	v_lshrrev_b32_e32 v1, 6, v0
	v_lshl_or_b32 v8, s2, 4, v1
	v_mov_b32_e32 v1, 0
	v_mov_b32_e32 v9, v1
	s_waitcnt lgkmcnt(0)
	v_cmp_gt_i64_e32 vcc, s[4:5], v[8:9]
	s_and_saveexec_b64 s[2:3], vcc
	s_cbranch_execz .LBB166_8
; %bb.1:
	s_load_dwordx2 s[2:3], s[0:1], 0x20
	v_and_b32_e32 v0, 63, v0
	s_waitcnt lgkmcnt(0)
	v_lshl_add_u64 v[2:3], v[8:9], 3, s[2:3]
	global_load_dwordx4 v[2:5], v[2:3], off
	s_waitcnt vmcnt(0)
	v_sub_co_u32_e32 v4, vcc, v4, v2
	s_nop 1
	v_subb_co_u32_e32 v5, vcc, v5, v3, vcc
	v_cmp_gt_i64_e32 vcc, v[4:5], v[0:1]
	s_and_b64 exec, exec, vcc
	s_cbranch_execz .LBB166_8
; %bb.2:
	s_load_dword s14, s[0:1], 0x0
	s_load_dwordx4 s[8:11], s[0:1], 0x28
	s_load_dword s4, s[0:1], 0x40
	s_load_dwordx2 s[6:7], s[0:1], 0x18
	s_load_dwordx2 s[2:3], s[0:1], 0x38
	s_waitcnt lgkmcnt(0)
	s_ashr_i32 s12, s14, 31
	v_lshl_add_u64 v[6:7], v[8:9], 2, s[10:11]
	v_lshl_add_u64 v[2:3], v[2:3], 0, v[0:1]
	s_cmp_lg_u32 s4, 1
	v_mad_u64_u32 v[10:11], s[0:1], s2, v8, 0
	v_mov_b32_e32 v12, v11
	v_mad_u64_u32 v[8:9], s[0:1], s3, v8, v[12:13]
	v_mov_b32_e32 v11, v8
	v_lshl_add_u64 v[8:9], v[10:11], 2, s[10:11]
	v_mov_b32_e32 v11, s12
	v_subrev_co_u32_e32 v10, vcc, s14, v2
	s_cselect_b64 s[4:5], -1, 0
	s_nop 0
	v_subb_co_u32_e32 v11, vcc, v3, v11, vcc
	v_lshl_add_u64 v[2:3], v[10:11], 3, s[8:9]
	v_lshl_add_u64 v[10:11], v[10:11], 2, s[6:7]
	s_mov_b64 s[6:7], 0
	v_mov_b32_e32 v14, s12
	s_mov_b64 s[8:9], 0x200
	s_mov_b64 s[10:11], 0x100
	s_branch .LBB166_4
.LBB166_3:                              ;   in Loop: Header=BB166_4 Depth=1
	v_lshl_add_u64 v[0:1], v[0:1], 0, 64
	v_cmp_ge_i64_e32 vcc, v[0:1], v[4:5]
	v_lshl_add_u64 v[2:3], v[2:3], 0, s[8:9]
	s_or_b64 s[6:7], vcc, s[6:7]
	v_lshl_add_u64 v[10:11], v[10:11], 0, s[10:11]
	s_andn2_b64 exec, exec, s[6:7]
	s_cbranch_execz .LBB166_8
.LBB166_4:                              ; =>This Inner Loop Header: Depth=1
	s_barrier
	global_load_dwordx2 v[12:13], v[2:3], off
	global_load_dword v15, v[10:11], off
	s_mov_b64 s[12:13], -1
	s_and_b64 vcc, exec, s[4:5]
	s_waitcnt vmcnt(1)
	v_subrev_co_u32_e64 v12, s[0:1], s14, v12
	s_nop 1
	v_subb_co_u32_e64 v13, s[0:1], v13, v14, s[0:1]
	s_cbranch_vccz .LBB166_6
; %bb.5:                                ;   in Loop: Header=BB166_4 Depth=1
	v_lshl_add_u64 v[16:17], v[12:13], 2, v[8:9]
	s_waitcnt vmcnt(0)
	global_store_dword v[16:17], v15, off
	s_mov_b64 s[12:13], 0
.LBB166_6:                              ;   in Loop: Header=BB166_4 Depth=1
	s_andn2_b64 vcc, exec, s[12:13]
	s_cbranch_vccnz .LBB166_3
; %bb.7:                                ;   in Loop: Header=BB166_4 Depth=1
	v_mul_lo_u32 v16, v13, s2
	v_mul_lo_u32 v17, v12, s3
	v_mad_u64_u32 v[12:13], s[0:1], v12, s2, 0
	v_add3_u32 v13, v13, v17, v16
	v_lshl_add_u64 v[12:13], v[12:13], 2, v[6:7]
	s_waitcnt vmcnt(0)
	global_store_dword v[12:13], v15, off
	s_branch .LBB166_3
.LBB166_8:
	s_endpgm
	.section	.rodata,"a",@progbits
	.p2align	6, 0x0
	.amdhsa_kernel _ZN9rocsparseL16csr2dense_kernelILi16ELi64EllfEEviT2_S1_PKT3_PKT1_PKS1_PS2_l16rocsparse_order_
		.amdhsa_group_segment_fixed_size 0
		.amdhsa_private_segment_fixed_size 0
		.amdhsa_kernarg_size 68
		.amdhsa_user_sgpr_count 2
		.amdhsa_user_sgpr_dispatch_ptr 0
		.amdhsa_user_sgpr_queue_ptr 0
		.amdhsa_user_sgpr_kernarg_segment_ptr 1
		.amdhsa_user_sgpr_dispatch_id 0
		.amdhsa_user_sgpr_kernarg_preload_length 0
		.amdhsa_user_sgpr_kernarg_preload_offset 0
		.amdhsa_user_sgpr_private_segment_size 0
		.amdhsa_uses_dynamic_stack 0
		.amdhsa_enable_private_segment 0
		.amdhsa_system_sgpr_workgroup_id_x 1
		.amdhsa_system_sgpr_workgroup_id_y 0
		.amdhsa_system_sgpr_workgroup_id_z 0
		.amdhsa_system_sgpr_workgroup_info 0
		.amdhsa_system_vgpr_workitem_id 0
		.amdhsa_next_free_vgpr 18
		.amdhsa_next_free_sgpr 15
		.amdhsa_accum_offset 20
		.amdhsa_reserve_vcc 1
		.amdhsa_float_round_mode_32 0
		.amdhsa_float_round_mode_16_64 0
		.amdhsa_float_denorm_mode_32 3
		.amdhsa_float_denorm_mode_16_64 3
		.amdhsa_dx10_clamp 1
		.amdhsa_ieee_mode 1
		.amdhsa_fp16_overflow 0
		.amdhsa_tg_split 0
		.amdhsa_exception_fp_ieee_invalid_op 0
		.amdhsa_exception_fp_denorm_src 0
		.amdhsa_exception_fp_ieee_div_zero 0
		.amdhsa_exception_fp_ieee_overflow 0
		.amdhsa_exception_fp_ieee_underflow 0
		.amdhsa_exception_fp_ieee_inexact 0
		.amdhsa_exception_int_div_zero 0
	.end_amdhsa_kernel
	.section	.text._ZN9rocsparseL16csr2dense_kernelILi16ELi64EllfEEviT2_S1_PKT3_PKT1_PKS1_PS2_l16rocsparse_order_,"axG",@progbits,_ZN9rocsparseL16csr2dense_kernelILi16ELi64EllfEEviT2_S1_PKT3_PKT1_PKS1_PS2_l16rocsparse_order_,comdat
.Lfunc_end166:
	.size	_ZN9rocsparseL16csr2dense_kernelILi16ELi64EllfEEviT2_S1_PKT3_PKT1_PKS1_PS2_l16rocsparse_order_, .Lfunc_end166-_ZN9rocsparseL16csr2dense_kernelILi16ELi64EllfEEviT2_S1_PKT3_PKT1_PKS1_PS2_l16rocsparse_order_
                                        ; -- End function
	.set _ZN9rocsparseL16csr2dense_kernelILi16ELi64EllfEEviT2_S1_PKT3_PKT1_PKS1_PS2_l16rocsparse_order_.num_vgpr, 18
	.set _ZN9rocsparseL16csr2dense_kernelILi16ELi64EllfEEviT2_S1_PKT3_PKT1_PKS1_PS2_l16rocsparse_order_.num_agpr, 0
	.set _ZN9rocsparseL16csr2dense_kernelILi16ELi64EllfEEviT2_S1_PKT3_PKT1_PKS1_PS2_l16rocsparse_order_.numbered_sgpr, 15
	.set _ZN9rocsparseL16csr2dense_kernelILi16ELi64EllfEEviT2_S1_PKT3_PKT1_PKS1_PS2_l16rocsparse_order_.num_named_barrier, 0
	.set _ZN9rocsparseL16csr2dense_kernelILi16ELi64EllfEEviT2_S1_PKT3_PKT1_PKS1_PS2_l16rocsparse_order_.private_seg_size, 0
	.set _ZN9rocsparseL16csr2dense_kernelILi16ELi64EllfEEviT2_S1_PKT3_PKT1_PKS1_PS2_l16rocsparse_order_.uses_vcc, 1
	.set _ZN9rocsparseL16csr2dense_kernelILi16ELi64EllfEEviT2_S1_PKT3_PKT1_PKS1_PS2_l16rocsparse_order_.uses_flat_scratch, 0
	.set _ZN9rocsparseL16csr2dense_kernelILi16ELi64EllfEEviT2_S1_PKT3_PKT1_PKS1_PS2_l16rocsparse_order_.has_dyn_sized_stack, 0
	.set _ZN9rocsparseL16csr2dense_kernelILi16ELi64EllfEEviT2_S1_PKT3_PKT1_PKS1_PS2_l16rocsparse_order_.has_recursion, 0
	.set _ZN9rocsparseL16csr2dense_kernelILi16ELi64EllfEEviT2_S1_PKT3_PKT1_PKS1_PS2_l16rocsparse_order_.has_indirect_call, 0
	.section	.AMDGPU.csdata,"",@progbits
; Kernel info:
; codeLenInByte = 456
; TotalNumSgprs: 21
; NumVgprs: 18
; NumAgprs: 0
; TotalNumVgprs: 18
; ScratchSize: 0
; MemoryBound: 0
; FloatMode: 240
; IeeeMode: 1
; LDSByteSize: 0 bytes/workgroup (compile time only)
; SGPRBlocks: 2
; VGPRBlocks: 2
; NumSGPRsForWavesPerEU: 21
; NumVGPRsForWavesPerEU: 18
; AccumOffset: 20
; Occupancy: 8
; WaveLimiterHint : 1
; COMPUTE_PGM_RSRC2:SCRATCH_EN: 0
; COMPUTE_PGM_RSRC2:USER_SGPR: 2
; COMPUTE_PGM_RSRC2:TRAP_HANDLER: 0
; COMPUTE_PGM_RSRC2:TGID_X_EN: 1
; COMPUTE_PGM_RSRC2:TGID_Y_EN: 0
; COMPUTE_PGM_RSRC2:TGID_Z_EN: 0
; COMPUTE_PGM_RSRC2:TIDIG_COMP_CNT: 0
; COMPUTE_PGM_RSRC3_GFX90A:ACCUM_OFFSET: 4
; COMPUTE_PGM_RSRC3_GFX90A:TG_SPLIT: 0
	.section	.text._ZN9rocsparseL16csc2dense_kernelILi16ELi32EllfEEviT2_S1_PKT3_PKT1_PKS1_PS2_l16rocsparse_order_,"axG",@progbits,_ZN9rocsparseL16csc2dense_kernelILi16ELi32EllfEEviT2_S1_PKT3_PKT1_PKS1_PS2_l16rocsparse_order_,comdat
	.globl	_ZN9rocsparseL16csc2dense_kernelILi16ELi32EllfEEviT2_S1_PKT3_PKT1_PKS1_PS2_l16rocsparse_order_ ; -- Begin function _ZN9rocsparseL16csc2dense_kernelILi16ELi32EllfEEviT2_S1_PKT3_PKT1_PKS1_PS2_l16rocsparse_order_
	.p2align	8
	.type	_ZN9rocsparseL16csc2dense_kernelILi16ELi32EllfEEviT2_S1_PKT3_PKT1_PKS1_PS2_l16rocsparse_order_,@function
_ZN9rocsparseL16csc2dense_kernelILi16ELi32EllfEEviT2_S1_PKT3_PKT1_PKS1_PS2_l16rocsparse_order_: ; @_ZN9rocsparseL16csc2dense_kernelILi16ELi32EllfEEviT2_S1_PKT3_PKT1_PKS1_PS2_l16rocsparse_order_
; %bb.0:
	s_load_dwordx2 s[4:5], s[0:1], 0x10
	v_lshrrev_b32_e32 v1, 5, v0
	v_lshl_or_b32 v8, s2, 4, v1
	v_mov_b32_e32 v1, 0
	v_mov_b32_e32 v9, v1
	s_waitcnt lgkmcnt(0)
	v_cmp_gt_i64_e32 vcc, s[4:5], v[8:9]
	s_and_saveexec_b64 s[2:3], vcc
	s_cbranch_execz .LBB167_8
; %bb.1:
	s_load_dwordx2 s[2:3], s[0:1], 0x20
	v_and_b32_e32 v0, 31, v0
	s_waitcnt lgkmcnt(0)
	v_lshl_add_u64 v[2:3], v[8:9], 3, s[2:3]
	global_load_dwordx4 v[2:5], v[2:3], off
	s_waitcnt vmcnt(0)
	v_sub_co_u32_e32 v4, vcc, v4, v2
	s_nop 1
	v_subb_co_u32_e32 v5, vcc, v5, v3, vcc
	v_cmp_gt_i64_e32 vcc, v[4:5], v[0:1]
	s_and_b64 exec, exec, vcc
	s_cbranch_execz .LBB167_8
; %bb.2:
	s_load_dword s14, s[0:1], 0x0
	s_load_dwordx4 s[8:11], s[0:1], 0x28
	s_load_dword s4, s[0:1], 0x40
	s_load_dwordx2 s[6:7], s[0:1], 0x18
	s_load_dwordx2 s[2:3], s[0:1], 0x38
	s_waitcnt lgkmcnt(0)
	s_ashr_i32 s12, s14, 31
	v_lshl_add_u64 v[6:7], v[8:9], 2, s[10:11]
	v_lshl_add_u64 v[2:3], v[2:3], 0, v[0:1]
	s_cmp_lg_u32 s4, 1
	v_mad_u64_u32 v[10:11], s[0:1], s2, v8, 0
	v_mov_b32_e32 v12, v11
	v_mad_u64_u32 v[8:9], s[0:1], s3, v8, v[12:13]
	v_mov_b32_e32 v11, v8
	v_lshl_add_u64 v[8:9], v[10:11], 2, s[10:11]
	v_mov_b32_e32 v11, s12
	v_subrev_co_u32_e32 v10, vcc, s14, v2
	s_cselect_b64 s[4:5], -1, 0
	s_nop 0
	v_subb_co_u32_e32 v11, vcc, v3, v11, vcc
	v_lshl_add_u64 v[2:3], v[10:11], 3, s[8:9]
	v_lshl_add_u64 v[10:11], v[10:11], 2, s[6:7]
	s_mov_b64 s[6:7], 0
	v_mov_b32_e32 v14, s12
	s_mov_b64 s[8:9], 0x100
	s_mov_b64 s[10:11], 0x80
	s_branch .LBB167_4
.LBB167_3:                              ;   in Loop: Header=BB167_4 Depth=1
	v_lshl_add_u64 v[0:1], v[0:1], 0, 32
	v_cmp_ge_i64_e32 vcc, v[0:1], v[4:5]
	v_lshl_add_u64 v[2:3], v[2:3], 0, s[8:9]
	s_or_b64 s[6:7], vcc, s[6:7]
	v_lshl_add_u64 v[10:11], v[10:11], 0, s[10:11]
	s_andn2_b64 exec, exec, s[6:7]
	s_cbranch_execz .LBB167_8
.LBB167_4:                              ; =>This Inner Loop Header: Depth=1
	global_load_dwordx2 v[12:13], v[2:3], off
	global_load_dword v15, v[10:11], off
	s_mov_b64 s[12:13], -1
	s_and_b64 vcc, exec, s[4:5]
	s_waitcnt vmcnt(1)
	v_subrev_co_u32_e64 v12, s[0:1], s14, v12
	s_nop 1
	v_subb_co_u32_e64 v13, s[0:1], v13, v14, s[0:1]
	s_cbranch_vccz .LBB167_6
; %bb.5:                                ;   in Loop: Header=BB167_4 Depth=1
	v_mul_lo_u32 v18, v13, s2
	v_mul_lo_u32 v19, v12, s3
	v_mad_u64_u32 v[16:17], s[0:1], v12, s2, 0
	v_add3_u32 v17, v17, v19, v18
	v_lshl_add_u64 v[16:17], v[16:17], 2, v[6:7]
	s_waitcnt vmcnt(0)
	global_store_dword v[16:17], v15, off
	s_mov_b64 s[12:13], 0
.LBB167_6:                              ;   in Loop: Header=BB167_4 Depth=1
	s_andn2_b64 vcc, exec, s[12:13]
	s_cbranch_vccnz .LBB167_3
; %bb.7:                                ;   in Loop: Header=BB167_4 Depth=1
	v_lshl_add_u64 v[12:13], v[12:13], 2, v[8:9]
	s_waitcnt vmcnt(0)
	global_store_dword v[12:13], v15, off
	s_branch .LBB167_3
.LBB167_8:
	s_endpgm
	.section	.rodata,"a",@progbits
	.p2align	6, 0x0
	.amdhsa_kernel _ZN9rocsparseL16csc2dense_kernelILi16ELi32EllfEEviT2_S1_PKT3_PKT1_PKS1_PS2_l16rocsparse_order_
		.amdhsa_group_segment_fixed_size 0
		.amdhsa_private_segment_fixed_size 0
		.amdhsa_kernarg_size 68
		.amdhsa_user_sgpr_count 2
		.amdhsa_user_sgpr_dispatch_ptr 0
		.amdhsa_user_sgpr_queue_ptr 0
		.amdhsa_user_sgpr_kernarg_segment_ptr 1
		.amdhsa_user_sgpr_dispatch_id 0
		.amdhsa_user_sgpr_kernarg_preload_length 0
		.amdhsa_user_sgpr_kernarg_preload_offset 0
		.amdhsa_user_sgpr_private_segment_size 0
		.amdhsa_uses_dynamic_stack 0
		.amdhsa_enable_private_segment 0
		.amdhsa_system_sgpr_workgroup_id_x 1
		.amdhsa_system_sgpr_workgroup_id_y 0
		.amdhsa_system_sgpr_workgroup_id_z 0
		.amdhsa_system_sgpr_workgroup_info 0
		.amdhsa_system_vgpr_workitem_id 0
		.amdhsa_next_free_vgpr 20
		.amdhsa_next_free_sgpr 15
		.amdhsa_accum_offset 20
		.amdhsa_reserve_vcc 1
		.amdhsa_float_round_mode_32 0
		.amdhsa_float_round_mode_16_64 0
		.amdhsa_float_denorm_mode_32 3
		.amdhsa_float_denorm_mode_16_64 3
		.amdhsa_dx10_clamp 1
		.amdhsa_ieee_mode 1
		.amdhsa_fp16_overflow 0
		.amdhsa_tg_split 0
		.amdhsa_exception_fp_ieee_invalid_op 0
		.amdhsa_exception_fp_denorm_src 0
		.amdhsa_exception_fp_ieee_div_zero 0
		.amdhsa_exception_fp_ieee_overflow 0
		.amdhsa_exception_fp_ieee_underflow 0
		.amdhsa_exception_fp_ieee_inexact 0
		.amdhsa_exception_int_div_zero 0
	.end_amdhsa_kernel
	.section	.text._ZN9rocsparseL16csc2dense_kernelILi16ELi32EllfEEviT2_S1_PKT3_PKT1_PKS1_PS2_l16rocsparse_order_,"axG",@progbits,_ZN9rocsparseL16csc2dense_kernelILi16ELi32EllfEEviT2_S1_PKT3_PKT1_PKS1_PS2_l16rocsparse_order_,comdat
.Lfunc_end167:
	.size	_ZN9rocsparseL16csc2dense_kernelILi16ELi32EllfEEviT2_S1_PKT3_PKT1_PKS1_PS2_l16rocsparse_order_, .Lfunc_end167-_ZN9rocsparseL16csc2dense_kernelILi16ELi32EllfEEviT2_S1_PKT3_PKT1_PKS1_PS2_l16rocsparse_order_
                                        ; -- End function
	.set _ZN9rocsparseL16csc2dense_kernelILi16ELi32EllfEEviT2_S1_PKT3_PKT1_PKS1_PS2_l16rocsparse_order_.num_vgpr, 20
	.set _ZN9rocsparseL16csc2dense_kernelILi16ELi32EllfEEviT2_S1_PKT3_PKT1_PKS1_PS2_l16rocsparse_order_.num_agpr, 0
	.set _ZN9rocsparseL16csc2dense_kernelILi16ELi32EllfEEviT2_S1_PKT3_PKT1_PKS1_PS2_l16rocsparse_order_.numbered_sgpr, 15
	.set _ZN9rocsparseL16csc2dense_kernelILi16ELi32EllfEEviT2_S1_PKT3_PKT1_PKS1_PS2_l16rocsparse_order_.num_named_barrier, 0
	.set _ZN9rocsparseL16csc2dense_kernelILi16ELi32EllfEEviT2_S1_PKT3_PKT1_PKS1_PS2_l16rocsparse_order_.private_seg_size, 0
	.set _ZN9rocsparseL16csc2dense_kernelILi16ELi32EllfEEviT2_S1_PKT3_PKT1_PKS1_PS2_l16rocsparse_order_.uses_vcc, 1
	.set _ZN9rocsparseL16csc2dense_kernelILi16ELi32EllfEEviT2_S1_PKT3_PKT1_PKS1_PS2_l16rocsparse_order_.uses_flat_scratch, 0
	.set _ZN9rocsparseL16csc2dense_kernelILi16ELi32EllfEEviT2_S1_PKT3_PKT1_PKS1_PS2_l16rocsparse_order_.has_dyn_sized_stack, 0
	.set _ZN9rocsparseL16csc2dense_kernelILi16ELi32EllfEEviT2_S1_PKT3_PKT1_PKS1_PS2_l16rocsparse_order_.has_recursion, 0
	.set _ZN9rocsparseL16csc2dense_kernelILi16ELi32EllfEEviT2_S1_PKT3_PKT1_PKS1_PS2_l16rocsparse_order_.has_indirect_call, 0
	.section	.AMDGPU.csdata,"",@progbits
; Kernel info:
; codeLenInByte = 452
; TotalNumSgprs: 21
; NumVgprs: 20
; NumAgprs: 0
; TotalNumVgprs: 20
; ScratchSize: 0
; MemoryBound: 0
; FloatMode: 240
; IeeeMode: 1
; LDSByteSize: 0 bytes/workgroup (compile time only)
; SGPRBlocks: 2
; VGPRBlocks: 2
; NumSGPRsForWavesPerEU: 21
; NumVGPRsForWavesPerEU: 20
; AccumOffset: 20
; Occupancy: 8
; WaveLimiterHint : 1
; COMPUTE_PGM_RSRC2:SCRATCH_EN: 0
; COMPUTE_PGM_RSRC2:USER_SGPR: 2
; COMPUTE_PGM_RSRC2:TRAP_HANDLER: 0
; COMPUTE_PGM_RSRC2:TGID_X_EN: 1
; COMPUTE_PGM_RSRC2:TGID_Y_EN: 0
; COMPUTE_PGM_RSRC2:TGID_Z_EN: 0
; COMPUTE_PGM_RSRC2:TIDIG_COMP_CNT: 0
; COMPUTE_PGM_RSRC3_GFX90A:ACCUM_OFFSET: 4
; COMPUTE_PGM_RSRC3_GFX90A:TG_SPLIT: 0
	.section	.text._ZN9rocsparseL16csc2dense_kernelILi16ELi64EllfEEviT2_S1_PKT3_PKT1_PKS1_PS2_l16rocsparse_order_,"axG",@progbits,_ZN9rocsparseL16csc2dense_kernelILi16ELi64EllfEEviT2_S1_PKT3_PKT1_PKS1_PS2_l16rocsparse_order_,comdat
	.globl	_ZN9rocsparseL16csc2dense_kernelILi16ELi64EllfEEviT2_S1_PKT3_PKT1_PKS1_PS2_l16rocsparse_order_ ; -- Begin function _ZN9rocsparseL16csc2dense_kernelILi16ELi64EllfEEviT2_S1_PKT3_PKT1_PKS1_PS2_l16rocsparse_order_
	.p2align	8
	.type	_ZN9rocsparseL16csc2dense_kernelILi16ELi64EllfEEviT2_S1_PKT3_PKT1_PKS1_PS2_l16rocsparse_order_,@function
_ZN9rocsparseL16csc2dense_kernelILi16ELi64EllfEEviT2_S1_PKT3_PKT1_PKS1_PS2_l16rocsparse_order_: ; @_ZN9rocsparseL16csc2dense_kernelILi16ELi64EllfEEviT2_S1_PKT3_PKT1_PKS1_PS2_l16rocsparse_order_
; %bb.0:
	s_load_dwordx2 s[4:5], s[0:1], 0x10
	v_lshrrev_b32_e32 v1, 6, v0
	v_lshl_or_b32 v8, s2, 4, v1
	v_mov_b32_e32 v1, 0
	v_mov_b32_e32 v9, v1
	s_waitcnt lgkmcnt(0)
	v_cmp_gt_i64_e32 vcc, s[4:5], v[8:9]
	s_and_saveexec_b64 s[2:3], vcc
	s_cbranch_execz .LBB168_8
; %bb.1:
	s_load_dwordx2 s[2:3], s[0:1], 0x20
	v_and_b32_e32 v0, 63, v0
	s_waitcnt lgkmcnt(0)
	v_lshl_add_u64 v[2:3], v[8:9], 3, s[2:3]
	global_load_dwordx4 v[2:5], v[2:3], off
	s_waitcnt vmcnt(0)
	v_sub_co_u32_e32 v4, vcc, v4, v2
	s_nop 1
	v_subb_co_u32_e32 v5, vcc, v5, v3, vcc
	v_cmp_gt_i64_e32 vcc, v[4:5], v[0:1]
	s_and_b64 exec, exec, vcc
	s_cbranch_execz .LBB168_8
; %bb.2:
	s_load_dword s14, s[0:1], 0x0
	s_load_dwordx4 s[8:11], s[0:1], 0x28
	s_load_dword s4, s[0:1], 0x40
	s_load_dwordx2 s[6:7], s[0:1], 0x18
	s_load_dwordx2 s[2:3], s[0:1], 0x38
	s_waitcnt lgkmcnt(0)
	s_ashr_i32 s12, s14, 31
	v_lshl_add_u64 v[6:7], v[8:9], 2, s[10:11]
	v_lshl_add_u64 v[2:3], v[2:3], 0, v[0:1]
	s_cmp_lg_u32 s4, 1
	v_mad_u64_u32 v[10:11], s[0:1], s2, v8, 0
	v_mov_b32_e32 v12, v11
	v_mad_u64_u32 v[8:9], s[0:1], s3, v8, v[12:13]
	v_mov_b32_e32 v11, v8
	v_lshl_add_u64 v[8:9], v[10:11], 2, s[10:11]
	v_mov_b32_e32 v11, s12
	v_subrev_co_u32_e32 v10, vcc, s14, v2
	s_cselect_b64 s[4:5], -1, 0
	s_nop 0
	v_subb_co_u32_e32 v11, vcc, v3, v11, vcc
	v_lshl_add_u64 v[2:3], v[10:11], 3, s[8:9]
	v_lshl_add_u64 v[10:11], v[10:11], 2, s[6:7]
	s_mov_b64 s[6:7], 0
	v_mov_b32_e32 v14, s12
	s_mov_b64 s[8:9], 0x200
	s_mov_b64 s[10:11], 0x100
	s_branch .LBB168_4
.LBB168_3:                              ;   in Loop: Header=BB168_4 Depth=1
	v_lshl_add_u64 v[0:1], v[0:1], 0, 64
	v_cmp_ge_i64_e32 vcc, v[0:1], v[4:5]
	v_lshl_add_u64 v[2:3], v[2:3], 0, s[8:9]
	s_or_b64 s[6:7], vcc, s[6:7]
	v_lshl_add_u64 v[10:11], v[10:11], 0, s[10:11]
	s_andn2_b64 exec, exec, s[6:7]
	s_cbranch_execz .LBB168_8
.LBB168_4:                              ; =>This Inner Loop Header: Depth=1
	global_load_dwordx2 v[12:13], v[2:3], off
	global_load_dword v15, v[10:11], off
	s_mov_b64 s[12:13], -1
	s_and_b64 vcc, exec, s[4:5]
	s_waitcnt vmcnt(1)
	v_subrev_co_u32_e64 v12, s[0:1], s14, v12
	s_nop 1
	v_subb_co_u32_e64 v13, s[0:1], v13, v14, s[0:1]
	s_cbranch_vccz .LBB168_6
; %bb.5:                                ;   in Loop: Header=BB168_4 Depth=1
	v_mul_lo_u32 v18, v13, s2
	v_mul_lo_u32 v19, v12, s3
	v_mad_u64_u32 v[16:17], s[0:1], v12, s2, 0
	v_add3_u32 v17, v17, v19, v18
	v_lshl_add_u64 v[16:17], v[16:17], 2, v[6:7]
	s_waitcnt vmcnt(0)
	global_store_dword v[16:17], v15, off
	s_mov_b64 s[12:13], 0
.LBB168_6:                              ;   in Loop: Header=BB168_4 Depth=1
	s_andn2_b64 vcc, exec, s[12:13]
	s_cbranch_vccnz .LBB168_3
; %bb.7:                                ;   in Loop: Header=BB168_4 Depth=1
	v_lshl_add_u64 v[12:13], v[12:13], 2, v[8:9]
	s_waitcnt vmcnt(0)
	global_store_dword v[12:13], v15, off
	s_branch .LBB168_3
.LBB168_8:
	s_endpgm
	.section	.rodata,"a",@progbits
	.p2align	6, 0x0
	.amdhsa_kernel _ZN9rocsparseL16csc2dense_kernelILi16ELi64EllfEEviT2_S1_PKT3_PKT1_PKS1_PS2_l16rocsparse_order_
		.amdhsa_group_segment_fixed_size 0
		.amdhsa_private_segment_fixed_size 0
		.amdhsa_kernarg_size 68
		.amdhsa_user_sgpr_count 2
		.amdhsa_user_sgpr_dispatch_ptr 0
		.amdhsa_user_sgpr_queue_ptr 0
		.amdhsa_user_sgpr_kernarg_segment_ptr 1
		.amdhsa_user_sgpr_dispatch_id 0
		.amdhsa_user_sgpr_kernarg_preload_length 0
		.amdhsa_user_sgpr_kernarg_preload_offset 0
		.amdhsa_user_sgpr_private_segment_size 0
		.amdhsa_uses_dynamic_stack 0
		.amdhsa_enable_private_segment 0
		.amdhsa_system_sgpr_workgroup_id_x 1
		.amdhsa_system_sgpr_workgroup_id_y 0
		.amdhsa_system_sgpr_workgroup_id_z 0
		.amdhsa_system_sgpr_workgroup_info 0
		.amdhsa_system_vgpr_workitem_id 0
		.amdhsa_next_free_vgpr 20
		.amdhsa_next_free_sgpr 15
		.amdhsa_accum_offset 20
		.amdhsa_reserve_vcc 1
		.amdhsa_float_round_mode_32 0
		.amdhsa_float_round_mode_16_64 0
		.amdhsa_float_denorm_mode_32 3
		.amdhsa_float_denorm_mode_16_64 3
		.amdhsa_dx10_clamp 1
		.amdhsa_ieee_mode 1
		.amdhsa_fp16_overflow 0
		.amdhsa_tg_split 0
		.amdhsa_exception_fp_ieee_invalid_op 0
		.amdhsa_exception_fp_denorm_src 0
		.amdhsa_exception_fp_ieee_div_zero 0
		.amdhsa_exception_fp_ieee_overflow 0
		.amdhsa_exception_fp_ieee_underflow 0
		.amdhsa_exception_fp_ieee_inexact 0
		.amdhsa_exception_int_div_zero 0
	.end_amdhsa_kernel
	.section	.text._ZN9rocsparseL16csc2dense_kernelILi16ELi64EllfEEviT2_S1_PKT3_PKT1_PKS1_PS2_l16rocsparse_order_,"axG",@progbits,_ZN9rocsparseL16csc2dense_kernelILi16ELi64EllfEEviT2_S1_PKT3_PKT1_PKS1_PS2_l16rocsparse_order_,comdat
.Lfunc_end168:
	.size	_ZN9rocsparseL16csc2dense_kernelILi16ELi64EllfEEviT2_S1_PKT3_PKT1_PKS1_PS2_l16rocsparse_order_, .Lfunc_end168-_ZN9rocsparseL16csc2dense_kernelILi16ELi64EllfEEviT2_S1_PKT3_PKT1_PKS1_PS2_l16rocsparse_order_
                                        ; -- End function
	.set _ZN9rocsparseL16csc2dense_kernelILi16ELi64EllfEEviT2_S1_PKT3_PKT1_PKS1_PS2_l16rocsparse_order_.num_vgpr, 20
	.set _ZN9rocsparseL16csc2dense_kernelILi16ELi64EllfEEviT2_S1_PKT3_PKT1_PKS1_PS2_l16rocsparse_order_.num_agpr, 0
	.set _ZN9rocsparseL16csc2dense_kernelILi16ELi64EllfEEviT2_S1_PKT3_PKT1_PKS1_PS2_l16rocsparse_order_.numbered_sgpr, 15
	.set _ZN9rocsparseL16csc2dense_kernelILi16ELi64EllfEEviT2_S1_PKT3_PKT1_PKS1_PS2_l16rocsparse_order_.num_named_barrier, 0
	.set _ZN9rocsparseL16csc2dense_kernelILi16ELi64EllfEEviT2_S1_PKT3_PKT1_PKS1_PS2_l16rocsparse_order_.private_seg_size, 0
	.set _ZN9rocsparseL16csc2dense_kernelILi16ELi64EllfEEviT2_S1_PKT3_PKT1_PKS1_PS2_l16rocsparse_order_.uses_vcc, 1
	.set _ZN9rocsparseL16csc2dense_kernelILi16ELi64EllfEEviT2_S1_PKT3_PKT1_PKS1_PS2_l16rocsparse_order_.uses_flat_scratch, 0
	.set _ZN9rocsparseL16csc2dense_kernelILi16ELi64EllfEEviT2_S1_PKT3_PKT1_PKS1_PS2_l16rocsparse_order_.has_dyn_sized_stack, 0
	.set _ZN9rocsparseL16csc2dense_kernelILi16ELi64EllfEEviT2_S1_PKT3_PKT1_PKS1_PS2_l16rocsparse_order_.has_recursion, 0
	.set _ZN9rocsparseL16csc2dense_kernelILi16ELi64EllfEEviT2_S1_PKT3_PKT1_PKS1_PS2_l16rocsparse_order_.has_indirect_call, 0
	.section	.AMDGPU.csdata,"",@progbits
; Kernel info:
; codeLenInByte = 452
; TotalNumSgprs: 21
; NumVgprs: 20
; NumAgprs: 0
; TotalNumVgprs: 20
; ScratchSize: 0
; MemoryBound: 0
; FloatMode: 240
; IeeeMode: 1
; LDSByteSize: 0 bytes/workgroup (compile time only)
; SGPRBlocks: 2
; VGPRBlocks: 2
; NumSGPRsForWavesPerEU: 21
; NumVGPRsForWavesPerEU: 20
; AccumOffset: 20
; Occupancy: 8
; WaveLimiterHint : 1
; COMPUTE_PGM_RSRC2:SCRATCH_EN: 0
; COMPUTE_PGM_RSRC2:USER_SGPR: 2
; COMPUTE_PGM_RSRC2:TRAP_HANDLER: 0
; COMPUTE_PGM_RSRC2:TGID_X_EN: 1
; COMPUTE_PGM_RSRC2:TGID_Y_EN: 0
; COMPUTE_PGM_RSRC2:TGID_Z_EN: 0
; COMPUTE_PGM_RSRC2:TIDIG_COMP_CNT: 0
; COMPUTE_PGM_RSRC3_GFX90A:ACCUM_OFFSET: 4
; COMPUTE_PGM_RSRC3_GFX90A:TG_SPLIT: 0
	.section	.text._ZN9rocsparseL23sddmm_csx_sample_kernelILi512ELi64EL20rocsparse_direction_1EfllfEEvT4_S2_T3_PKT5_S2_PS4_PKS3_PKS2_21rocsparse_index_base_,"axG",@progbits,_ZN9rocsparseL23sddmm_csx_sample_kernelILi512ELi64EL20rocsparse_direction_1EfllfEEvT4_S2_T3_PKT5_S2_PS4_PKS3_PKS2_21rocsparse_index_base_,comdat
	.globl	_ZN9rocsparseL23sddmm_csx_sample_kernelILi512ELi64EL20rocsparse_direction_1EfllfEEvT4_S2_T3_PKT5_S2_PS4_PKS3_PKS2_21rocsparse_index_base_ ; -- Begin function _ZN9rocsparseL23sddmm_csx_sample_kernelILi512ELi64EL20rocsparse_direction_1EfllfEEvT4_S2_T3_PKT5_S2_PS4_PKS3_PKS2_21rocsparse_index_base_
	.p2align	8
	.type	_ZN9rocsparseL23sddmm_csx_sample_kernelILi512ELi64EL20rocsparse_direction_1EfllfEEvT4_S2_T3_PKT5_S2_PS4_PKS3_PKS2_21rocsparse_index_base_,@function
_ZN9rocsparseL23sddmm_csx_sample_kernelILi512ELi64EL20rocsparse_direction_1EfllfEEvT4_S2_T3_PKT5_S2_PS4_PKS3_PKS2_21rocsparse_index_base_: ; @_ZN9rocsparseL23sddmm_csx_sample_kernelILi512ELi64EL20rocsparse_direction_1EfllfEEvT4_S2_T3_PKT5_S2_PS4_PKS3_PKS2_21rocsparse_index_base_
; %bb.0:
	s_load_dwordx2 s[4:5], s[0:1], 0x8
	v_lshrrev_b32_e32 v1, 6, v0
	v_lshl_or_b32 v4, s2, 3, v1
	v_mov_b32_e32 v5, 0
	s_waitcnt lgkmcnt(0)
	v_cmp_gt_i64_e32 vcc, s[4:5], v[4:5]
	s_and_saveexec_b64 s[2:3], vcc
	s_cbranch_execz .LBB169_4
; %bb.1:
	s_load_dwordx2 s[2:3], s[0:1], 0x30
	s_load_dword s6, s[0:1], 0x40
	v_add_u32_e32 v2, 1, v4
	v_mov_b32_e32 v3, v5
	v_and_b32_e32 v0, 63, v0
	s_waitcnt lgkmcnt(0)
	v_lshl_add_u64 v[6:7], v[4:5], 3, s[2:3]
	v_lshl_add_u64 v[2:3], v[2:3], 3, s[2:3]
	global_load_dwordx2 v[6:7], v[6:7], off
	v_subrev_co_u32_e32 v0, vcc, s6, v0
	global_load_dwordx2 v[2:3], v[2:3], off
	s_nop 0
	v_subb_co_u32_e64 v1, s[2:3], 0, 0, vcc
	s_waitcnt vmcnt(1)
	v_lshl_add_u64 v[0:1], v[0:1], 0, v[6:7]
	s_waitcnt vmcnt(0)
	v_subrev_co_u32_e32 v2, vcc, s6, v2
	s_nop 1
	v_subbrev_co_u32_e32 v3, vcc, 0, v3, vcc
	v_cmp_lt_i64_e32 vcc, v[0:1], v[2:3]
	s_and_b64 exec, exec, vcc
	s_cbranch_execz .LBB169_4
; %bb.2:
	s_load_dwordx4 s[8:11], s[0:1], 0x18
	s_load_dwordx2 s[2:3], s[0:1], 0x28
	s_load_dwordx2 s[4:5], s[0:1], 0x38
	s_waitcnt lgkmcnt(0)
	v_mad_u64_u32 v[6:7], s[0:1], s10, v4, 0
	v_mov_b32_e32 v8, v7
	v_mad_u64_u32 v[4:5], s[0:1], s11, v4, v[8:9]
	v_mov_b32_e32 v7, v4
	v_lshl_add_u64 v[4:5], v[6:7], 2, s[8:9]
	v_lshl_add_u64 v[6:7], v[0:1], 2, s[2:3]
	;; [unrolled: 1-line block ×3, first 2 shown]
	s_mov_b64 s[0:1], 0
	s_mov_b64 s[2:3], 0x100
	s_mov_b64 s[4:5], 0x200
.LBB169_3:                              ; =>This Inner Loop Header: Depth=1
	global_load_dwordx2 v[10:11], v[8:9], off
	v_lshl_add_u64 v[0:1], v[0:1], 0, 64
	v_lshl_add_u64 v[8:9], v[8:9], 0, s[4:5]
	s_waitcnt vmcnt(0)
	v_subrev_co_u32_e32 v10, vcc, s6, v10
	s_nop 1
	v_subbrev_co_u32_e32 v11, vcc, 0, v11, vcc
	v_lshl_add_u64 v[10:11], v[10:11], 2, v[4:5]
	global_load_dword v10, v[10:11], off
	v_cmp_ge_i64_e32 vcc, v[0:1], v[2:3]
	s_or_b64 s[0:1], vcc, s[0:1]
	s_waitcnt vmcnt(0)
	global_store_dword v[6:7], v10, off
	v_lshl_add_u64 v[6:7], v[6:7], 0, s[2:3]
	s_andn2_b64 exec, exec, s[0:1]
	s_cbranch_execnz .LBB169_3
.LBB169_4:
	s_endpgm
	.section	.rodata,"a",@progbits
	.p2align	6, 0x0
	.amdhsa_kernel _ZN9rocsparseL23sddmm_csx_sample_kernelILi512ELi64EL20rocsparse_direction_1EfllfEEvT4_S2_T3_PKT5_S2_PS4_PKS3_PKS2_21rocsparse_index_base_
		.amdhsa_group_segment_fixed_size 0
		.amdhsa_private_segment_fixed_size 0
		.amdhsa_kernarg_size 68
		.amdhsa_user_sgpr_count 2
		.amdhsa_user_sgpr_dispatch_ptr 0
		.amdhsa_user_sgpr_queue_ptr 0
		.amdhsa_user_sgpr_kernarg_segment_ptr 1
		.amdhsa_user_sgpr_dispatch_id 0
		.amdhsa_user_sgpr_kernarg_preload_length 0
		.amdhsa_user_sgpr_kernarg_preload_offset 0
		.amdhsa_user_sgpr_private_segment_size 0
		.amdhsa_uses_dynamic_stack 0
		.amdhsa_enable_private_segment 0
		.amdhsa_system_sgpr_workgroup_id_x 1
		.amdhsa_system_sgpr_workgroup_id_y 0
		.amdhsa_system_sgpr_workgroup_id_z 0
		.amdhsa_system_sgpr_workgroup_info 0
		.amdhsa_system_vgpr_workitem_id 0
		.amdhsa_next_free_vgpr 12
		.amdhsa_next_free_sgpr 12
		.amdhsa_accum_offset 12
		.amdhsa_reserve_vcc 1
		.amdhsa_float_round_mode_32 0
		.amdhsa_float_round_mode_16_64 0
		.amdhsa_float_denorm_mode_32 3
		.amdhsa_float_denorm_mode_16_64 3
		.amdhsa_dx10_clamp 1
		.amdhsa_ieee_mode 1
		.amdhsa_fp16_overflow 0
		.amdhsa_tg_split 0
		.amdhsa_exception_fp_ieee_invalid_op 0
		.amdhsa_exception_fp_denorm_src 0
		.amdhsa_exception_fp_ieee_div_zero 0
		.amdhsa_exception_fp_ieee_overflow 0
		.amdhsa_exception_fp_ieee_underflow 0
		.amdhsa_exception_fp_ieee_inexact 0
		.amdhsa_exception_int_div_zero 0
	.end_amdhsa_kernel
	.section	.text._ZN9rocsparseL23sddmm_csx_sample_kernelILi512ELi64EL20rocsparse_direction_1EfllfEEvT4_S2_T3_PKT5_S2_PS4_PKS3_PKS2_21rocsparse_index_base_,"axG",@progbits,_ZN9rocsparseL23sddmm_csx_sample_kernelILi512ELi64EL20rocsparse_direction_1EfllfEEvT4_S2_T3_PKT5_S2_PS4_PKS3_PKS2_21rocsparse_index_base_,comdat
.Lfunc_end169:
	.size	_ZN9rocsparseL23sddmm_csx_sample_kernelILi512ELi64EL20rocsparse_direction_1EfllfEEvT4_S2_T3_PKT5_S2_PS4_PKS3_PKS2_21rocsparse_index_base_, .Lfunc_end169-_ZN9rocsparseL23sddmm_csx_sample_kernelILi512ELi64EL20rocsparse_direction_1EfllfEEvT4_S2_T3_PKT5_S2_PS4_PKS3_PKS2_21rocsparse_index_base_
                                        ; -- End function
	.set _ZN9rocsparseL23sddmm_csx_sample_kernelILi512ELi64EL20rocsparse_direction_1EfllfEEvT4_S2_T3_PKT5_S2_PS4_PKS3_PKS2_21rocsparse_index_base_.num_vgpr, 12
	.set _ZN9rocsparseL23sddmm_csx_sample_kernelILi512ELi64EL20rocsparse_direction_1EfllfEEvT4_S2_T3_PKT5_S2_PS4_PKS3_PKS2_21rocsparse_index_base_.num_agpr, 0
	.set _ZN9rocsparseL23sddmm_csx_sample_kernelILi512ELi64EL20rocsparse_direction_1EfllfEEvT4_S2_T3_PKT5_S2_PS4_PKS3_PKS2_21rocsparse_index_base_.numbered_sgpr, 12
	.set _ZN9rocsparseL23sddmm_csx_sample_kernelILi512ELi64EL20rocsparse_direction_1EfllfEEvT4_S2_T3_PKT5_S2_PS4_PKS3_PKS2_21rocsparse_index_base_.num_named_barrier, 0
	.set _ZN9rocsparseL23sddmm_csx_sample_kernelILi512ELi64EL20rocsparse_direction_1EfllfEEvT4_S2_T3_PKT5_S2_PS4_PKS3_PKS2_21rocsparse_index_base_.private_seg_size, 0
	.set _ZN9rocsparseL23sddmm_csx_sample_kernelILi512ELi64EL20rocsparse_direction_1EfllfEEvT4_S2_T3_PKT5_S2_PS4_PKS3_PKS2_21rocsparse_index_base_.uses_vcc, 1
	.set _ZN9rocsparseL23sddmm_csx_sample_kernelILi512ELi64EL20rocsparse_direction_1EfllfEEvT4_S2_T3_PKT5_S2_PS4_PKS3_PKS2_21rocsparse_index_base_.uses_flat_scratch, 0
	.set _ZN9rocsparseL23sddmm_csx_sample_kernelILi512ELi64EL20rocsparse_direction_1EfllfEEvT4_S2_T3_PKT5_S2_PS4_PKS3_PKS2_21rocsparse_index_base_.has_dyn_sized_stack, 0
	.set _ZN9rocsparseL23sddmm_csx_sample_kernelILi512ELi64EL20rocsparse_direction_1EfllfEEvT4_S2_T3_PKT5_S2_PS4_PKS3_PKS2_21rocsparse_index_base_.has_recursion, 0
	.set _ZN9rocsparseL23sddmm_csx_sample_kernelILi512ELi64EL20rocsparse_direction_1EfllfEEvT4_S2_T3_PKT5_S2_PS4_PKS3_PKS2_21rocsparse_index_base_.has_indirect_call, 0
	.section	.AMDGPU.csdata,"",@progbits
; Kernel info:
; codeLenInByte = 352
; TotalNumSgprs: 18
; NumVgprs: 12
; NumAgprs: 0
; TotalNumVgprs: 12
; ScratchSize: 0
; MemoryBound: 0
; FloatMode: 240
; IeeeMode: 1
; LDSByteSize: 0 bytes/workgroup (compile time only)
; SGPRBlocks: 2
; VGPRBlocks: 1
; NumSGPRsForWavesPerEU: 18
; NumVGPRsForWavesPerEU: 12
; AccumOffset: 12
; Occupancy: 8
; WaveLimiterHint : 1
; COMPUTE_PGM_RSRC2:SCRATCH_EN: 0
; COMPUTE_PGM_RSRC2:USER_SGPR: 2
; COMPUTE_PGM_RSRC2:TRAP_HANDLER: 0
; COMPUTE_PGM_RSRC2:TGID_X_EN: 1
; COMPUTE_PGM_RSRC2:TGID_Y_EN: 0
; COMPUTE_PGM_RSRC2:TGID_Z_EN: 0
; COMPUTE_PGM_RSRC2:TIDIG_COMP_CNT: 0
; COMPUTE_PGM_RSRC3_GFX90A:ACCUM_OFFSET: 2
; COMPUTE_PGM_RSRC3_GFX90A:TG_SPLIT: 0
	.section	.text._ZN9rocsparseL23sddmm_csx_sample_kernelILi512ELi32EL20rocsparse_direction_1EfllfEEvT4_S2_T3_PKT5_S2_PS4_PKS3_PKS2_21rocsparse_index_base_,"axG",@progbits,_ZN9rocsparseL23sddmm_csx_sample_kernelILi512ELi32EL20rocsparse_direction_1EfllfEEvT4_S2_T3_PKT5_S2_PS4_PKS3_PKS2_21rocsparse_index_base_,comdat
	.globl	_ZN9rocsparseL23sddmm_csx_sample_kernelILi512ELi32EL20rocsparse_direction_1EfllfEEvT4_S2_T3_PKT5_S2_PS4_PKS3_PKS2_21rocsparse_index_base_ ; -- Begin function _ZN9rocsparseL23sddmm_csx_sample_kernelILi512ELi32EL20rocsparse_direction_1EfllfEEvT4_S2_T3_PKT5_S2_PS4_PKS3_PKS2_21rocsparse_index_base_
	.p2align	8
	.type	_ZN9rocsparseL23sddmm_csx_sample_kernelILi512ELi32EL20rocsparse_direction_1EfllfEEvT4_S2_T3_PKT5_S2_PS4_PKS3_PKS2_21rocsparse_index_base_,@function
_ZN9rocsparseL23sddmm_csx_sample_kernelILi512ELi32EL20rocsparse_direction_1EfllfEEvT4_S2_T3_PKT5_S2_PS4_PKS3_PKS2_21rocsparse_index_base_: ; @_ZN9rocsparseL23sddmm_csx_sample_kernelILi512ELi32EL20rocsparse_direction_1EfllfEEvT4_S2_T3_PKT5_S2_PS4_PKS3_PKS2_21rocsparse_index_base_
; %bb.0:
	s_load_dwordx2 s[4:5], s[0:1], 0x8
	v_lshrrev_b32_e32 v1, 5, v0
	v_lshl_or_b32 v4, s2, 4, v1
	v_mov_b32_e32 v5, 0
	s_waitcnt lgkmcnt(0)
	v_cmp_gt_i64_e32 vcc, s[4:5], v[4:5]
	s_and_saveexec_b64 s[2:3], vcc
	s_cbranch_execz .LBB170_4
; %bb.1:
	s_load_dwordx2 s[2:3], s[0:1], 0x30
	s_load_dword s6, s[0:1], 0x40
	v_add_u32_e32 v2, 1, v4
	v_mov_b32_e32 v3, v5
	v_and_b32_e32 v0, 31, v0
	s_waitcnt lgkmcnt(0)
	v_lshl_add_u64 v[6:7], v[4:5], 3, s[2:3]
	v_lshl_add_u64 v[2:3], v[2:3], 3, s[2:3]
	global_load_dwordx2 v[6:7], v[6:7], off
	v_subrev_co_u32_e32 v0, vcc, s6, v0
	global_load_dwordx2 v[2:3], v[2:3], off
	s_nop 0
	v_subb_co_u32_e64 v1, s[2:3], 0, 0, vcc
	s_waitcnt vmcnt(1)
	v_lshl_add_u64 v[0:1], v[0:1], 0, v[6:7]
	s_waitcnt vmcnt(0)
	v_subrev_co_u32_e32 v2, vcc, s6, v2
	s_nop 1
	v_subbrev_co_u32_e32 v3, vcc, 0, v3, vcc
	v_cmp_lt_i64_e32 vcc, v[0:1], v[2:3]
	s_and_b64 exec, exec, vcc
	s_cbranch_execz .LBB170_4
; %bb.2:
	s_load_dwordx4 s[8:11], s[0:1], 0x18
	s_load_dwordx2 s[2:3], s[0:1], 0x28
	s_load_dwordx2 s[4:5], s[0:1], 0x38
	s_waitcnt lgkmcnt(0)
	v_mad_u64_u32 v[6:7], s[0:1], s10, v4, 0
	v_mov_b32_e32 v8, v7
	v_mad_u64_u32 v[4:5], s[0:1], s11, v4, v[8:9]
	v_mov_b32_e32 v7, v4
	v_lshl_add_u64 v[4:5], v[6:7], 2, s[8:9]
	v_lshl_add_u64 v[6:7], v[0:1], 2, s[2:3]
	;; [unrolled: 1-line block ×3, first 2 shown]
	s_mov_b64 s[0:1], 0
	s_mov_b64 s[2:3], 0x80
	;; [unrolled: 1-line block ×3, first 2 shown]
.LBB170_3:                              ; =>This Inner Loop Header: Depth=1
	global_load_dwordx2 v[10:11], v[8:9], off
	v_lshl_add_u64 v[0:1], v[0:1], 0, 32
	v_lshl_add_u64 v[8:9], v[8:9], 0, s[4:5]
	s_waitcnt vmcnt(0)
	v_subrev_co_u32_e32 v10, vcc, s6, v10
	s_nop 1
	v_subbrev_co_u32_e32 v11, vcc, 0, v11, vcc
	v_lshl_add_u64 v[10:11], v[10:11], 2, v[4:5]
	global_load_dword v10, v[10:11], off
	v_cmp_ge_i64_e32 vcc, v[0:1], v[2:3]
	s_or_b64 s[0:1], vcc, s[0:1]
	s_waitcnt vmcnt(0)
	global_store_dword v[6:7], v10, off
	v_lshl_add_u64 v[6:7], v[6:7], 0, s[2:3]
	s_andn2_b64 exec, exec, s[0:1]
	s_cbranch_execnz .LBB170_3
.LBB170_4:
	s_endpgm
	.section	.rodata,"a",@progbits
	.p2align	6, 0x0
	.amdhsa_kernel _ZN9rocsparseL23sddmm_csx_sample_kernelILi512ELi32EL20rocsparse_direction_1EfllfEEvT4_S2_T3_PKT5_S2_PS4_PKS3_PKS2_21rocsparse_index_base_
		.amdhsa_group_segment_fixed_size 0
		.amdhsa_private_segment_fixed_size 0
		.amdhsa_kernarg_size 68
		.amdhsa_user_sgpr_count 2
		.amdhsa_user_sgpr_dispatch_ptr 0
		.amdhsa_user_sgpr_queue_ptr 0
		.amdhsa_user_sgpr_kernarg_segment_ptr 1
		.amdhsa_user_sgpr_dispatch_id 0
		.amdhsa_user_sgpr_kernarg_preload_length 0
		.amdhsa_user_sgpr_kernarg_preload_offset 0
		.amdhsa_user_sgpr_private_segment_size 0
		.amdhsa_uses_dynamic_stack 0
		.amdhsa_enable_private_segment 0
		.amdhsa_system_sgpr_workgroup_id_x 1
		.amdhsa_system_sgpr_workgroup_id_y 0
		.amdhsa_system_sgpr_workgroup_id_z 0
		.amdhsa_system_sgpr_workgroup_info 0
		.amdhsa_system_vgpr_workitem_id 0
		.amdhsa_next_free_vgpr 12
		.amdhsa_next_free_sgpr 12
		.amdhsa_accum_offset 12
		.amdhsa_reserve_vcc 1
		.amdhsa_float_round_mode_32 0
		.amdhsa_float_round_mode_16_64 0
		.amdhsa_float_denorm_mode_32 3
		.amdhsa_float_denorm_mode_16_64 3
		.amdhsa_dx10_clamp 1
		.amdhsa_ieee_mode 1
		.amdhsa_fp16_overflow 0
		.amdhsa_tg_split 0
		.amdhsa_exception_fp_ieee_invalid_op 0
		.amdhsa_exception_fp_denorm_src 0
		.amdhsa_exception_fp_ieee_div_zero 0
		.amdhsa_exception_fp_ieee_overflow 0
		.amdhsa_exception_fp_ieee_underflow 0
		.amdhsa_exception_fp_ieee_inexact 0
		.amdhsa_exception_int_div_zero 0
	.end_amdhsa_kernel
	.section	.text._ZN9rocsparseL23sddmm_csx_sample_kernelILi512ELi32EL20rocsparse_direction_1EfllfEEvT4_S2_T3_PKT5_S2_PS4_PKS3_PKS2_21rocsparse_index_base_,"axG",@progbits,_ZN9rocsparseL23sddmm_csx_sample_kernelILi512ELi32EL20rocsparse_direction_1EfllfEEvT4_S2_T3_PKT5_S2_PS4_PKS3_PKS2_21rocsparse_index_base_,comdat
.Lfunc_end170:
	.size	_ZN9rocsparseL23sddmm_csx_sample_kernelILi512ELi32EL20rocsparse_direction_1EfllfEEvT4_S2_T3_PKT5_S2_PS4_PKS3_PKS2_21rocsparse_index_base_, .Lfunc_end170-_ZN9rocsparseL23sddmm_csx_sample_kernelILi512ELi32EL20rocsparse_direction_1EfllfEEvT4_S2_T3_PKT5_S2_PS4_PKS3_PKS2_21rocsparse_index_base_
                                        ; -- End function
	.set _ZN9rocsparseL23sddmm_csx_sample_kernelILi512ELi32EL20rocsparse_direction_1EfllfEEvT4_S2_T3_PKT5_S2_PS4_PKS3_PKS2_21rocsparse_index_base_.num_vgpr, 12
	.set _ZN9rocsparseL23sddmm_csx_sample_kernelILi512ELi32EL20rocsparse_direction_1EfllfEEvT4_S2_T3_PKT5_S2_PS4_PKS3_PKS2_21rocsparse_index_base_.num_agpr, 0
	.set _ZN9rocsparseL23sddmm_csx_sample_kernelILi512ELi32EL20rocsparse_direction_1EfllfEEvT4_S2_T3_PKT5_S2_PS4_PKS3_PKS2_21rocsparse_index_base_.numbered_sgpr, 12
	.set _ZN9rocsparseL23sddmm_csx_sample_kernelILi512ELi32EL20rocsparse_direction_1EfllfEEvT4_S2_T3_PKT5_S2_PS4_PKS3_PKS2_21rocsparse_index_base_.num_named_barrier, 0
	.set _ZN9rocsparseL23sddmm_csx_sample_kernelILi512ELi32EL20rocsparse_direction_1EfllfEEvT4_S2_T3_PKT5_S2_PS4_PKS3_PKS2_21rocsparse_index_base_.private_seg_size, 0
	.set _ZN9rocsparseL23sddmm_csx_sample_kernelILi512ELi32EL20rocsparse_direction_1EfllfEEvT4_S2_T3_PKT5_S2_PS4_PKS3_PKS2_21rocsparse_index_base_.uses_vcc, 1
	.set _ZN9rocsparseL23sddmm_csx_sample_kernelILi512ELi32EL20rocsparse_direction_1EfllfEEvT4_S2_T3_PKT5_S2_PS4_PKS3_PKS2_21rocsparse_index_base_.uses_flat_scratch, 0
	.set _ZN9rocsparseL23sddmm_csx_sample_kernelILi512ELi32EL20rocsparse_direction_1EfllfEEvT4_S2_T3_PKT5_S2_PS4_PKS3_PKS2_21rocsparse_index_base_.has_dyn_sized_stack, 0
	.set _ZN9rocsparseL23sddmm_csx_sample_kernelILi512ELi32EL20rocsparse_direction_1EfllfEEvT4_S2_T3_PKT5_S2_PS4_PKS3_PKS2_21rocsparse_index_base_.has_recursion, 0
	.set _ZN9rocsparseL23sddmm_csx_sample_kernelILi512ELi32EL20rocsparse_direction_1EfllfEEvT4_S2_T3_PKT5_S2_PS4_PKS3_PKS2_21rocsparse_index_base_.has_indirect_call, 0
	.section	.AMDGPU.csdata,"",@progbits
; Kernel info:
; codeLenInByte = 352
; TotalNumSgprs: 18
; NumVgprs: 12
; NumAgprs: 0
; TotalNumVgprs: 12
; ScratchSize: 0
; MemoryBound: 0
; FloatMode: 240
; IeeeMode: 1
; LDSByteSize: 0 bytes/workgroup (compile time only)
; SGPRBlocks: 2
; VGPRBlocks: 1
; NumSGPRsForWavesPerEU: 18
; NumVGPRsForWavesPerEU: 12
; AccumOffset: 12
; Occupancy: 8
; WaveLimiterHint : 1
; COMPUTE_PGM_RSRC2:SCRATCH_EN: 0
; COMPUTE_PGM_RSRC2:USER_SGPR: 2
; COMPUTE_PGM_RSRC2:TRAP_HANDLER: 0
; COMPUTE_PGM_RSRC2:TGID_X_EN: 1
; COMPUTE_PGM_RSRC2:TGID_Y_EN: 0
; COMPUTE_PGM_RSRC2:TGID_Z_EN: 0
; COMPUTE_PGM_RSRC2:TIDIG_COMP_CNT: 0
; COMPUTE_PGM_RSRC3_GFX90A:ACCUM_OFFSET: 2
; COMPUTE_PGM_RSRC3_GFX90A:TG_SPLIT: 0
	.section	.text._ZN9rocsparseL23sddmm_csx_sample_kernelILi512ELi16EL20rocsparse_direction_1EfllfEEvT4_S2_T3_PKT5_S2_PS4_PKS3_PKS2_21rocsparse_index_base_,"axG",@progbits,_ZN9rocsparseL23sddmm_csx_sample_kernelILi512ELi16EL20rocsparse_direction_1EfllfEEvT4_S2_T3_PKT5_S2_PS4_PKS3_PKS2_21rocsparse_index_base_,comdat
	.globl	_ZN9rocsparseL23sddmm_csx_sample_kernelILi512ELi16EL20rocsparse_direction_1EfllfEEvT4_S2_T3_PKT5_S2_PS4_PKS3_PKS2_21rocsparse_index_base_ ; -- Begin function _ZN9rocsparseL23sddmm_csx_sample_kernelILi512ELi16EL20rocsparse_direction_1EfllfEEvT4_S2_T3_PKT5_S2_PS4_PKS3_PKS2_21rocsparse_index_base_
	.p2align	8
	.type	_ZN9rocsparseL23sddmm_csx_sample_kernelILi512ELi16EL20rocsparse_direction_1EfllfEEvT4_S2_T3_PKT5_S2_PS4_PKS3_PKS2_21rocsparse_index_base_,@function
_ZN9rocsparseL23sddmm_csx_sample_kernelILi512ELi16EL20rocsparse_direction_1EfllfEEvT4_S2_T3_PKT5_S2_PS4_PKS3_PKS2_21rocsparse_index_base_: ; @_ZN9rocsparseL23sddmm_csx_sample_kernelILi512ELi16EL20rocsparse_direction_1EfllfEEvT4_S2_T3_PKT5_S2_PS4_PKS3_PKS2_21rocsparse_index_base_
; %bb.0:
	s_load_dwordx2 s[4:5], s[0:1], 0x8
	v_lshrrev_b32_e32 v1, 4, v0
	v_lshl_or_b32 v4, s2, 5, v1
	v_mov_b32_e32 v5, 0
	s_waitcnt lgkmcnt(0)
	v_cmp_gt_i64_e32 vcc, s[4:5], v[4:5]
	s_and_saveexec_b64 s[2:3], vcc
	s_cbranch_execz .LBB171_4
; %bb.1:
	s_load_dwordx2 s[2:3], s[0:1], 0x30
	s_load_dword s4, s[0:1], 0x40
	v_add_u32_e32 v2, 1, v4
	v_mov_b32_e32 v3, v5
	v_and_b32_e32 v0, 15, v0
	s_waitcnt lgkmcnt(0)
	v_lshl_add_u64 v[6:7], v[4:5], 3, s[2:3]
	v_lshl_add_u64 v[2:3], v[2:3], 3, s[2:3]
	global_load_dwordx2 v[6:7], v[6:7], off
	v_subrev_co_u32_e32 v0, vcc, s4, v0
	global_load_dwordx2 v[2:3], v[2:3], off
	s_nop 0
	v_subb_co_u32_e64 v1, s[2:3], 0, 0, vcc
	s_waitcnt vmcnt(1)
	v_lshl_add_u64 v[0:1], v[0:1], 0, v[6:7]
	s_waitcnt vmcnt(0)
	v_subrev_co_u32_e32 v2, vcc, s4, v2
	s_nop 1
	v_subbrev_co_u32_e32 v3, vcc, 0, v3, vcc
	v_cmp_lt_i64_e32 vcc, v[0:1], v[2:3]
	s_and_b64 exec, exec, vcc
	s_cbranch_execz .LBB171_4
; %bb.2:
	s_load_dwordx4 s[8:11], s[0:1], 0x18
	s_load_dwordx2 s[2:3], s[0:1], 0x28
	s_load_dwordx2 s[6:7], s[0:1], 0x38
	s_waitcnt lgkmcnt(0)
	v_mad_u64_u32 v[6:7], s[0:1], s10, v4, 0
	v_mov_b32_e32 v8, v7
	v_mad_u64_u32 v[4:5], s[0:1], s11, v4, v[8:9]
	v_mov_b32_e32 v7, v4
	v_lshl_add_u64 v[4:5], v[6:7], 2, s[8:9]
	v_lshl_add_u64 v[6:7], v[0:1], 2, s[2:3]
	;; [unrolled: 1-line block ×3, first 2 shown]
	s_mov_b64 s[0:1], 0
	s_mov_b64 s[2:3], 0x80
.LBB171_3:                              ; =>This Inner Loop Header: Depth=1
	global_load_dwordx2 v[10:11], v[8:9], off
	v_lshl_add_u64 v[0:1], v[0:1], 0, 16
	v_lshl_add_u64 v[8:9], v[8:9], 0, s[2:3]
	s_waitcnt vmcnt(0)
	v_subrev_co_u32_e32 v10, vcc, s4, v10
	s_nop 1
	v_subbrev_co_u32_e32 v11, vcc, 0, v11, vcc
	v_lshl_add_u64 v[10:11], v[10:11], 2, v[4:5]
	global_load_dword v10, v[10:11], off
	v_cmp_ge_i64_e32 vcc, v[0:1], v[2:3]
	s_or_b64 s[0:1], vcc, s[0:1]
	s_waitcnt vmcnt(0)
	global_store_dword v[6:7], v10, off
	v_lshl_add_u64 v[6:7], v[6:7], 0, 64
	s_andn2_b64 exec, exec, s[0:1]
	s_cbranch_execnz .LBB171_3
.LBB171_4:
	s_endpgm
	.section	.rodata,"a",@progbits
	.p2align	6, 0x0
	.amdhsa_kernel _ZN9rocsparseL23sddmm_csx_sample_kernelILi512ELi16EL20rocsparse_direction_1EfllfEEvT4_S2_T3_PKT5_S2_PS4_PKS3_PKS2_21rocsparse_index_base_
		.amdhsa_group_segment_fixed_size 0
		.amdhsa_private_segment_fixed_size 0
		.amdhsa_kernarg_size 68
		.amdhsa_user_sgpr_count 2
		.amdhsa_user_sgpr_dispatch_ptr 0
		.amdhsa_user_sgpr_queue_ptr 0
		.amdhsa_user_sgpr_kernarg_segment_ptr 1
		.amdhsa_user_sgpr_dispatch_id 0
		.amdhsa_user_sgpr_kernarg_preload_length 0
		.amdhsa_user_sgpr_kernarg_preload_offset 0
		.amdhsa_user_sgpr_private_segment_size 0
		.amdhsa_uses_dynamic_stack 0
		.amdhsa_enable_private_segment 0
		.amdhsa_system_sgpr_workgroup_id_x 1
		.amdhsa_system_sgpr_workgroup_id_y 0
		.amdhsa_system_sgpr_workgroup_id_z 0
		.amdhsa_system_sgpr_workgroup_info 0
		.amdhsa_system_vgpr_workitem_id 0
		.amdhsa_next_free_vgpr 12
		.amdhsa_next_free_sgpr 12
		.amdhsa_accum_offset 12
		.amdhsa_reserve_vcc 1
		.amdhsa_float_round_mode_32 0
		.amdhsa_float_round_mode_16_64 0
		.amdhsa_float_denorm_mode_32 3
		.amdhsa_float_denorm_mode_16_64 3
		.amdhsa_dx10_clamp 1
		.amdhsa_ieee_mode 1
		.amdhsa_fp16_overflow 0
		.amdhsa_tg_split 0
		.amdhsa_exception_fp_ieee_invalid_op 0
		.amdhsa_exception_fp_denorm_src 0
		.amdhsa_exception_fp_ieee_div_zero 0
		.amdhsa_exception_fp_ieee_overflow 0
		.amdhsa_exception_fp_ieee_underflow 0
		.amdhsa_exception_fp_ieee_inexact 0
		.amdhsa_exception_int_div_zero 0
	.end_amdhsa_kernel
	.section	.text._ZN9rocsparseL23sddmm_csx_sample_kernelILi512ELi16EL20rocsparse_direction_1EfllfEEvT4_S2_T3_PKT5_S2_PS4_PKS3_PKS2_21rocsparse_index_base_,"axG",@progbits,_ZN9rocsparseL23sddmm_csx_sample_kernelILi512ELi16EL20rocsparse_direction_1EfllfEEvT4_S2_T3_PKT5_S2_PS4_PKS3_PKS2_21rocsparse_index_base_,comdat
.Lfunc_end171:
	.size	_ZN9rocsparseL23sddmm_csx_sample_kernelILi512ELi16EL20rocsparse_direction_1EfllfEEvT4_S2_T3_PKT5_S2_PS4_PKS3_PKS2_21rocsparse_index_base_, .Lfunc_end171-_ZN9rocsparseL23sddmm_csx_sample_kernelILi512ELi16EL20rocsparse_direction_1EfllfEEvT4_S2_T3_PKT5_S2_PS4_PKS3_PKS2_21rocsparse_index_base_
                                        ; -- End function
	.set _ZN9rocsparseL23sddmm_csx_sample_kernelILi512ELi16EL20rocsparse_direction_1EfllfEEvT4_S2_T3_PKT5_S2_PS4_PKS3_PKS2_21rocsparse_index_base_.num_vgpr, 12
	.set _ZN9rocsparseL23sddmm_csx_sample_kernelILi512ELi16EL20rocsparse_direction_1EfllfEEvT4_S2_T3_PKT5_S2_PS4_PKS3_PKS2_21rocsparse_index_base_.num_agpr, 0
	.set _ZN9rocsparseL23sddmm_csx_sample_kernelILi512ELi16EL20rocsparse_direction_1EfllfEEvT4_S2_T3_PKT5_S2_PS4_PKS3_PKS2_21rocsparse_index_base_.numbered_sgpr, 12
	.set _ZN9rocsparseL23sddmm_csx_sample_kernelILi512ELi16EL20rocsparse_direction_1EfllfEEvT4_S2_T3_PKT5_S2_PS4_PKS3_PKS2_21rocsparse_index_base_.num_named_barrier, 0
	.set _ZN9rocsparseL23sddmm_csx_sample_kernelILi512ELi16EL20rocsparse_direction_1EfllfEEvT4_S2_T3_PKT5_S2_PS4_PKS3_PKS2_21rocsparse_index_base_.private_seg_size, 0
	.set _ZN9rocsparseL23sddmm_csx_sample_kernelILi512ELi16EL20rocsparse_direction_1EfllfEEvT4_S2_T3_PKT5_S2_PS4_PKS3_PKS2_21rocsparse_index_base_.uses_vcc, 1
	.set _ZN9rocsparseL23sddmm_csx_sample_kernelILi512ELi16EL20rocsparse_direction_1EfllfEEvT4_S2_T3_PKT5_S2_PS4_PKS3_PKS2_21rocsparse_index_base_.uses_flat_scratch, 0
	.set _ZN9rocsparseL23sddmm_csx_sample_kernelILi512ELi16EL20rocsparse_direction_1EfllfEEvT4_S2_T3_PKT5_S2_PS4_PKS3_PKS2_21rocsparse_index_base_.has_dyn_sized_stack, 0
	.set _ZN9rocsparseL23sddmm_csx_sample_kernelILi512ELi16EL20rocsparse_direction_1EfllfEEvT4_S2_T3_PKT5_S2_PS4_PKS3_PKS2_21rocsparse_index_base_.has_recursion, 0
	.set _ZN9rocsparseL23sddmm_csx_sample_kernelILi512ELi16EL20rocsparse_direction_1EfllfEEvT4_S2_T3_PKT5_S2_PS4_PKS3_PKS2_21rocsparse_index_base_.has_indirect_call, 0
	.section	.AMDGPU.csdata,"",@progbits
; Kernel info:
; codeLenInByte = 344
; TotalNumSgprs: 18
; NumVgprs: 12
; NumAgprs: 0
; TotalNumVgprs: 12
; ScratchSize: 0
; MemoryBound: 0
; FloatMode: 240
; IeeeMode: 1
; LDSByteSize: 0 bytes/workgroup (compile time only)
; SGPRBlocks: 2
; VGPRBlocks: 1
; NumSGPRsForWavesPerEU: 18
; NumVGPRsForWavesPerEU: 12
; AccumOffset: 12
; Occupancy: 8
; WaveLimiterHint : 1
; COMPUTE_PGM_RSRC2:SCRATCH_EN: 0
; COMPUTE_PGM_RSRC2:USER_SGPR: 2
; COMPUTE_PGM_RSRC2:TRAP_HANDLER: 0
; COMPUTE_PGM_RSRC2:TGID_X_EN: 1
; COMPUTE_PGM_RSRC2:TGID_Y_EN: 0
; COMPUTE_PGM_RSRC2:TGID_Z_EN: 0
; COMPUTE_PGM_RSRC2:TIDIG_COMP_CNT: 0
; COMPUTE_PGM_RSRC3_GFX90A:ACCUM_OFFSET: 2
; COMPUTE_PGM_RSRC3_GFX90A:TG_SPLIT: 0
	.section	.text._ZN9rocsparseL23sddmm_csx_sample_kernelILi512ELi8EL20rocsparse_direction_1EfllfEEvT4_S2_T3_PKT5_S2_PS4_PKS3_PKS2_21rocsparse_index_base_,"axG",@progbits,_ZN9rocsparseL23sddmm_csx_sample_kernelILi512ELi8EL20rocsparse_direction_1EfllfEEvT4_S2_T3_PKT5_S2_PS4_PKS3_PKS2_21rocsparse_index_base_,comdat
	.globl	_ZN9rocsparseL23sddmm_csx_sample_kernelILi512ELi8EL20rocsparse_direction_1EfllfEEvT4_S2_T3_PKT5_S2_PS4_PKS3_PKS2_21rocsparse_index_base_ ; -- Begin function _ZN9rocsparseL23sddmm_csx_sample_kernelILi512ELi8EL20rocsparse_direction_1EfllfEEvT4_S2_T3_PKT5_S2_PS4_PKS3_PKS2_21rocsparse_index_base_
	.p2align	8
	.type	_ZN9rocsparseL23sddmm_csx_sample_kernelILi512ELi8EL20rocsparse_direction_1EfllfEEvT4_S2_T3_PKT5_S2_PS4_PKS3_PKS2_21rocsparse_index_base_,@function
_ZN9rocsparseL23sddmm_csx_sample_kernelILi512ELi8EL20rocsparse_direction_1EfllfEEvT4_S2_T3_PKT5_S2_PS4_PKS3_PKS2_21rocsparse_index_base_: ; @_ZN9rocsparseL23sddmm_csx_sample_kernelILi512ELi8EL20rocsparse_direction_1EfllfEEvT4_S2_T3_PKT5_S2_PS4_PKS3_PKS2_21rocsparse_index_base_
; %bb.0:
	s_load_dwordx2 s[4:5], s[0:1], 0x8
	v_lshrrev_b32_e32 v1, 3, v0
	v_lshl_or_b32 v4, s2, 6, v1
	v_mov_b32_e32 v5, 0
	s_waitcnt lgkmcnt(0)
	v_cmp_gt_i64_e32 vcc, s[4:5], v[4:5]
	s_and_saveexec_b64 s[2:3], vcc
	s_cbranch_execz .LBB172_4
; %bb.1:
	s_load_dwordx2 s[4:5], s[0:1], 0x30
	s_load_dword s2, s[0:1], 0x40
	v_add_u32_e32 v2, 1, v4
	v_mov_b32_e32 v3, v5
	v_and_b32_e32 v0, 7, v0
	s_waitcnt lgkmcnt(0)
	v_lshl_add_u64 v[6:7], v[4:5], 3, s[4:5]
	v_lshl_add_u64 v[2:3], v[2:3], 3, s[4:5]
	global_load_dwordx2 v[6:7], v[6:7], off
	v_subrev_co_u32_e32 v0, vcc, s2, v0
	global_load_dwordx2 v[2:3], v[2:3], off
	s_nop 0
	v_subb_co_u32_e64 v1, s[4:5], 0, 0, vcc
	s_waitcnt vmcnt(1)
	v_lshl_add_u64 v[0:1], v[0:1], 0, v[6:7]
	s_waitcnt vmcnt(0)
	v_subrev_co_u32_e32 v2, vcc, s2, v2
	s_nop 1
	v_subbrev_co_u32_e32 v3, vcc, 0, v3, vcc
	v_cmp_lt_i64_e32 vcc, v[0:1], v[2:3]
	s_and_b64 exec, exec, vcc
	s_cbranch_execz .LBB172_4
; %bb.2:
	s_load_dwordx4 s[4:7], s[0:1], 0x18
	s_load_dwordx2 s[8:9], s[0:1], 0x28
	s_load_dwordx2 s[10:11], s[0:1], 0x38
	s_waitcnt lgkmcnt(0)
	v_mad_u64_u32 v[6:7], s[0:1], s6, v4, 0
	v_mov_b32_e32 v8, v7
	v_mad_u64_u32 v[4:5], s[0:1], s7, v4, v[8:9]
	v_mov_b32_e32 v7, v4
	v_lshl_add_u64 v[4:5], v[6:7], 2, s[4:5]
	v_lshl_add_u64 v[6:7], v[0:1], 2, s[8:9]
	;; [unrolled: 1-line block ×3, first 2 shown]
	s_mov_b64 s[0:1], 0
.LBB172_3:                              ; =>This Inner Loop Header: Depth=1
	global_load_dwordx2 v[10:11], v[8:9], off
	v_lshl_add_u64 v[0:1], v[0:1], 0, 8
	v_lshl_add_u64 v[8:9], v[8:9], 0, 64
	s_waitcnt vmcnt(0)
	v_subrev_co_u32_e32 v10, vcc, s2, v10
	s_nop 1
	v_subbrev_co_u32_e32 v11, vcc, 0, v11, vcc
	v_lshl_add_u64 v[10:11], v[10:11], 2, v[4:5]
	global_load_dword v10, v[10:11], off
	v_cmp_ge_i64_e32 vcc, v[0:1], v[2:3]
	s_or_b64 s[0:1], vcc, s[0:1]
	s_waitcnt vmcnt(0)
	global_store_dword v[6:7], v10, off
	v_lshl_add_u64 v[6:7], v[6:7], 0, 32
	s_andn2_b64 exec, exec, s[0:1]
	s_cbranch_execnz .LBB172_3
.LBB172_4:
	s_endpgm
	.section	.rodata,"a",@progbits
	.p2align	6, 0x0
	.amdhsa_kernel _ZN9rocsparseL23sddmm_csx_sample_kernelILi512ELi8EL20rocsparse_direction_1EfllfEEvT4_S2_T3_PKT5_S2_PS4_PKS3_PKS2_21rocsparse_index_base_
		.amdhsa_group_segment_fixed_size 0
		.amdhsa_private_segment_fixed_size 0
		.amdhsa_kernarg_size 68
		.amdhsa_user_sgpr_count 2
		.amdhsa_user_sgpr_dispatch_ptr 0
		.amdhsa_user_sgpr_queue_ptr 0
		.amdhsa_user_sgpr_kernarg_segment_ptr 1
		.amdhsa_user_sgpr_dispatch_id 0
		.amdhsa_user_sgpr_kernarg_preload_length 0
		.amdhsa_user_sgpr_kernarg_preload_offset 0
		.amdhsa_user_sgpr_private_segment_size 0
		.amdhsa_uses_dynamic_stack 0
		.amdhsa_enable_private_segment 0
		.amdhsa_system_sgpr_workgroup_id_x 1
		.amdhsa_system_sgpr_workgroup_id_y 0
		.amdhsa_system_sgpr_workgroup_id_z 0
		.amdhsa_system_sgpr_workgroup_info 0
		.amdhsa_system_vgpr_workitem_id 0
		.amdhsa_next_free_vgpr 12
		.amdhsa_next_free_sgpr 12
		.amdhsa_accum_offset 12
		.amdhsa_reserve_vcc 1
		.amdhsa_float_round_mode_32 0
		.amdhsa_float_round_mode_16_64 0
		.amdhsa_float_denorm_mode_32 3
		.amdhsa_float_denorm_mode_16_64 3
		.amdhsa_dx10_clamp 1
		.amdhsa_ieee_mode 1
		.amdhsa_fp16_overflow 0
		.amdhsa_tg_split 0
		.amdhsa_exception_fp_ieee_invalid_op 0
		.amdhsa_exception_fp_denorm_src 0
		.amdhsa_exception_fp_ieee_div_zero 0
		.amdhsa_exception_fp_ieee_overflow 0
		.amdhsa_exception_fp_ieee_underflow 0
		.amdhsa_exception_fp_ieee_inexact 0
		.amdhsa_exception_int_div_zero 0
	.end_amdhsa_kernel
	.section	.text._ZN9rocsparseL23sddmm_csx_sample_kernelILi512ELi8EL20rocsparse_direction_1EfllfEEvT4_S2_T3_PKT5_S2_PS4_PKS3_PKS2_21rocsparse_index_base_,"axG",@progbits,_ZN9rocsparseL23sddmm_csx_sample_kernelILi512ELi8EL20rocsparse_direction_1EfllfEEvT4_S2_T3_PKT5_S2_PS4_PKS3_PKS2_21rocsparse_index_base_,comdat
.Lfunc_end172:
	.size	_ZN9rocsparseL23sddmm_csx_sample_kernelILi512ELi8EL20rocsparse_direction_1EfllfEEvT4_S2_T3_PKT5_S2_PS4_PKS3_PKS2_21rocsparse_index_base_, .Lfunc_end172-_ZN9rocsparseL23sddmm_csx_sample_kernelILi512ELi8EL20rocsparse_direction_1EfllfEEvT4_S2_T3_PKT5_S2_PS4_PKS3_PKS2_21rocsparse_index_base_
                                        ; -- End function
	.set _ZN9rocsparseL23sddmm_csx_sample_kernelILi512ELi8EL20rocsparse_direction_1EfllfEEvT4_S2_T3_PKT5_S2_PS4_PKS3_PKS2_21rocsparse_index_base_.num_vgpr, 12
	.set _ZN9rocsparseL23sddmm_csx_sample_kernelILi512ELi8EL20rocsparse_direction_1EfllfEEvT4_S2_T3_PKT5_S2_PS4_PKS3_PKS2_21rocsparse_index_base_.num_agpr, 0
	.set _ZN9rocsparseL23sddmm_csx_sample_kernelILi512ELi8EL20rocsparse_direction_1EfllfEEvT4_S2_T3_PKT5_S2_PS4_PKS3_PKS2_21rocsparse_index_base_.numbered_sgpr, 12
	.set _ZN9rocsparseL23sddmm_csx_sample_kernelILi512ELi8EL20rocsparse_direction_1EfllfEEvT4_S2_T3_PKT5_S2_PS4_PKS3_PKS2_21rocsparse_index_base_.num_named_barrier, 0
	.set _ZN9rocsparseL23sddmm_csx_sample_kernelILi512ELi8EL20rocsparse_direction_1EfllfEEvT4_S2_T3_PKT5_S2_PS4_PKS3_PKS2_21rocsparse_index_base_.private_seg_size, 0
	.set _ZN9rocsparseL23sddmm_csx_sample_kernelILi512ELi8EL20rocsparse_direction_1EfllfEEvT4_S2_T3_PKT5_S2_PS4_PKS3_PKS2_21rocsparse_index_base_.uses_vcc, 1
	.set _ZN9rocsparseL23sddmm_csx_sample_kernelILi512ELi8EL20rocsparse_direction_1EfllfEEvT4_S2_T3_PKT5_S2_PS4_PKS3_PKS2_21rocsparse_index_base_.uses_flat_scratch, 0
	.set _ZN9rocsparseL23sddmm_csx_sample_kernelILi512ELi8EL20rocsparse_direction_1EfllfEEvT4_S2_T3_PKT5_S2_PS4_PKS3_PKS2_21rocsparse_index_base_.has_dyn_sized_stack, 0
	.set _ZN9rocsparseL23sddmm_csx_sample_kernelILi512ELi8EL20rocsparse_direction_1EfllfEEvT4_S2_T3_PKT5_S2_PS4_PKS3_PKS2_21rocsparse_index_base_.has_recursion, 0
	.set _ZN9rocsparseL23sddmm_csx_sample_kernelILi512ELi8EL20rocsparse_direction_1EfllfEEvT4_S2_T3_PKT5_S2_PS4_PKS3_PKS2_21rocsparse_index_base_.has_indirect_call, 0
	.section	.AMDGPU.csdata,"",@progbits
; Kernel info:
; codeLenInByte = 336
; TotalNumSgprs: 18
; NumVgprs: 12
; NumAgprs: 0
; TotalNumVgprs: 12
; ScratchSize: 0
; MemoryBound: 0
; FloatMode: 240
; IeeeMode: 1
; LDSByteSize: 0 bytes/workgroup (compile time only)
; SGPRBlocks: 2
; VGPRBlocks: 1
; NumSGPRsForWavesPerEU: 18
; NumVGPRsForWavesPerEU: 12
; AccumOffset: 12
; Occupancy: 8
; WaveLimiterHint : 1
; COMPUTE_PGM_RSRC2:SCRATCH_EN: 0
; COMPUTE_PGM_RSRC2:USER_SGPR: 2
; COMPUTE_PGM_RSRC2:TRAP_HANDLER: 0
; COMPUTE_PGM_RSRC2:TGID_X_EN: 1
; COMPUTE_PGM_RSRC2:TGID_Y_EN: 0
; COMPUTE_PGM_RSRC2:TGID_Z_EN: 0
; COMPUTE_PGM_RSRC2:TIDIG_COMP_CNT: 0
; COMPUTE_PGM_RSRC3_GFX90A:ACCUM_OFFSET: 2
; COMPUTE_PGM_RSRC3_GFX90A:TG_SPLIT: 0
	.section	.text._ZN9rocsparseL23sddmm_csx_sample_kernelILi512ELi4EL20rocsparse_direction_1EfllfEEvT4_S2_T3_PKT5_S2_PS4_PKS3_PKS2_21rocsparse_index_base_,"axG",@progbits,_ZN9rocsparseL23sddmm_csx_sample_kernelILi512ELi4EL20rocsparse_direction_1EfllfEEvT4_S2_T3_PKT5_S2_PS4_PKS3_PKS2_21rocsparse_index_base_,comdat
	.globl	_ZN9rocsparseL23sddmm_csx_sample_kernelILi512ELi4EL20rocsparse_direction_1EfllfEEvT4_S2_T3_PKT5_S2_PS4_PKS3_PKS2_21rocsparse_index_base_ ; -- Begin function _ZN9rocsparseL23sddmm_csx_sample_kernelILi512ELi4EL20rocsparse_direction_1EfllfEEvT4_S2_T3_PKT5_S2_PS4_PKS3_PKS2_21rocsparse_index_base_
	.p2align	8
	.type	_ZN9rocsparseL23sddmm_csx_sample_kernelILi512ELi4EL20rocsparse_direction_1EfllfEEvT4_S2_T3_PKT5_S2_PS4_PKS3_PKS2_21rocsparse_index_base_,@function
_ZN9rocsparseL23sddmm_csx_sample_kernelILi512ELi4EL20rocsparse_direction_1EfllfEEvT4_S2_T3_PKT5_S2_PS4_PKS3_PKS2_21rocsparse_index_base_: ; @_ZN9rocsparseL23sddmm_csx_sample_kernelILi512ELi4EL20rocsparse_direction_1EfllfEEvT4_S2_T3_PKT5_S2_PS4_PKS3_PKS2_21rocsparse_index_base_
; %bb.0:
	s_load_dwordx2 s[4:5], s[0:1], 0x8
	v_lshrrev_b32_e32 v1, 2, v0
	v_lshl_or_b32 v4, s2, 7, v1
	v_mov_b32_e32 v5, 0
	s_waitcnt lgkmcnt(0)
	v_cmp_gt_i64_e32 vcc, s[4:5], v[4:5]
	s_and_saveexec_b64 s[2:3], vcc
	s_cbranch_execz .LBB173_4
; %bb.1:
	s_load_dwordx2 s[4:5], s[0:1], 0x30
	s_load_dword s2, s[0:1], 0x40
	v_add_u32_e32 v2, 1, v4
	v_mov_b32_e32 v3, v5
	v_and_b32_e32 v0, 3, v0
	s_waitcnt lgkmcnt(0)
	v_lshl_add_u64 v[6:7], v[4:5], 3, s[4:5]
	v_lshl_add_u64 v[2:3], v[2:3], 3, s[4:5]
	global_load_dwordx2 v[6:7], v[6:7], off
	v_subrev_co_u32_e32 v0, vcc, s2, v0
	global_load_dwordx2 v[2:3], v[2:3], off
	s_nop 0
	v_subb_co_u32_e64 v1, s[4:5], 0, 0, vcc
	s_waitcnt vmcnt(1)
	v_lshl_add_u64 v[0:1], v[0:1], 0, v[6:7]
	s_waitcnt vmcnt(0)
	v_subrev_co_u32_e32 v2, vcc, s2, v2
	s_nop 1
	v_subbrev_co_u32_e32 v3, vcc, 0, v3, vcc
	v_cmp_lt_i64_e32 vcc, v[0:1], v[2:3]
	s_and_b64 exec, exec, vcc
	s_cbranch_execz .LBB173_4
; %bb.2:
	s_load_dwordx4 s[4:7], s[0:1], 0x18
	s_load_dwordx2 s[8:9], s[0:1], 0x28
	s_load_dwordx2 s[10:11], s[0:1], 0x38
	s_waitcnt lgkmcnt(0)
	v_mad_u64_u32 v[6:7], s[0:1], s6, v4, 0
	v_mov_b32_e32 v8, v7
	v_mad_u64_u32 v[4:5], s[0:1], s7, v4, v[8:9]
	v_mov_b32_e32 v7, v4
	v_lshl_add_u64 v[4:5], v[6:7], 2, s[4:5]
	v_lshl_add_u64 v[6:7], v[0:1], 2, s[8:9]
	;; [unrolled: 1-line block ×3, first 2 shown]
	s_mov_b64 s[0:1], 0
.LBB173_3:                              ; =>This Inner Loop Header: Depth=1
	global_load_dwordx2 v[10:11], v[8:9], off
	v_lshl_add_u64 v[0:1], v[0:1], 0, 4
	v_lshl_add_u64 v[8:9], v[8:9], 0, 32
	s_waitcnt vmcnt(0)
	v_subrev_co_u32_e32 v10, vcc, s2, v10
	s_nop 1
	v_subbrev_co_u32_e32 v11, vcc, 0, v11, vcc
	v_lshl_add_u64 v[10:11], v[10:11], 2, v[4:5]
	global_load_dword v10, v[10:11], off
	v_cmp_ge_i64_e32 vcc, v[0:1], v[2:3]
	s_or_b64 s[0:1], vcc, s[0:1]
	s_waitcnt vmcnt(0)
	global_store_dword v[6:7], v10, off
	v_lshl_add_u64 v[6:7], v[6:7], 0, 16
	s_andn2_b64 exec, exec, s[0:1]
	s_cbranch_execnz .LBB173_3
.LBB173_4:
	s_endpgm
	.section	.rodata,"a",@progbits
	.p2align	6, 0x0
	.amdhsa_kernel _ZN9rocsparseL23sddmm_csx_sample_kernelILi512ELi4EL20rocsparse_direction_1EfllfEEvT4_S2_T3_PKT5_S2_PS4_PKS3_PKS2_21rocsparse_index_base_
		.amdhsa_group_segment_fixed_size 0
		.amdhsa_private_segment_fixed_size 0
		.amdhsa_kernarg_size 68
		.amdhsa_user_sgpr_count 2
		.amdhsa_user_sgpr_dispatch_ptr 0
		.amdhsa_user_sgpr_queue_ptr 0
		.amdhsa_user_sgpr_kernarg_segment_ptr 1
		.amdhsa_user_sgpr_dispatch_id 0
		.amdhsa_user_sgpr_kernarg_preload_length 0
		.amdhsa_user_sgpr_kernarg_preload_offset 0
		.amdhsa_user_sgpr_private_segment_size 0
		.amdhsa_uses_dynamic_stack 0
		.amdhsa_enable_private_segment 0
		.amdhsa_system_sgpr_workgroup_id_x 1
		.amdhsa_system_sgpr_workgroup_id_y 0
		.amdhsa_system_sgpr_workgroup_id_z 0
		.amdhsa_system_sgpr_workgroup_info 0
		.amdhsa_system_vgpr_workitem_id 0
		.amdhsa_next_free_vgpr 12
		.amdhsa_next_free_sgpr 12
		.amdhsa_accum_offset 12
		.amdhsa_reserve_vcc 1
		.amdhsa_float_round_mode_32 0
		.amdhsa_float_round_mode_16_64 0
		.amdhsa_float_denorm_mode_32 3
		.amdhsa_float_denorm_mode_16_64 3
		.amdhsa_dx10_clamp 1
		.amdhsa_ieee_mode 1
		.amdhsa_fp16_overflow 0
		.amdhsa_tg_split 0
		.amdhsa_exception_fp_ieee_invalid_op 0
		.amdhsa_exception_fp_denorm_src 0
		.amdhsa_exception_fp_ieee_div_zero 0
		.amdhsa_exception_fp_ieee_overflow 0
		.amdhsa_exception_fp_ieee_underflow 0
		.amdhsa_exception_fp_ieee_inexact 0
		.amdhsa_exception_int_div_zero 0
	.end_amdhsa_kernel
	.section	.text._ZN9rocsparseL23sddmm_csx_sample_kernelILi512ELi4EL20rocsparse_direction_1EfllfEEvT4_S2_T3_PKT5_S2_PS4_PKS3_PKS2_21rocsparse_index_base_,"axG",@progbits,_ZN9rocsparseL23sddmm_csx_sample_kernelILi512ELi4EL20rocsparse_direction_1EfllfEEvT4_S2_T3_PKT5_S2_PS4_PKS3_PKS2_21rocsparse_index_base_,comdat
.Lfunc_end173:
	.size	_ZN9rocsparseL23sddmm_csx_sample_kernelILi512ELi4EL20rocsparse_direction_1EfllfEEvT4_S2_T3_PKT5_S2_PS4_PKS3_PKS2_21rocsparse_index_base_, .Lfunc_end173-_ZN9rocsparseL23sddmm_csx_sample_kernelILi512ELi4EL20rocsparse_direction_1EfllfEEvT4_S2_T3_PKT5_S2_PS4_PKS3_PKS2_21rocsparse_index_base_
                                        ; -- End function
	.set _ZN9rocsparseL23sddmm_csx_sample_kernelILi512ELi4EL20rocsparse_direction_1EfllfEEvT4_S2_T3_PKT5_S2_PS4_PKS3_PKS2_21rocsparse_index_base_.num_vgpr, 12
	.set _ZN9rocsparseL23sddmm_csx_sample_kernelILi512ELi4EL20rocsparse_direction_1EfllfEEvT4_S2_T3_PKT5_S2_PS4_PKS3_PKS2_21rocsparse_index_base_.num_agpr, 0
	.set _ZN9rocsparseL23sddmm_csx_sample_kernelILi512ELi4EL20rocsparse_direction_1EfllfEEvT4_S2_T3_PKT5_S2_PS4_PKS3_PKS2_21rocsparse_index_base_.numbered_sgpr, 12
	.set _ZN9rocsparseL23sddmm_csx_sample_kernelILi512ELi4EL20rocsparse_direction_1EfllfEEvT4_S2_T3_PKT5_S2_PS4_PKS3_PKS2_21rocsparse_index_base_.num_named_barrier, 0
	.set _ZN9rocsparseL23sddmm_csx_sample_kernelILi512ELi4EL20rocsparse_direction_1EfllfEEvT4_S2_T3_PKT5_S2_PS4_PKS3_PKS2_21rocsparse_index_base_.private_seg_size, 0
	.set _ZN9rocsparseL23sddmm_csx_sample_kernelILi512ELi4EL20rocsparse_direction_1EfllfEEvT4_S2_T3_PKT5_S2_PS4_PKS3_PKS2_21rocsparse_index_base_.uses_vcc, 1
	.set _ZN9rocsparseL23sddmm_csx_sample_kernelILi512ELi4EL20rocsparse_direction_1EfllfEEvT4_S2_T3_PKT5_S2_PS4_PKS3_PKS2_21rocsparse_index_base_.uses_flat_scratch, 0
	.set _ZN9rocsparseL23sddmm_csx_sample_kernelILi512ELi4EL20rocsparse_direction_1EfllfEEvT4_S2_T3_PKT5_S2_PS4_PKS3_PKS2_21rocsparse_index_base_.has_dyn_sized_stack, 0
	.set _ZN9rocsparseL23sddmm_csx_sample_kernelILi512ELi4EL20rocsparse_direction_1EfllfEEvT4_S2_T3_PKT5_S2_PS4_PKS3_PKS2_21rocsparse_index_base_.has_recursion, 0
	.set _ZN9rocsparseL23sddmm_csx_sample_kernelILi512ELi4EL20rocsparse_direction_1EfllfEEvT4_S2_T3_PKT5_S2_PS4_PKS3_PKS2_21rocsparse_index_base_.has_indirect_call, 0
	.section	.AMDGPU.csdata,"",@progbits
; Kernel info:
; codeLenInByte = 336
; TotalNumSgprs: 18
; NumVgprs: 12
; NumAgprs: 0
; TotalNumVgprs: 12
; ScratchSize: 0
; MemoryBound: 0
; FloatMode: 240
; IeeeMode: 1
; LDSByteSize: 0 bytes/workgroup (compile time only)
; SGPRBlocks: 2
; VGPRBlocks: 1
; NumSGPRsForWavesPerEU: 18
; NumVGPRsForWavesPerEU: 12
; AccumOffset: 12
; Occupancy: 8
; WaveLimiterHint : 1
; COMPUTE_PGM_RSRC2:SCRATCH_EN: 0
; COMPUTE_PGM_RSRC2:USER_SGPR: 2
; COMPUTE_PGM_RSRC2:TRAP_HANDLER: 0
; COMPUTE_PGM_RSRC2:TGID_X_EN: 1
; COMPUTE_PGM_RSRC2:TGID_Y_EN: 0
; COMPUTE_PGM_RSRC2:TGID_Z_EN: 0
; COMPUTE_PGM_RSRC2:TIDIG_COMP_CNT: 0
; COMPUTE_PGM_RSRC3_GFX90A:ACCUM_OFFSET: 2
; COMPUTE_PGM_RSRC3_GFX90A:TG_SPLIT: 0
	.section	.text._ZN9rocsparseL23sddmm_csx_sample_kernelILi512ELi2EL20rocsparse_direction_1EfllfEEvT4_S2_T3_PKT5_S2_PS4_PKS3_PKS2_21rocsparse_index_base_,"axG",@progbits,_ZN9rocsparseL23sddmm_csx_sample_kernelILi512ELi2EL20rocsparse_direction_1EfllfEEvT4_S2_T3_PKT5_S2_PS4_PKS3_PKS2_21rocsparse_index_base_,comdat
	.globl	_ZN9rocsparseL23sddmm_csx_sample_kernelILi512ELi2EL20rocsparse_direction_1EfllfEEvT4_S2_T3_PKT5_S2_PS4_PKS3_PKS2_21rocsparse_index_base_ ; -- Begin function _ZN9rocsparseL23sddmm_csx_sample_kernelILi512ELi2EL20rocsparse_direction_1EfllfEEvT4_S2_T3_PKT5_S2_PS4_PKS3_PKS2_21rocsparse_index_base_
	.p2align	8
	.type	_ZN9rocsparseL23sddmm_csx_sample_kernelILi512ELi2EL20rocsparse_direction_1EfllfEEvT4_S2_T3_PKT5_S2_PS4_PKS3_PKS2_21rocsparse_index_base_,@function
_ZN9rocsparseL23sddmm_csx_sample_kernelILi512ELi2EL20rocsparse_direction_1EfllfEEvT4_S2_T3_PKT5_S2_PS4_PKS3_PKS2_21rocsparse_index_base_: ; @_ZN9rocsparseL23sddmm_csx_sample_kernelILi512ELi2EL20rocsparse_direction_1EfllfEEvT4_S2_T3_PKT5_S2_PS4_PKS3_PKS2_21rocsparse_index_base_
; %bb.0:
	s_load_dwordx2 s[4:5], s[0:1], 0x8
	v_lshrrev_b32_e32 v1, 1, v0
	v_lshl_or_b32 v4, s2, 8, v1
	v_mov_b32_e32 v5, 0
	s_waitcnt lgkmcnt(0)
	v_cmp_gt_i64_e32 vcc, s[4:5], v[4:5]
	s_and_saveexec_b64 s[2:3], vcc
	s_cbranch_execz .LBB174_4
; %bb.1:
	s_load_dwordx2 s[4:5], s[0:1], 0x30
	s_load_dword s2, s[0:1], 0x40
	v_add_u32_e32 v2, 1, v4
	v_mov_b32_e32 v3, v5
	v_and_b32_e32 v0, 1, v0
	s_waitcnt lgkmcnt(0)
	v_lshl_add_u64 v[6:7], v[4:5], 3, s[4:5]
	v_lshl_add_u64 v[2:3], v[2:3], 3, s[4:5]
	global_load_dwordx2 v[6:7], v[6:7], off
	v_subrev_co_u32_e32 v0, vcc, s2, v0
	global_load_dwordx2 v[2:3], v[2:3], off
	s_nop 0
	v_subb_co_u32_e64 v1, s[4:5], 0, 0, vcc
	s_waitcnt vmcnt(1)
	v_lshl_add_u64 v[0:1], v[0:1], 0, v[6:7]
	s_waitcnt vmcnt(0)
	v_subrev_co_u32_e32 v2, vcc, s2, v2
	s_nop 1
	v_subbrev_co_u32_e32 v3, vcc, 0, v3, vcc
	v_cmp_lt_i64_e32 vcc, v[0:1], v[2:3]
	s_and_b64 exec, exec, vcc
	s_cbranch_execz .LBB174_4
; %bb.2:
	s_load_dwordx4 s[4:7], s[0:1], 0x18
	s_load_dwordx2 s[8:9], s[0:1], 0x28
	s_load_dwordx2 s[10:11], s[0:1], 0x38
	s_waitcnt lgkmcnt(0)
	v_mad_u64_u32 v[6:7], s[0:1], s6, v4, 0
	v_mov_b32_e32 v8, v7
	v_mad_u64_u32 v[4:5], s[0:1], s7, v4, v[8:9]
	v_mov_b32_e32 v7, v4
	v_lshl_add_u64 v[4:5], v[6:7], 2, s[4:5]
	v_lshl_add_u64 v[6:7], v[0:1], 2, s[8:9]
	;; [unrolled: 1-line block ×3, first 2 shown]
	s_mov_b64 s[0:1], 0
.LBB174_3:                              ; =>This Inner Loop Header: Depth=1
	global_load_dwordx2 v[10:11], v[8:9], off
	v_lshl_add_u64 v[0:1], v[0:1], 0, 2
	v_lshl_add_u64 v[8:9], v[8:9], 0, 16
	s_waitcnt vmcnt(0)
	v_subrev_co_u32_e32 v10, vcc, s2, v10
	s_nop 1
	v_subbrev_co_u32_e32 v11, vcc, 0, v11, vcc
	v_lshl_add_u64 v[10:11], v[10:11], 2, v[4:5]
	global_load_dword v10, v[10:11], off
	v_cmp_ge_i64_e32 vcc, v[0:1], v[2:3]
	s_or_b64 s[0:1], vcc, s[0:1]
	s_waitcnt vmcnt(0)
	global_store_dword v[6:7], v10, off
	v_lshl_add_u64 v[6:7], v[6:7], 0, 8
	s_andn2_b64 exec, exec, s[0:1]
	s_cbranch_execnz .LBB174_3
.LBB174_4:
	s_endpgm
	.section	.rodata,"a",@progbits
	.p2align	6, 0x0
	.amdhsa_kernel _ZN9rocsparseL23sddmm_csx_sample_kernelILi512ELi2EL20rocsparse_direction_1EfllfEEvT4_S2_T3_PKT5_S2_PS4_PKS3_PKS2_21rocsparse_index_base_
		.amdhsa_group_segment_fixed_size 0
		.amdhsa_private_segment_fixed_size 0
		.amdhsa_kernarg_size 68
		.amdhsa_user_sgpr_count 2
		.amdhsa_user_sgpr_dispatch_ptr 0
		.amdhsa_user_sgpr_queue_ptr 0
		.amdhsa_user_sgpr_kernarg_segment_ptr 1
		.amdhsa_user_sgpr_dispatch_id 0
		.amdhsa_user_sgpr_kernarg_preload_length 0
		.amdhsa_user_sgpr_kernarg_preload_offset 0
		.amdhsa_user_sgpr_private_segment_size 0
		.amdhsa_uses_dynamic_stack 0
		.amdhsa_enable_private_segment 0
		.amdhsa_system_sgpr_workgroup_id_x 1
		.amdhsa_system_sgpr_workgroup_id_y 0
		.amdhsa_system_sgpr_workgroup_id_z 0
		.amdhsa_system_sgpr_workgroup_info 0
		.amdhsa_system_vgpr_workitem_id 0
		.amdhsa_next_free_vgpr 12
		.amdhsa_next_free_sgpr 12
		.amdhsa_accum_offset 12
		.amdhsa_reserve_vcc 1
		.amdhsa_float_round_mode_32 0
		.amdhsa_float_round_mode_16_64 0
		.amdhsa_float_denorm_mode_32 3
		.amdhsa_float_denorm_mode_16_64 3
		.amdhsa_dx10_clamp 1
		.amdhsa_ieee_mode 1
		.amdhsa_fp16_overflow 0
		.amdhsa_tg_split 0
		.amdhsa_exception_fp_ieee_invalid_op 0
		.amdhsa_exception_fp_denorm_src 0
		.amdhsa_exception_fp_ieee_div_zero 0
		.amdhsa_exception_fp_ieee_overflow 0
		.amdhsa_exception_fp_ieee_underflow 0
		.amdhsa_exception_fp_ieee_inexact 0
		.amdhsa_exception_int_div_zero 0
	.end_amdhsa_kernel
	.section	.text._ZN9rocsparseL23sddmm_csx_sample_kernelILi512ELi2EL20rocsparse_direction_1EfllfEEvT4_S2_T3_PKT5_S2_PS4_PKS3_PKS2_21rocsparse_index_base_,"axG",@progbits,_ZN9rocsparseL23sddmm_csx_sample_kernelILi512ELi2EL20rocsparse_direction_1EfllfEEvT4_S2_T3_PKT5_S2_PS4_PKS3_PKS2_21rocsparse_index_base_,comdat
.Lfunc_end174:
	.size	_ZN9rocsparseL23sddmm_csx_sample_kernelILi512ELi2EL20rocsparse_direction_1EfllfEEvT4_S2_T3_PKT5_S2_PS4_PKS3_PKS2_21rocsparse_index_base_, .Lfunc_end174-_ZN9rocsparseL23sddmm_csx_sample_kernelILi512ELi2EL20rocsparse_direction_1EfllfEEvT4_S2_T3_PKT5_S2_PS4_PKS3_PKS2_21rocsparse_index_base_
                                        ; -- End function
	.set _ZN9rocsparseL23sddmm_csx_sample_kernelILi512ELi2EL20rocsparse_direction_1EfllfEEvT4_S2_T3_PKT5_S2_PS4_PKS3_PKS2_21rocsparse_index_base_.num_vgpr, 12
	.set _ZN9rocsparseL23sddmm_csx_sample_kernelILi512ELi2EL20rocsparse_direction_1EfllfEEvT4_S2_T3_PKT5_S2_PS4_PKS3_PKS2_21rocsparse_index_base_.num_agpr, 0
	.set _ZN9rocsparseL23sddmm_csx_sample_kernelILi512ELi2EL20rocsparse_direction_1EfllfEEvT4_S2_T3_PKT5_S2_PS4_PKS3_PKS2_21rocsparse_index_base_.numbered_sgpr, 12
	.set _ZN9rocsparseL23sddmm_csx_sample_kernelILi512ELi2EL20rocsparse_direction_1EfllfEEvT4_S2_T3_PKT5_S2_PS4_PKS3_PKS2_21rocsparse_index_base_.num_named_barrier, 0
	.set _ZN9rocsparseL23sddmm_csx_sample_kernelILi512ELi2EL20rocsparse_direction_1EfllfEEvT4_S2_T3_PKT5_S2_PS4_PKS3_PKS2_21rocsparse_index_base_.private_seg_size, 0
	.set _ZN9rocsparseL23sddmm_csx_sample_kernelILi512ELi2EL20rocsparse_direction_1EfllfEEvT4_S2_T3_PKT5_S2_PS4_PKS3_PKS2_21rocsparse_index_base_.uses_vcc, 1
	.set _ZN9rocsparseL23sddmm_csx_sample_kernelILi512ELi2EL20rocsparse_direction_1EfllfEEvT4_S2_T3_PKT5_S2_PS4_PKS3_PKS2_21rocsparse_index_base_.uses_flat_scratch, 0
	.set _ZN9rocsparseL23sddmm_csx_sample_kernelILi512ELi2EL20rocsparse_direction_1EfllfEEvT4_S2_T3_PKT5_S2_PS4_PKS3_PKS2_21rocsparse_index_base_.has_dyn_sized_stack, 0
	.set _ZN9rocsparseL23sddmm_csx_sample_kernelILi512ELi2EL20rocsparse_direction_1EfllfEEvT4_S2_T3_PKT5_S2_PS4_PKS3_PKS2_21rocsparse_index_base_.has_recursion, 0
	.set _ZN9rocsparseL23sddmm_csx_sample_kernelILi512ELi2EL20rocsparse_direction_1EfllfEEvT4_S2_T3_PKT5_S2_PS4_PKS3_PKS2_21rocsparse_index_base_.has_indirect_call, 0
	.section	.AMDGPU.csdata,"",@progbits
; Kernel info:
; codeLenInByte = 336
; TotalNumSgprs: 18
; NumVgprs: 12
; NumAgprs: 0
; TotalNumVgprs: 12
; ScratchSize: 0
; MemoryBound: 0
; FloatMode: 240
; IeeeMode: 1
; LDSByteSize: 0 bytes/workgroup (compile time only)
; SGPRBlocks: 2
; VGPRBlocks: 1
; NumSGPRsForWavesPerEU: 18
; NumVGPRsForWavesPerEU: 12
; AccumOffset: 12
; Occupancy: 8
; WaveLimiterHint : 1
; COMPUTE_PGM_RSRC2:SCRATCH_EN: 0
; COMPUTE_PGM_RSRC2:USER_SGPR: 2
; COMPUTE_PGM_RSRC2:TRAP_HANDLER: 0
; COMPUTE_PGM_RSRC2:TGID_X_EN: 1
; COMPUTE_PGM_RSRC2:TGID_Y_EN: 0
; COMPUTE_PGM_RSRC2:TGID_Z_EN: 0
; COMPUTE_PGM_RSRC2:TIDIG_COMP_CNT: 0
; COMPUTE_PGM_RSRC3_GFX90A:ACCUM_OFFSET: 2
; COMPUTE_PGM_RSRC3_GFX90A:TG_SPLIT: 0
	.section	.text._ZN9rocsparseL23sddmm_csx_sample_kernelILi512ELi1EL20rocsparse_direction_1EfllfEEvT4_S2_T3_PKT5_S2_PS4_PKS3_PKS2_21rocsparse_index_base_,"axG",@progbits,_ZN9rocsparseL23sddmm_csx_sample_kernelILi512ELi1EL20rocsparse_direction_1EfllfEEvT4_S2_T3_PKT5_S2_PS4_PKS3_PKS2_21rocsparse_index_base_,comdat
	.globl	_ZN9rocsparseL23sddmm_csx_sample_kernelILi512ELi1EL20rocsparse_direction_1EfllfEEvT4_S2_T3_PKT5_S2_PS4_PKS3_PKS2_21rocsparse_index_base_ ; -- Begin function _ZN9rocsparseL23sddmm_csx_sample_kernelILi512ELi1EL20rocsparse_direction_1EfllfEEvT4_S2_T3_PKT5_S2_PS4_PKS3_PKS2_21rocsparse_index_base_
	.p2align	8
	.type	_ZN9rocsparseL23sddmm_csx_sample_kernelILi512ELi1EL20rocsparse_direction_1EfllfEEvT4_S2_T3_PKT5_S2_PS4_PKS3_PKS2_21rocsparse_index_base_,@function
_ZN9rocsparseL23sddmm_csx_sample_kernelILi512ELi1EL20rocsparse_direction_1EfllfEEvT4_S2_T3_PKT5_S2_PS4_PKS3_PKS2_21rocsparse_index_base_: ; @_ZN9rocsparseL23sddmm_csx_sample_kernelILi512ELi1EL20rocsparse_direction_1EfllfEEvT4_S2_T3_PKT5_S2_PS4_PKS3_PKS2_21rocsparse_index_base_
; %bb.0:
	s_load_dwordx2 s[4:5], s[0:1], 0x8
	v_lshl_or_b32 v4, s2, 9, v0
	v_mov_b32_e32 v5, 0
	s_waitcnt lgkmcnt(0)
	v_cmp_gt_i64_e32 vcc, s[4:5], v[4:5]
	s_and_saveexec_b64 s[2:3], vcc
	s_cbranch_execz .LBB175_4
; %bb.1:
	s_load_dwordx2 s[2:3], s[0:1], 0x30
	v_add_u32_e32 v0, 1, v4
	v_mov_b32_e32 v1, v5
	s_waitcnt lgkmcnt(0)
	v_lshl_add_u64 v[2:3], v[4:5], 3, s[2:3]
	v_lshl_add_u64 v[8:9], v[0:1], 3, s[2:3]
	global_load_dwordx2 v[6:7], v[2:3], off
	global_load_dwordx2 v[0:1], v[8:9], off
	s_waitcnt vmcnt(0)
	v_cmp_lt_i64_e32 vcc, v[6:7], v[0:1]
	s_and_b64 exec, exec, vcc
	s_cbranch_execz .LBB175_4
; %bb.2:
	s_load_dwordx2 s[8:9], s[0:1], 0x38
	s_load_dword s2, s[0:1], 0x40
	s_load_dwordx4 s[4:7], s[0:1], 0x18
	s_load_dwordx2 s[10:11], s[0:1], 0x28
	s_mov_b32 s3, 0
	s_waitcnt lgkmcnt(0)
	v_subrev_co_u32_e32 v0, vcc, s2, v0
	v_mad_u64_u32 v[8:9], s[0:1], s6, v4, 0
	v_mov_b32_e32 v10, v9
	v_subbrev_co_u32_e32 v1, vcc, 0, v1, vcc
	v_mad_u64_u32 v[4:5], s[0:1], s7, v4, v[10:11]
	v_subrev_co_u32_e32 v2, vcc, s2, v6
	v_mov_b32_e32 v9, v4
	s_nop 0
	v_subbrev_co_u32_e32 v3, vcc, 0, v7, vcc
	v_lshl_add_u64 v[4:5], v[8:9], 2, s[4:5]
	v_lshlrev_b64 v[8:9], 2, v[6:7]
	s_lshl_b64 s[0:1], s[2:3], 2
	v_mov_b32_e32 v10, s1
	v_subrev_co_u32_e32 v8, vcc, s0, v8
	v_lshlrev_b64 v[6:7], 3, v[6:7]
	s_nop 0
	v_subb_co_u32_e32 v9, vcc, v9, v10, vcc
	s_lshl_b64 s[0:1], s[2:3], 3
	v_mov_b32_e32 v10, s1
	v_subrev_co_u32_e32 v6, vcc, s0, v6
	v_lshl_add_u64 v[8:9], s[10:11], 0, v[8:9]
	s_nop 0
	v_subb_co_u32_e32 v7, vcc, v7, v10, vcc
	v_lshl_add_u64 v[6:7], s[8:9], 0, v[6:7]
	s_mov_b64 s[0:1], 0
.LBB175_3:                              ; =>This Inner Loop Header: Depth=1
	global_load_dwordx2 v[10:11], v[6:7], off
	v_lshl_add_u64 v[2:3], v[2:3], 0, 1
	v_lshl_add_u64 v[6:7], v[6:7], 0, 8
	s_waitcnt vmcnt(0)
	v_subrev_co_u32_e32 v10, vcc, s2, v10
	s_nop 1
	v_subbrev_co_u32_e32 v11, vcc, 0, v11, vcc
	v_lshl_add_u64 v[10:11], v[10:11], 2, v[4:5]
	global_load_dword v10, v[10:11], off
	v_cmp_ge_i64_e32 vcc, v[2:3], v[0:1]
	s_or_b64 s[0:1], vcc, s[0:1]
	s_waitcnt vmcnt(0)
	global_store_dword v[8:9], v10, off
	v_lshl_add_u64 v[8:9], v[8:9], 0, 4
	s_andn2_b64 exec, exec, s[0:1]
	s_cbranch_execnz .LBB175_3
.LBB175_4:
	s_endpgm
	.section	.rodata,"a",@progbits
	.p2align	6, 0x0
	.amdhsa_kernel _ZN9rocsparseL23sddmm_csx_sample_kernelILi512ELi1EL20rocsparse_direction_1EfllfEEvT4_S2_T3_PKT5_S2_PS4_PKS3_PKS2_21rocsparse_index_base_
		.amdhsa_group_segment_fixed_size 0
		.amdhsa_private_segment_fixed_size 0
		.amdhsa_kernarg_size 68
		.amdhsa_user_sgpr_count 2
		.amdhsa_user_sgpr_dispatch_ptr 0
		.amdhsa_user_sgpr_queue_ptr 0
		.amdhsa_user_sgpr_kernarg_segment_ptr 1
		.amdhsa_user_sgpr_dispatch_id 0
		.amdhsa_user_sgpr_kernarg_preload_length 0
		.amdhsa_user_sgpr_kernarg_preload_offset 0
		.amdhsa_user_sgpr_private_segment_size 0
		.amdhsa_uses_dynamic_stack 0
		.amdhsa_enable_private_segment 0
		.amdhsa_system_sgpr_workgroup_id_x 1
		.amdhsa_system_sgpr_workgroup_id_y 0
		.amdhsa_system_sgpr_workgroup_id_z 0
		.amdhsa_system_sgpr_workgroup_info 0
		.amdhsa_system_vgpr_workitem_id 0
		.amdhsa_next_free_vgpr 12
		.amdhsa_next_free_sgpr 12
		.amdhsa_accum_offset 12
		.amdhsa_reserve_vcc 1
		.amdhsa_float_round_mode_32 0
		.amdhsa_float_round_mode_16_64 0
		.amdhsa_float_denorm_mode_32 3
		.amdhsa_float_denorm_mode_16_64 3
		.amdhsa_dx10_clamp 1
		.amdhsa_ieee_mode 1
		.amdhsa_fp16_overflow 0
		.amdhsa_tg_split 0
		.amdhsa_exception_fp_ieee_invalid_op 0
		.amdhsa_exception_fp_denorm_src 0
		.amdhsa_exception_fp_ieee_div_zero 0
		.amdhsa_exception_fp_ieee_overflow 0
		.amdhsa_exception_fp_ieee_underflow 0
		.amdhsa_exception_fp_ieee_inexact 0
		.amdhsa_exception_int_div_zero 0
	.end_amdhsa_kernel
	.section	.text._ZN9rocsparseL23sddmm_csx_sample_kernelILi512ELi1EL20rocsparse_direction_1EfllfEEvT4_S2_T3_PKT5_S2_PS4_PKS3_PKS2_21rocsparse_index_base_,"axG",@progbits,_ZN9rocsparseL23sddmm_csx_sample_kernelILi512ELi1EL20rocsparse_direction_1EfllfEEvT4_S2_T3_PKT5_S2_PS4_PKS3_PKS2_21rocsparse_index_base_,comdat
.Lfunc_end175:
	.size	_ZN9rocsparseL23sddmm_csx_sample_kernelILi512ELi1EL20rocsparse_direction_1EfllfEEvT4_S2_T3_PKT5_S2_PS4_PKS3_PKS2_21rocsparse_index_base_, .Lfunc_end175-_ZN9rocsparseL23sddmm_csx_sample_kernelILi512ELi1EL20rocsparse_direction_1EfllfEEvT4_S2_T3_PKT5_S2_PS4_PKS3_PKS2_21rocsparse_index_base_
                                        ; -- End function
	.set _ZN9rocsparseL23sddmm_csx_sample_kernelILi512ELi1EL20rocsparse_direction_1EfllfEEvT4_S2_T3_PKT5_S2_PS4_PKS3_PKS2_21rocsparse_index_base_.num_vgpr, 12
	.set _ZN9rocsparseL23sddmm_csx_sample_kernelILi512ELi1EL20rocsparse_direction_1EfllfEEvT4_S2_T3_PKT5_S2_PS4_PKS3_PKS2_21rocsparse_index_base_.num_agpr, 0
	.set _ZN9rocsparseL23sddmm_csx_sample_kernelILi512ELi1EL20rocsparse_direction_1EfllfEEvT4_S2_T3_PKT5_S2_PS4_PKS3_PKS2_21rocsparse_index_base_.numbered_sgpr, 12
	.set _ZN9rocsparseL23sddmm_csx_sample_kernelILi512ELi1EL20rocsparse_direction_1EfllfEEvT4_S2_T3_PKT5_S2_PS4_PKS3_PKS2_21rocsparse_index_base_.num_named_barrier, 0
	.set _ZN9rocsparseL23sddmm_csx_sample_kernelILi512ELi1EL20rocsparse_direction_1EfllfEEvT4_S2_T3_PKT5_S2_PS4_PKS3_PKS2_21rocsparse_index_base_.private_seg_size, 0
	.set _ZN9rocsparseL23sddmm_csx_sample_kernelILi512ELi1EL20rocsparse_direction_1EfllfEEvT4_S2_T3_PKT5_S2_PS4_PKS3_PKS2_21rocsparse_index_base_.uses_vcc, 1
	.set _ZN9rocsparseL23sddmm_csx_sample_kernelILi512ELi1EL20rocsparse_direction_1EfllfEEvT4_S2_T3_PKT5_S2_PS4_PKS3_PKS2_21rocsparse_index_base_.uses_flat_scratch, 0
	.set _ZN9rocsparseL23sddmm_csx_sample_kernelILi512ELi1EL20rocsparse_direction_1EfllfEEvT4_S2_T3_PKT5_S2_PS4_PKS3_PKS2_21rocsparse_index_base_.has_dyn_sized_stack, 0
	.set _ZN9rocsparseL23sddmm_csx_sample_kernelILi512ELi1EL20rocsparse_direction_1EfllfEEvT4_S2_T3_PKT5_S2_PS4_PKS3_PKS2_21rocsparse_index_base_.has_recursion, 0
	.set _ZN9rocsparseL23sddmm_csx_sample_kernelILi512ELi1EL20rocsparse_direction_1EfllfEEvT4_S2_T3_PKT5_S2_PS4_PKS3_PKS2_21rocsparse_index_base_.has_indirect_call, 0
	.section	.AMDGPU.csdata,"",@progbits
; Kernel info:
; codeLenInByte = 368
; TotalNumSgprs: 18
; NumVgprs: 12
; NumAgprs: 0
; TotalNumVgprs: 12
; ScratchSize: 0
; MemoryBound: 0
; FloatMode: 240
; IeeeMode: 1
; LDSByteSize: 0 bytes/workgroup (compile time only)
; SGPRBlocks: 2
; VGPRBlocks: 1
; NumSGPRsForWavesPerEU: 18
; NumVGPRsForWavesPerEU: 12
; AccumOffset: 12
; Occupancy: 8
; WaveLimiterHint : 1
; COMPUTE_PGM_RSRC2:SCRATCH_EN: 0
; COMPUTE_PGM_RSRC2:USER_SGPR: 2
; COMPUTE_PGM_RSRC2:TRAP_HANDLER: 0
; COMPUTE_PGM_RSRC2:TGID_X_EN: 1
; COMPUTE_PGM_RSRC2:TGID_Y_EN: 0
; COMPUTE_PGM_RSRC2:TGID_Z_EN: 0
; COMPUTE_PGM_RSRC2:TIDIG_COMP_CNT: 0
; COMPUTE_PGM_RSRC3_GFX90A:ACCUM_OFFSET: 2
; COMPUTE_PGM_RSRC3_GFX90A:TG_SPLIT: 0
	.section	.text._ZN9rocsparseL16sddmm_csx_kernelILi512ELi8EL20rocsparse_direction_0EfllfffEEv20rocsparse_operation_S2_16rocsparse_order_S3_T4_S4_S4_T3_NS_24const_host_device_scalarIT2_EEPKT5_lPKT6_lS8_PT7_PKS5_PKS4_21rocsparse_index_base_b,"axG",@progbits,_ZN9rocsparseL16sddmm_csx_kernelILi512ELi8EL20rocsparse_direction_0EfllfffEEv20rocsparse_operation_S2_16rocsparse_order_S3_T4_S4_S4_T3_NS_24const_host_device_scalarIT2_EEPKT5_lPKT6_lS8_PT7_PKS5_PKS4_21rocsparse_index_base_b,comdat
	.globl	_ZN9rocsparseL16sddmm_csx_kernelILi512ELi8EL20rocsparse_direction_0EfllfffEEv20rocsparse_operation_S2_16rocsparse_order_S3_T4_S4_S4_T3_NS_24const_host_device_scalarIT2_EEPKT5_lPKT6_lS8_PT7_PKS5_PKS4_21rocsparse_index_base_b ; -- Begin function _ZN9rocsparseL16sddmm_csx_kernelILi512ELi8EL20rocsparse_direction_0EfllfffEEv20rocsparse_operation_S2_16rocsparse_order_S3_T4_S4_S4_T3_NS_24const_host_device_scalarIT2_EEPKT5_lPKT6_lS8_PT7_PKS5_PKS4_21rocsparse_index_base_b
	.p2align	8
	.type	_ZN9rocsparseL16sddmm_csx_kernelILi512ELi8EL20rocsparse_direction_0EfllfffEEv20rocsparse_operation_S2_16rocsparse_order_S3_T4_S4_S4_T3_NS_24const_host_device_scalarIT2_EEPKT5_lPKT6_lS8_PT7_PKS5_PKS4_21rocsparse_index_base_b,@function
_ZN9rocsparseL16sddmm_csx_kernelILi512ELi8EL20rocsparse_direction_0EfllfffEEv20rocsparse_operation_S2_16rocsparse_order_S3_T4_S4_S4_T3_NS_24const_host_device_scalarIT2_EEPKT5_lPKT6_lS8_PT7_PKS5_PKS4_21rocsparse_index_base_b: ; @_ZN9rocsparseL16sddmm_csx_kernelILi512ELi8EL20rocsparse_direction_0EfllfffEEv20rocsparse_operation_S2_16rocsparse_order_S3_T4_S4_S4_T3_NS_24const_host_device_scalarIT2_EEPKT5_lPKT6_lS8_PT7_PKS5_PKS4_21rocsparse_index_base_b
; %bb.0:
	s_load_dwordx2 s[14:15], s[0:1], 0x78
	s_load_dwordx2 s[6:7], s[0:1], 0x30
	s_load_dwordx4 s[16:19], s[0:1], 0x50
	s_waitcnt lgkmcnt(0)
	s_bitcmp1_b32 s15, 0
	s_cselect_b64 s[8:9], -1, 0
	s_xor_b64 s[4:5], s[8:9], -1
	s_and_b64 vcc, exec, s[8:9]
	s_mov_b32 s21, s6
	s_cbranch_vccnz .LBB176_2
; %bb.1:
	s_load_dword s21, s[6:7], 0x0
.LBB176_2:
	s_andn2_b64 vcc, exec, s[4:5]
	s_mov_b32 s20, s18
	s_cbranch_vccnz .LBB176_4
; %bb.3:
	s_load_dword s20, s[18:19], 0x0
.LBB176_4:
	s_waitcnt lgkmcnt(0)
	v_cmp_eq_f32_e64 s[4:5], s21, 0
	v_cmp_eq_f32_e64 s[6:7], s20, 1.0
	s_and_b64 s[4:5], s[4:5], s[6:7]
	s_and_b64 vcc, exec, s[4:5]
	s_cbranch_vccnz .LBB176_36
; %bb.5:
	s_load_dwordx2 s[4:5], s[0:1], 0x10
	v_lshrrev_b32_e32 v6, 3, v0
	v_lshl_or_b32 v2, s2, 6, v6
	v_mov_b32_e32 v3, 0
	s_waitcnt lgkmcnt(0)
	v_cmp_gt_i64_e32 vcc, s[4:5], v[2:3]
	s_and_saveexec_b64 s[2:3], vcc
	s_cbranch_execz .LBB176_36
; %bb.6:
	s_load_dwordx4 s[4:7], s[0:1], 0x0
	s_load_dwordx2 s[12:13], s[0:1], 0x68
	s_load_dwordx2 s[2:3], s[0:1], 0x40
	s_waitcnt lgkmcnt(0)
	s_cmp_eq_u32 s6, 1
	s_cselect_b64 s[8:9], -1, 0
	s_cmpk_eq_i32 s4, 0x6f
	s_cselect_b64 s[10:11], -1, 0
	s_cmpk_lg_i32 s4, 0x6f
	s_cselect_b64 s[18:19], -1, 0
	s_cmp_lg_u32 s6, 1
	s_cbranch_scc0 .LBB176_10
; %bb.7:
	s_andn2_b64 vcc, exec, s[10:11]
	v_mov_b64_e32 v[8:9], v[2:3]
	s_cbranch_vccnz .LBB176_9
; %bb.8:
	v_mad_u64_u32 v[8:9], s[22:23], s2, v2, 0
	v_mov_b32_e32 v4, v9
	v_mad_u64_u32 v[4:5], s[22:23], s3, v2, v[4:5]
	v_mov_b32_e32 v9, v4
.LBB176_9:
	s_cbranch_execz .LBB176_11
	s_branch .LBB176_13
.LBB176_10:
                                        ; implicit-def: $vgpr8_vgpr9
.LBB176_11:
	s_andn2_b64 vcc, exec, s[18:19]
	v_mov_b64_e32 v[8:9], v[2:3]
	s_cbranch_vccnz .LBB176_13
; %bb.12:
	v_mad_u64_u32 v[8:9], s[18:19], s2, v2, 0
	v_mov_b32_e32 v4, v9
	v_mad_u64_u32 v[4:5], s[18:19], s3, v2, v[4:5]
	v_mov_b32_e32 v9, v4
.LBB176_13:
	v_lshl_add_u64 v[2:3], v[2:3], 3, s[12:13]
	global_load_dwordx4 v[2:5], v[2:3], off
	s_waitcnt vmcnt(0)
	v_cmp_lt_i64_e32 vcc, v[2:3], v[4:5]
	s_and_b64 exec, exec, vcc
	s_cbranch_execz .LBB176_36
; %bb.14:
	s_xor_b64 s[8:9], s[10:11], s[8:9]
	s_and_b64 s[8:9], s[8:9], exec
	s_cselect_b32 s9, 0, s3
	s_cselect_b32 s8, 1, s2
	s_cmp_lg_u32 s7, 1
	s_cselect_b64 s[22:23], -1, 0
	s_cmp_eq_u32 s7, 1
	s_cselect_b64 s[2:3], -1, 0
	s_cmpk_eq_i32 s5, 0x6f
	s_cselect_b64 s[6:7], -1, 0
	s_cmpk_lg_i32 s5, 0x6f
	s_cselect_b64 s[10:11], -1, 0
	s_xor_b64 s[2:3], s[6:7], s[2:3]
	s_and_b64 s[2:3], s[2:3], exec
	s_cselect_b32 s12, s16, 1
	v_and_b32_e32 v0, 7, v0
	v_lshlrev_b32_e32 v16, 5, v6
	v_mad_u64_u32 v[6:7], s[34:35], s12, v0, 0
	s_cselect_b32 s13, s17, 0
	v_mov_b32_e32 v10, v7
	s_load_dwordx2 s[28:29], s[0:1], 0x48
	s_load_dwordx2 s[24:25], s[0:1], 0x60
	;; [unrolled: 1-line block ×4, first 2 shown]
	v_mad_u64_u32 v[10:11], s[34:35], s13, v0, v[10:11]
	v_mov_b32_e32 v7, v10
	s_waitcnt lgkmcnt(0)
	v_lshl_add_u64 v[6:7], v[6:7], 2, s[28:29]
	s_lshl_b64 s[28:29], s[12:13], 5
	v_mad_u64_u32 v[10:11], s[12:13], s8, v0, 0
	s_load_dwordx2 s[18:19], s[0:1], 0x70
	v_mov_b32_e32 v12, v11
	v_subrev_co_u32_e32 v2, vcc, s14, v2
	v_mad_u64_u32 v[12:13], s[12:13], s9, v0, v[12:13]
	s_nop 0
	v_subbrev_co_u32_e32 v3, vcc, 0, v3, vcc
	v_mov_b32_e32 v11, v12
	v_lshlrev_b64 v[8:9], 2, v[8:9]
	v_cndmask_b32_e64 v14, 0, 1, s[6:7]
	v_mov_b32_e32 v1, 0
	v_subrev_co_u32_e32 v4, vcc, s14, v4
	v_lshl_add_u64 v[8:9], v[10:11], 2, v[8:9]
	v_cndmask_b32_e64 v10, 0, 1, s[10:11]
	v_cmp_gt_i64_e64 s[0:1], s[26:27], v[0:1]
	v_lshl_or_b32 v17, v0, 2, v16
	v_cmp_eq_u32_e64 s[2:3], 0, v0
	v_cmp_gt_u32_e64 s[4:5], 4, v0
	v_cmp_gt_u32_e64 s[6:7], 2, v0
	v_subbrev_co_u32_e32 v5, vcc, 0, v5, vcc
	v_lshl_add_u64 v[8:9], s[30:31], 0, v[8:9]
	s_lshl_b64 s[30:31], s[8:9], 5
	s_mov_b64 s[34:35], 0
	v_cmp_ne_u32_e64 s[8:9], 1, v10
	v_cmp_ne_u32_e64 s[10:11], 1, v14
	s_branch .LBB176_16
.LBB176_15:                             ;   in Loop: Header=BB176_16 Depth=1
	s_or_b64 exec, exec, s[12:13]
	v_lshl_add_u64 v[2:3], v[2:3], 0, 1
	v_cmp_ge_i64_e32 vcc, v[2:3], v[4:5]
	s_or_b64 s[34:35], vcc, s[34:35]
	s_andn2_b64 exec, exec, s[34:35]
	s_cbranch_execz .LBB176_36
.LBB176_16:                             ; =>This Loop Header: Depth=1
                                        ;     Child Loop BB176_26 Depth 2
	s_waitcnt lgkmcnt(0)
	v_lshl_add_u64 v[10:11], v[2:3], 3, s[18:19]
	global_load_dwordx2 v[10:11], v[10:11], off
	s_mov_b64 s[36:37], -1
	s_and_b64 vcc, exec, s[22:23]
                                        ; implicit-def: $vgpr12_vgpr13
	s_waitcnt vmcnt(0)
	v_subrev_co_u32_e64 v10, s[12:13], s14, v10
	s_nop 1
	v_subbrev_co_u32_e64 v11, s[12:13], 0, v11, s[12:13]
	s_cbranch_vccnz .LBB176_19
; %bb.17:                               ;   in Loop: Header=BB176_16 Depth=1
	s_andn2_b64 vcc, exec, s[36:37]
	s_cbranch_vccz .LBB176_22
.LBB176_18:                             ;   in Loop: Header=BB176_16 Depth=1
	v_mov_b32_e32 v18, 0
	s_and_saveexec_b64 s[12:13], s[0:1]
	s_cbranch_execnz .LBB176_25
	s_branch .LBB176_28
.LBB176_19:                             ;   in Loop: Header=BB176_16 Depth=1
	s_and_b64 vcc, exec, s[8:9]
	v_mov_b64_e32 v[12:13], v[10:11]
	s_cbranch_vccnz .LBB176_21
; %bb.20:                               ;   in Loop: Header=BB176_16 Depth=1
	v_mul_lo_u32 v14, v11, s16
	v_mul_lo_u32 v15, v10, s17
	v_mad_u64_u32 v[12:13], s[12:13], v10, s16, 0
	v_add3_u32 v13, v13, v15, v14
.LBB176_21:                             ;   in Loop: Header=BB176_16 Depth=1
	s_cbranch_execnz .LBB176_18
.LBB176_22:                             ;   in Loop: Header=BB176_16 Depth=1
	s_and_b64 vcc, exec, s[10:11]
	s_cbranch_vccnz .LBB176_24
; %bb.23:                               ;   in Loop: Header=BB176_16 Depth=1
	v_mul_lo_u32 v12, v11, s16
	v_mul_lo_u32 v13, v10, s17
	v_mad_u64_u32 v[10:11], s[12:13], v10, s16, 0
	v_add3_u32 v11, v11, v13, v12
.LBB176_24:                             ;   in Loop: Header=BB176_16 Depth=1
	v_mov_b64_e32 v[12:13], v[10:11]
	v_mov_b32_e32 v18, 0
	s_and_saveexec_b64 s[12:13], s[0:1]
	s_cbranch_execz .LBB176_28
.LBB176_25:                             ;   in Loop: Header=BB176_16 Depth=1
	v_lshl_add_u64 v[10:11], v[12:13], 2, v[6:7]
	v_mov_b32_e32 v18, 0
	s_mov_b64 s[36:37], 0
	v_mov_b64_e32 v[12:13], v[8:9]
	v_mov_b64_e32 v[14:15], v[0:1]
.LBB176_26:                             ;   Parent Loop BB176_16 Depth=1
                                        ; =>  This Inner Loop Header: Depth=2
	global_load_dword v19, v[12:13], off
	global_load_dword v20, v[10:11], off
	v_lshl_add_u64 v[14:15], v[14:15], 0, 8
	v_cmp_le_i64_e32 vcc, s[26:27], v[14:15]
	v_lshl_add_u64 v[10:11], v[10:11], 0, s[28:29]
	v_lshl_add_u64 v[12:13], v[12:13], 0, s[30:31]
	s_or_b64 s[36:37], vcc, s[36:37]
	s_waitcnt vmcnt(0)
	v_fmac_f32_e32 v18, v19, v20
	s_andn2_b64 exec, exec, s[36:37]
	s_cbranch_execnz .LBB176_26
; %bb.27:                               ;   in Loop: Header=BB176_16 Depth=1
	s_or_b64 exec, exec, s[36:37]
.LBB176_28:                             ;   in Loop: Header=BB176_16 Depth=1
	s_or_b64 exec, exec, s[12:13]
	ds_write_b32 v17, v18
	s_waitcnt lgkmcnt(0)
	s_barrier
	s_and_saveexec_b64 s[12:13], s[4:5]
	s_cbranch_execz .LBB176_30
; %bb.29:                               ;   in Loop: Header=BB176_16 Depth=1
	ds_read2_b32 v[10:11], v17 offset1:4
	s_waitcnt lgkmcnt(0)
	v_add_f32_e32 v10, v11, v10
	ds_write_b32 v17, v10
.LBB176_30:                             ;   in Loop: Header=BB176_16 Depth=1
	s_or_b64 exec, exec, s[12:13]
	s_waitcnt lgkmcnt(0)
	s_barrier
	s_and_saveexec_b64 s[12:13], s[6:7]
	s_cbranch_execz .LBB176_32
; %bb.31:                               ;   in Loop: Header=BB176_16 Depth=1
	ds_read2_b32 v[10:11], v17 offset1:2
	s_waitcnt lgkmcnt(0)
	v_add_f32_e32 v10, v11, v10
	ds_write_b32 v17, v10
.LBB176_32:                             ;   in Loop: Header=BB176_16 Depth=1
	s_or_b64 exec, exec, s[12:13]
	;; [unrolled: 11-line block ×3, first 2 shown]
	s_waitcnt lgkmcnt(0)
	s_barrier
	s_and_saveexec_b64 s[12:13], s[2:3]
	s_cbranch_execz .LBB176_15
; %bb.35:                               ;   in Loop: Header=BB176_16 Depth=1
	v_lshl_add_u64 v[10:11], v[2:3], 2, s[24:25]
	global_load_dword v12, v[10:11], off
	ds_read_b32 v13, v16
	s_waitcnt vmcnt(0) lgkmcnt(0)
	v_pk_mul_f32 v[12:13], s[20:21], v[12:13]
	s_nop 0
	v_add_f32_e32 v12, v12, v13
	global_store_dword v[10:11], v12, off
	s_branch .LBB176_15
.LBB176_36:
	s_endpgm
	.section	.rodata,"a",@progbits
	.p2align	6, 0x0
	.amdhsa_kernel _ZN9rocsparseL16sddmm_csx_kernelILi512ELi8EL20rocsparse_direction_0EfllfffEEv20rocsparse_operation_S2_16rocsparse_order_S3_T4_S4_S4_T3_NS_24const_host_device_scalarIT2_EEPKT5_lPKT6_lS8_PT7_PKS5_PKS4_21rocsparse_index_base_b
		.amdhsa_group_segment_fixed_size 2048
		.amdhsa_private_segment_fixed_size 0
		.amdhsa_kernarg_size 128
		.amdhsa_user_sgpr_count 2
		.amdhsa_user_sgpr_dispatch_ptr 0
		.amdhsa_user_sgpr_queue_ptr 0
		.amdhsa_user_sgpr_kernarg_segment_ptr 1
		.amdhsa_user_sgpr_dispatch_id 0
		.amdhsa_user_sgpr_kernarg_preload_length 0
		.amdhsa_user_sgpr_kernarg_preload_offset 0
		.amdhsa_user_sgpr_private_segment_size 0
		.amdhsa_uses_dynamic_stack 0
		.amdhsa_enable_private_segment 0
		.amdhsa_system_sgpr_workgroup_id_x 1
		.amdhsa_system_sgpr_workgroup_id_y 0
		.amdhsa_system_sgpr_workgroup_id_z 0
		.amdhsa_system_sgpr_workgroup_info 0
		.amdhsa_system_vgpr_workitem_id 0
		.amdhsa_next_free_vgpr 21
		.amdhsa_next_free_sgpr 38
		.amdhsa_accum_offset 24
		.amdhsa_reserve_vcc 1
		.amdhsa_float_round_mode_32 0
		.amdhsa_float_round_mode_16_64 0
		.amdhsa_float_denorm_mode_32 3
		.amdhsa_float_denorm_mode_16_64 3
		.amdhsa_dx10_clamp 1
		.amdhsa_ieee_mode 1
		.amdhsa_fp16_overflow 0
		.amdhsa_tg_split 0
		.amdhsa_exception_fp_ieee_invalid_op 0
		.amdhsa_exception_fp_denorm_src 0
		.amdhsa_exception_fp_ieee_div_zero 0
		.amdhsa_exception_fp_ieee_overflow 0
		.amdhsa_exception_fp_ieee_underflow 0
		.amdhsa_exception_fp_ieee_inexact 0
		.amdhsa_exception_int_div_zero 0
	.end_amdhsa_kernel
	.section	.text._ZN9rocsparseL16sddmm_csx_kernelILi512ELi8EL20rocsparse_direction_0EfllfffEEv20rocsparse_operation_S2_16rocsparse_order_S3_T4_S4_S4_T3_NS_24const_host_device_scalarIT2_EEPKT5_lPKT6_lS8_PT7_PKS5_PKS4_21rocsparse_index_base_b,"axG",@progbits,_ZN9rocsparseL16sddmm_csx_kernelILi512ELi8EL20rocsparse_direction_0EfllfffEEv20rocsparse_operation_S2_16rocsparse_order_S3_T4_S4_S4_T3_NS_24const_host_device_scalarIT2_EEPKT5_lPKT6_lS8_PT7_PKS5_PKS4_21rocsparse_index_base_b,comdat
.Lfunc_end176:
	.size	_ZN9rocsparseL16sddmm_csx_kernelILi512ELi8EL20rocsparse_direction_0EfllfffEEv20rocsparse_operation_S2_16rocsparse_order_S3_T4_S4_S4_T3_NS_24const_host_device_scalarIT2_EEPKT5_lPKT6_lS8_PT7_PKS5_PKS4_21rocsparse_index_base_b, .Lfunc_end176-_ZN9rocsparseL16sddmm_csx_kernelILi512ELi8EL20rocsparse_direction_0EfllfffEEv20rocsparse_operation_S2_16rocsparse_order_S3_T4_S4_S4_T3_NS_24const_host_device_scalarIT2_EEPKT5_lPKT6_lS8_PT7_PKS5_PKS4_21rocsparse_index_base_b
                                        ; -- End function
	.set _ZN9rocsparseL16sddmm_csx_kernelILi512ELi8EL20rocsparse_direction_0EfllfffEEv20rocsparse_operation_S2_16rocsparse_order_S3_T4_S4_S4_T3_NS_24const_host_device_scalarIT2_EEPKT5_lPKT6_lS8_PT7_PKS5_PKS4_21rocsparse_index_base_b.num_vgpr, 21
	.set _ZN9rocsparseL16sddmm_csx_kernelILi512ELi8EL20rocsparse_direction_0EfllfffEEv20rocsparse_operation_S2_16rocsparse_order_S3_T4_S4_S4_T3_NS_24const_host_device_scalarIT2_EEPKT5_lPKT6_lS8_PT7_PKS5_PKS4_21rocsparse_index_base_b.num_agpr, 0
	.set _ZN9rocsparseL16sddmm_csx_kernelILi512ELi8EL20rocsparse_direction_0EfllfffEEv20rocsparse_operation_S2_16rocsparse_order_S3_T4_S4_S4_T3_NS_24const_host_device_scalarIT2_EEPKT5_lPKT6_lS8_PT7_PKS5_PKS4_21rocsparse_index_base_b.numbered_sgpr, 38
	.set _ZN9rocsparseL16sddmm_csx_kernelILi512ELi8EL20rocsparse_direction_0EfllfffEEv20rocsparse_operation_S2_16rocsparse_order_S3_T4_S4_S4_T3_NS_24const_host_device_scalarIT2_EEPKT5_lPKT6_lS8_PT7_PKS5_PKS4_21rocsparse_index_base_b.num_named_barrier, 0
	.set _ZN9rocsparseL16sddmm_csx_kernelILi512ELi8EL20rocsparse_direction_0EfllfffEEv20rocsparse_operation_S2_16rocsparse_order_S3_T4_S4_S4_T3_NS_24const_host_device_scalarIT2_EEPKT5_lPKT6_lS8_PT7_PKS5_PKS4_21rocsparse_index_base_b.private_seg_size, 0
	.set _ZN9rocsparseL16sddmm_csx_kernelILi512ELi8EL20rocsparse_direction_0EfllfffEEv20rocsparse_operation_S2_16rocsparse_order_S3_T4_S4_S4_T3_NS_24const_host_device_scalarIT2_EEPKT5_lPKT6_lS8_PT7_PKS5_PKS4_21rocsparse_index_base_b.uses_vcc, 1
	.set _ZN9rocsparseL16sddmm_csx_kernelILi512ELi8EL20rocsparse_direction_0EfllfffEEv20rocsparse_operation_S2_16rocsparse_order_S3_T4_S4_S4_T3_NS_24const_host_device_scalarIT2_EEPKT5_lPKT6_lS8_PT7_PKS5_PKS4_21rocsparse_index_base_b.uses_flat_scratch, 0
	.set _ZN9rocsparseL16sddmm_csx_kernelILi512ELi8EL20rocsparse_direction_0EfllfffEEv20rocsparse_operation_S2_16rocsparse_order_S3_T4_S4_S4_T3_NS_24const_host_device_scalarIT2_EEPKT5_lPKT6_lS8_PT7_PKS5_PKS4_21rocsparse_index_base_b.has_dyn_sized_stack, 0
	.set _ZN9rocsparseL16sddmm_csx_kernelILi512ELi8EL20rocsparse_direction_0EfllfffEEv20rocsparse_operation_S2_16rocsparse_order_S3_T4_S4_S4_T3_NS_24const_host_device_scalarIT2_EEPKT5_lPKT6_lS8_PT7_PKS5_PKS4_21rocsparse_index_base_b.has_recursion, 0
	.set _ZN9rocsparseL16sddmm_csx_kernelILi512ELi8EL20rocsparse_direction_0EfllfffEEv20rocsparse_operation_S2_16rocsparse_order_S3_T4_S4_S4_T3_NS_24const_host_device_scalarIT2_EEPKT5_lPKT6_lS8_PT7_PKS5_PKS4_21rocsparse_index_base_b.has_indirect_call, 0
	.section	.AMDGPU.csdata,"",@progbits
; Kernel info:
; codeLenInByte = 1156
; TotalNumSgprs: 44
; NumVgprs: 21
; NumAgprs: 0
; TotalNumVgprs: 21
; ScratchSize: 0
; MemoryBound: 0
; FloatMode: 240
; IeeeMode: 1
; LDSByteSize: 2048 bytes/workgroup (compile time only)
; SGPRBlocks: 5
; VGPRBlocks: 2
; NumSGPRsForWavesPerEU: 44
; NumVGPRsForWavesPerEU: 21
; AccumOffset: 24
; Occupancy: 8
; WaveLimiterHint : 0
; COMPUTE_PGM_RSRC2:SCRATCH_EN: 0
; COMPUTE_PGM_RSRC2:USER_SGPR: 2
; COMPUTE_PGM_RSRC2:TRAP_HANDLER: 0
; COMPUTE_PGM_RSRC2:TGID_X_EN: 1
; COMPUTE_PGM_RSRC2:TGID_Y_EN: 0
; COMPUTE_PGM_RSRC2:TGID_Z_EN: 0
; COMPUTE_PGM_RSRC2:TIDIG_COMP_CNT: 0
; COMPUTE_PGM_RSRC3_GFX90A:ACCUM_OFFSET: 5
; COMPUTE_PGM_RSRC3_GFX90A:TG_SPLIT: 0
	.section	.text._ZN9rocsparseL16sddmm_csx_kernelILi512ELi4EL20rocsparse_direction_0EfllfffEEv20rocsparse_operation_S2_16rocsparse_order_S3_T4_S4_S4_T3_NS_24const_host_device_scalarIT2_EEPKT5_lPKT6_lS8_PT7_PKS5_PKS4_21rocsparse_index_base_b,"axG",@progbits,_ZN9rocsparseL16sddmm_csx_kernelILi512ELi4EL20rocsparse_direction_0EfllfffEEv20rocsparse_operation_S2_16rocsparse_order_S3_T4_S4_S4_T3_NS_24const_host_device_scalarIT2_EEPKT5_lPKT6_lS8_PT7_PKS5_PKS4_21rocsparse_index_base_b,comdat
	.globl	_ZN9rocsparseL16sddmm_csx_kernelILi512ELi4EL20rocsparse_direction_0EfllfffEEv20rocsparse_operation_S2_16rocsparse_order_S3_T4_S4_S4_T3_NS_24const_host_device_scalarIT2_EEPKT5_lPKT6_lS8_PT7_PKS5_PKS4_21rocsparse_index_base_b ; -- Begin function _ZN9rocsparseL16sddmm_csx_kernelILi512ELi4EL20rocsparse_direction_0EfllfffEEv20rocsparse_operation_S2_16rocsparse_order_S3_T4_S4_S4_T3_NS_24const_host_device_scalarIT2_EEPKT5_lPKT6_lS8_PT7_PKS5_PKS4_21rocsparse_index_base_b
	.p2align	8
	.type	_ZN9rocsparseL16sddmm_csx_kernelILi512ELi4EL20rocsparse_direction_0EfllfffEEv20rocsparse_operation_S2_16rocsparse_order_S3_T4_S4_S4_T3_NS_24const_host_device_scalarIT2_EEPKT5_lPKT6_lS8_PT7_PKS5_PKS4_21rocsparse_index_base_b,@function
_ZN9rocsparseL16sddmm_csx_kernelILi512ELi4EL20rocsparse_direction_0EfllfffEEv20rocsparse_operation_S2_16rocsparse_order_S3_T4_S4_S4_T3_NS_24const_host_device_scalarIT2_EEPKT5_lPKT6_lS8_PT7_PKS5_PKS4_21rocsparse_index_base_b: ; @_ZN9rocsparseL16sddmm_csx_kernelILi512ELi4EL20rocsparse_direction_0EfllfffEEv20rocsparse_operation_S2_16rocsparse_order_S3_T4_S4_S4_T3_NS_24const_host_device_scalarIT2_EEPKT5_lPKT6_lS8_PT7_PKS5_PKS4_21rocsparse_index_base_b
; %bb.0:
	s_load_dwordx2 s[16:17], s[0:1], 0x78
	s_load_dwordx2 s[6:7], s[0:1], 0x30
	s_load_dwordx4 s[12:15], s[0:1], 0x50
	s_waitcnt lgkmcnt(0)
	s_bitcmp1_b32 s17, 0
	s_cselect_b64 s[8:9], -1, 0
	s_xor_b64 s[4:5], s[8:9], -1
	s_and_b64 vcc, exec, s[8:9]
	s_mov_b32 s19, s6
	s_cbranch_vccnz .LBB177_2
; %bb.1:
	s_load_dword s19, s[6:7], 0x0
.LBB177_2:
	s_andn2_b64 vcc, exec, s[4:5]
	s_mov_b32 s18, s14
	s_cbranch_vccnz .LBB177_4
; %bb.3:
	s_load_dword s18, s[14:15], 0x0
.LBB177_4:
	s_waitcnt lgkmcnt(0)
	v_cmp_eq_f32_e64 s[4:5], s19, 0
	v_cmp_eq_f32_e64 s[6:7], s18, 1.0
	s_and_b64 s[4:5], s[4:5], s[6:7]
	s_and_b64 vcc, exec, s[4:5]
	s_cbranch_vccnz .LBB177_34
; %bb.5:
	s_load_dwordx2 s[4:5], s[0:1], 0x10
	v_lshrrev_b32_e32 v6, 2, v0
	v_lshl_or_b32 v2, s2, 7, v6
	v_mov_b32_e32 v3, 0
	s_waitcnt lgkmcnt(0)
	v_cmp_gt_i64_e32 vcc, s[4:5], v[2:3]
	s_and_saveexec_b64 s[2:3], vcc
	s_cbranch_execz .LBB177_34
; %bb.6:
	s_load_dwordx4 s[4:7], s[0:1], 0x0
	s_load_dwordx2 s[14:15], s[0:1], 0x68
	s_load_dwordx2 s[2:3], s[0:1], 0x40
	s_waitcnt lgkmcnt(0)
	s_cmp_eq_u32 s6, 1
	s_cselect_b64 s[8:9], -1, 0
	s_cmpk_eq_i32 s4, 0x6f
	s_cselect_b64 s[10:11], -1, 0
	s_cmpk_lg_i32 s4, 0x6f
	s_cselect_b64 s[20:21], -1, 0
	s_cmp_lg_u32 s6, 1
	s_cbranch_scc0 .LBB177_10
; %bb.7:
	s_andn2_b64 vcc, exec, s[10:11]
	v_mov_b64_e32 v[8:9], v[2:3]
	s_cbranch_vccnz .LBB177_9
; %bb.8:
	v_mad_u64_u32 v[8:9], s[22:23], s2, v2, 0
	v_mov_b32_e32 v4, v9
	v_mad_u64_u32 v[4:5], s[22:23], s3, v2, v[4:5]
	v_mov_b32_e32 v9, v4
.LBB177_9:
	s_cbranch_execz .LBB177_11
	s_branch .LBB177_13
.LBB177_10:
                                        ; implicit-def: $vgpr8_vgpr9
.LBB177_11:
	s_andn2_b64 vcc, exec, s[20:21]
	v_mov_b64_e32 v[8:9], v[2:3]
	s_cbranch_vccnz .LBB177_13
; %bb.12:
	v_mad_u64_u32 v[8:9], s[20:21], s2, v2, 0
	v_mov_b32_e32 v4, v9
	v_mad_u64_u32 v[4:5], s[20:21], s3, v2, v[4:5]
	v_mov_b32_e32 v9, v4
.LBB177_13:
	v_lshl_add_u64 v[2:3], v[2:3], 3, s[14:15]
	global_load_dwordx4 v[2:5], v[2:3], off
	s_waitcnt vmcnt(0)
	v_cmp_lt_i64_e32 vcc, v[2:3], v[4:5]
	s_and_b64 exec, exec, vcc
	s_cbranch_execz .LBB177_34
; %bb.14:
	s_xor_b64 s[8:9], s[10:11], s[8:9]
	s_and_b64 s[8:9], s[8:9], exec
	s_cselect_b32 s9, 0, s3
	s_cselect_b32 s8, 1, s2
	s_cmp_lg_u32 s7, 1
	s_cselect_b64 s[20:21], -1, 0
	s_cmp_eq_u32 s7, 1
	s_cselect_b64 s[2:3], -1, 0
	s_cmpk_eq_i32 s5, 0x6f
	s_cselect_b64 s[6:7], -1, 0
	s_cmpk_lg_i32 s5, 0x6f
	s_cselect_b64 s[10:11], -1, 0
	s_xor_b64 s[2:3], s[6:7], s[2:3]
	s_and_b64 s[2:3], s[2:3], exec
	v_cndmask_b32_e64 v14, 0, 1, s[6:7]
	s_cselect_b32 s6, s12, 1
	v_and_b32_e32 v0, 3, v0
	v_lshlrev_b32_e32 v16, 4, v6
	v_mad_u64_u32 v[6:7], s[30:31], s6, v0, 0
	s_cselect_b32 s7, s13, 0
	v_mov_b32_e32 v10, v7
	s_load_dwordx2 s[26:27], s[0:1], 0x48
	s_load_dwordx2 s[22:23], s[0:1], 0x60
	;; [unrolled: 1-line block ×4, first 2 shown]
	v_mad_u64_u32 v[10:11], s[30:31], s7, v0, v[10:11]
	v_mov_b32_e32 v7, v10
	s_waitcnt lgkmcnt(0)
	v_lshl_add_u64 v[6:7], v[6:7], 2, s[26:27]
	s_lshl_b64 s[26:27], s[6:7], 4
	v_mad_u64_u32 v[10:11], s[6:7], s8, v0, 0
	s_load_dwordx2 s[14:15], s[0:1], 0x70
	v_mov_b32_e32 v12, v11
	v_subrev_co_u32_e32 v2, vcc, s16, v2
	v_mad_u64_u32 v[12:13], s[6:7], s9, v0, v[12:13]
	s_nop 0
	v_subbrev_co_u32_e32 v3, vcc, 0, v3, vcc
	v_mov_b32_e32 v11, v12
	v_lshlrev_b64 v[8:9], 2, v[8:9]
	v_mov_b32_e32 v1, 0
	v_subrev_co_u32_e32 v4, vcc, s16, v4
	v_lshl_add_u64 v[8:9], v[10:11], 2, v[8:9]
	v_cndmask_b32_e64 v10, 0, 1, s[10:11]
	v_cmp_gt_i64_e64 s[0:1], s[24:25], v[0:1]
	v_lshl_or_b32 v17, v0, 2, v16
	v_cmp_eq_u32_e64 s[2:3], 0, v0
	v_cmp_gt_u32_e64 s[4:5], 2, v0
	v_subbrev_co_u32_e32 v5, vcc, 0, v5, vcc
	v_lshl_add_u64 v[8:9], s[28:29], 0, v[8:9]
	s_lshl_b64 s[28:29], s[8:9], 4
	s_mov_b64 s[30:31], 0
	v_cmp_ne_u32_e64 s[6:7], 1, v10
	v_cmp_ne_u32_e64 s[8:9], 1, v14
	s_branch .LBB177_16
.LBB177_15:                             ;   in Loop: Header=BB177_16 Depth=1
	s_or_b64 exec, exec, s[10:11]
	v_lshl_add_u64 v[2:3], v[2:3], 0, 1
	v_cmp_ge_i64_e32 vcc, v[2:3], v[4:5]
	s_or_b64 s[30:31], vcc, s[30:31]
	s_andn2_b64 exec, exec, s[30:31]
	s_cbranch_execz .LBB177_34
.LBB177_16:                             ; =>This Loop Header: Depth=1
                                        ;     Child Loop BB177_26 Depth 2
	s_waitcnt lgkmcnt(0)
	v_lshl_add_u64 v[10:11], v[2:3], 3, s[14:15]
	global_load_dwordx2 v[10:11], v[10:11], off
	s_mov_b64 s[34:35], -1
	s_and_b64 vcc, exec, s[20:21]
                                        ; implicit-def: $vgpr12_vgpr13
	s_waitcnt vmcnt(0)
	v_subrev_co_u32_e64 v10, s[10:11], s16, v10
	s_nop 1
	v_subbrev_co_u32_e64 v11, s[10:11], 0, v11, s[10:11]
	s_cbranch_vccnz .LBB177_19
; %bb.17:                               ;   in Loop: Header=BB177_16 Depth=1
	s_andn2_b64 vcc, exec, s[34:35]
	s_cbranch_vccz .LBB177_22
.LBB177_18:                             ;   in Loop: Header=BB177_16 Depth=1
	v_mov_b32_e32 v18, 0
	s_and_saveexec_b64 s[10:11], s[0:1]
	s_cbranch_execnz .LBB177_25
	s_branch .LBB177_28
.LBB177_19:                             ;   in Loop: Header=BB177_16 Depth=1
	s_and_b64 vcc, exec, s[6:7]
	v_mov_b64_e32 v[12:13], v[10:11]
	s_cbranch_vccnz .LBB177_21
; %bb.20:                               ;   in Loop: Header=BB177_16 Depth=1
	v_mul_lo_u32 v14, v11, s12
	v_mul_lo_u32 v15, v10, s13
	v_mad_u64_u32 v[12:13], s[10:11], v10, s12, 0
	v_add3_u32 v13, v13, v15, v14
.LBB177_21:                             ;   in Loop: Header=BB177_16 Depth=1
	s_cbranch_execnz .LBB177_18
.LBB177_22:                             ;   in Loop: Header=BB177_16 Depth=1
	s_and_b64 vcc, exec, s[8:9]
	s_cbranch_vccnz .LBB177_24
; %bb.23:                               ;   in Loop: Header=BB177_16 Depth=1
	v_mul_lo_u32 v12, v11, s12
	v_mul_lo_u32 v13, v10, s13
	v_mad_u64_u32 v[10:11], s[10:11], v10, s12, 0
	v_add3_u32 v11, v11, v13, v12
.LBB177_24:                             ;   in Loop: Header=BB177_16 Depth=1
	v_mov_b64_e32 v[12:13], v[10:11]
	v_mov_b32_e32 v18, 0
	s_and_saveexec_b64 s[10:11], s[0:1]
	s_cbranch_execz .LBB177_28
.LBB177_25:                             ;   in Loop: Header=BB177_16 Depth=1
	v_lshl_add_u64 v[10:11], v[12:13], 2, v[6:7]
	v_mov_b32_e32 v18, 0
	s_mov_b64 s[34:35], 0
	v_mov_b64_e32 v[12:13], v[8:9]
	v_mov_b64_e32 v[14:15], v[0:1]
.LBB177_26:                             ;   Parent Loop BB177_16 Depth=1
                                        ; =>  This Inner Loop Header: Depth=2
	global_load_dword v19, v[12:13], off
	global_load_dword v20, v[10:11], off
	v_lshl_add_u64 v[14:15], v[14:15], 0, 4
	v_cmp_le_i64_e32 vcc, s[24:25], v[14:15]
	v_lshl_add_u64 v[10:11], v[10:11], 0, s[26:27]
	v_lshl_add_u64 v[12:13], v[12:13], 0, s[28:29]
	s_or_b64 s[34:35], vcc, s[34:35]
	s_waitcnt vmcnt(0)
	v_fmac_f32_e32 v18, v19, v20
	s_andn2_b64 exec, exec, s[34:35]
	s_cbranch_execnz .LBB177_26
; %bb.27:                               ;   in Loop: Header=BB177_16 Depth=1
	s_or_b64 exec, exec, s[34:35]
.LBB177_28:                             ;   in Loop: Header=BB177_16 Depth=1
	s_or_b64 exec, exec, s[10:11]
	ds_write_b32 v17, v18
	s_waitcnt lgkmcnt(0)
	s_barrier
	s_and_saveexec_b64 s[10:11], s[4:5]
	s_cbranch_execz .LBB177_30
; %bb.29:                               ;   in Loop: Header=BB177_16 Depth=1
	ds_read2_b32 v[10:11], v17 offset1:2
	s_waitcnt lgkmcnt(0)
	v_add_f32_e32 v10, v11, v10
	ds_write_b32 v17, v10
.LBB177_30:                             ;   in Loop: Header=BB177_16 Depth=1
	s_or_b64 exec, exec, s[10:11]
	s_waitcnt lgkmcnt(0)
	s_barrier
	s_and_saveexec_b64 s[10:11], s[2:3]
	s_cbranch_execz .LBB177_32
; %bb.31:                               ;   in Loop: Header=BB177_16 Depth=1
	ds_read2_b32 v[10:11], v17 offset1:1
	s_waitcnt lgkmcnt(0)
	v_add_f32_e32 v10, v11, v10
	ds_write_b32 v17, v10
.LBB177_32:                             ;   in Loop: Header=BB177_16 Depth=1
	s_or_b64 exec, exec, s[10:11]
	s_waitcnt lgkmcnt(0)
	s_barrier
	s_and_saveexec_b64 s[10:11], s[2:3]
	s_cbranch_execz .LBB177_15
; %bb.33:                               ;   in Loop: Header=BB177_16 Depth=1
	v_lshl_add_u64 v[10:11], v[2:3], 2, s[22:23]
	global_load_dword v12, v[10:11], off
	ds_read_b32 v13, v16
	s_waitcnt vmcnt(0) lgkmcnt(0)
	v_pk_mul_f32 v[12:13], s[18:19], v[12:13]
	s_nop 0
	v_add_f32_e32 v12, v12, v13
	global_store_dword v[10:11], v12, off
	s_branch .LBB177_15
.LBB177_34:
	s_endpgm
	.section	.rodata,"a",@progbits
	.p2align	6, 0x0
	.amdhsa_kernel _ZN9rocsparseL16sddmm_csx_kernelILi512ELi4EL20rocsparse_direction_0EfllfffEEv20rocsparse_operation_S2_16rocsparse_order_S3_T4_S4_S4_T3_NS_24const_host_device_scalarIT2_EEPKT5_lPKT6_lS8_PT7_PKS5_PKS4_21rocsparse_index_base_b
		.amdhsa_group_segment_fixed_size 2048
		.amdhsa_private_segment_fixed_size 0
		.amdhsa_kernarg_size 128
		.amdhsa_user_sgpr_count 2
		.amdhsa_user_sgpr_dispatch_ptr 0
		.amdhsa_user_sgpr_queue_ptr 0
		.amdhsa_user_sgpr_kernarg_segment_ptr 1
		.amdhsa_user_sgpr_dispatch_id 0
		.amdhsa_user_sgpr_kernarg_preload_length 0
		.amdhsa_user_sgpr_kernarg_preload_offset 0
		.amdhsa_user_sgpr_private_segment_size 0
		.amdhsa_uses_dynamic_stack 0
		.amdhsa_enable_private_segment 0
		.amdhsa_system_sgpr_workgroup_id_x 1
		.amdhsa_system_sgpr_workgroup_id_y 0
		.amdhsa_system_sgpr_workgroup_id_z 0
		.amdhsa_system_sgpr_workgroup_info 0
		.amdhsa_system_vgpr_workitem_id 0
		.amdhsa_next_free_vgpr 21
		.amdhsa_next_free_sgpr 36
		.amdhsa_accum_offset 24
		.amdhsa_reserve_vcc 1
		.amdhsa_float_round_mode_32 0
		.amdhsa_float_round_mode_16_64 0
		.amdhsa_float_denorm_mode_32 3
		.amdhsa_float_denorm_mode_16_64 3
		.amdhsa_dx10_clamp 1
		.amdhsa_ieee_mode 1
		.amdhsa_fp16_overflow 0
		.amdhsa_tg_split 0
		.amdhsa_exception_fp_ieee_invalid_op 0
		.amdhsa_exception_fp_denorm_src 0
		.amdhsa_exception_fp_ieee_div_zero 0
		.amdhsa_exception_fp_ieee_overflow 0
		.amdhsa_exception_fp_ieee_underflow 0
		.amdhsa_exception_fp_ieee_inexact 0
		.amdhsa_exception_int_div_zero 0
	.end_amdhsa_kernel
	.section	.text._ZN9rocsparseL16sddmm_csx_kernelILi512ELi4EL20rocsparse_direction_0EfllfffEEv20rocsparse_operation_S2_16rocsparse_order_S3_T4_S4_S4_T3_NS_24const_host_device_scalarIT2_EEPKT5_lPKT6_lS8_PT7_PKS5_PKS4_21rocsparse_index_base_b,"axG",@progbits,_ZN9rocsparseL16sddmm_csx_kernelILi512ELi4EL20rocsparse_direction_0EfllfffEEv20rocsparse_operation_S2_16rocsparse_order_S3_T4_S4_S4_T3_NS_24const_host_device_scalarIT2_EEPKT5_lPKT6_lS8_PT7_PKS5_PKS4_21rocsparse_index_base_b,comdat
.Lfunc_end177:
	.size	_ZN9rocsparseL16sddmm_csx_kernelILi512ELi4EL20rocsparse_direction_0EfllfffEEv20rocsparse_operation_S2_16rocsparse_order_S3_T4_S4_S4_T3_NS_24const_host_device_scalarIT2_EEPKT5_lPKT6_lS8_PT7_PKS5_PKS4_21rocsparse_index_base_b, .Lfunc_end177-_ZN9rocsparseL16sddmm_csx_kernelILi512ELi4EL20rocsparse_direction_0EfllfffEEv20rocsparse_operation_S2_16rocsparse_order_S3_T4_S4_S4_T3_NS_24const_host_device_scalarIT2_EEPKT5_lPKT6_lS8_PT7_PKS5_PKS4_21rocsparse_index_base_b
                                        ; -- End function
	.set _ZN9rocsparseL16sddmm_csx_kernelILi512ELi4EL20rocsparse_direction_0EfllfffEEv20rocsparse_operation_S2_16rocsparse_order_S3_T4_S4_S4_T3_NS_24const_host_device_scalarIT2_EEPKT5_lPKT6_lS8_PT7_PKS5_PKS4_21rocsparse_index_base_b.num_vgpr, 21
	.set _ZN9rocsparseL16sddmm_csx_kernelILi512ELi4EL20rocsparse_direction_0EfllfffEEv20rocsparse_operation_S2_16rocsparse_order_S3_T4_S4_S4_T3_NS_24const_host_device_scalarIT2_EEPKT5_lPKT6_lS8_PT7_PKS5_PKS4_21rocsparse_index_base_b.num_agpr, 0
	.set _ZN9rocsparseL16sddmm_csx_kernelILi512ELi4EL20rocsparse_direction_0EfllfffEEv20rocsparse_operation_S2_16rocsparse_order_S3_T4_S4_S4_T3_NS_24const_host_device_scalarIT2_EEPKT5_lPKT6_lS8_PT7_PKS5_PKS4_21rocsparse_index_base_b.numbered_sgpr, 36
	.set _ZN9rocsparseL16sddmm_csx_kernelILi512ELi4EL20rocsparse_direction_0EfllfffEEv20rocsparse_operation_S2_16rocsparse_order_S3_T4_S4_S4_T3_NS_24const_host_device_scalarIT2_EEPKT5_lPKT6_lS8_PT7_PKS5_PKS4_21rocsparse_index_base_b.num_named_barrier, 0
	.set _ZN9rocsparseL16sddmm_csx_kernelILi512ELi4EL20rocsparse_direction_0EfllfffEEv20rocsparse_operation_S2_16rocsparse_order_S3_T4_S4_S4_T3_NS_24const_host_device_scalarIT2_EEPKT5_lPKT6_lS8_PT7_PKS5_PKS4_21rocsparse_index_base_b.private_seg_size, 0
	.set _ZN9rocsparseL16sddmm_csx_kernelILi512ELi4EL20rocsparse_direction_0EfllfffEEv20rocsparse_operation_S2_16rocsparse_order_S3_T4_S4_S4_T3_NS_24const_host_device_scalarIT2_EEPKT5_lPKT6_lS8_PT7_PKS5_PKS4_21rocsparse_index_base_b.uses_vcc, 1
	.set _ZN9rocsparseL16sddmm_csx_kernelILi512ELi4EL20rocsparse_direction_0EfllfffEEv20rocsparse_operation_S2_16rocsparse_order_S3_T4_S4_S4_T3_NS_24const_host_device_scalarIT2_EEPKT5_lPKT6_lS8_PT7_PKS5_PKS4_21rocsparse_index_base_b.uses_flat_scratch, 0
	.set _ZN9rocsparseL16sddmm_csx_kernelILi512ELi4EL20rocsparse_direction_0EfllfffEEv20rocsparse_operation_S2_16rocsparse_order_S3_T4_S4_S4_T3_NS_24const_host_device_scalarIT2_EEPKT5_lPKT6_lS8_PT7_PKS5_PKS4_21rocsparse_index_base_b.has_dyn_sized_stack, 0
	.set _ZN9rocsparseL16sddmm_csx_kernelILi512ELi4EL20rocsparse_direction_0EfllfffEEv20rocsparse_operation_S2_16rocsparse_order_S3_T4_S4_S4_T3_NS_24const_host_device_scalarIT2_EEPKT5_lPKT6_lS8_PT7_PKS5_PKS4_21rocsparse_index_base_b.has_recursion, 0
	.set _ZN9rocsparseL16sddmm_csx_kernelILi512ELi4EL20rocsparse_direction_0EfllfffEEv20rocsparse_operation_S2_16rocsparse_order_S3_T4_S4_S4_T3_NS_24const_host_device_scalarIT2_EEPKT5_lPKT6_lS8_PT7_PKS5_PKS4_21rocsparse_index_base_b.has_indirect_call, 0
	.section	.AMDGPU.csdata,"",@progbits
; Kernel info:
; codeLenInByte = 1104
; TotalNumSgprs: 42
; NumVgprs: 21
; NumAgprs: 0
; TotalNumVgprs: 21
; ScratchSize: 0
; MemoryBound: 0
; FloatMode: 240
; IeeeMode: 1
; LDSByteSize: 2048 bytes/workgroup (compile time only)
; SGPRBlocks: 5
; VGPRBlocks: 2
; NumSGPRsForWavesPerEU: 42
; NumVGPRsForWavesPerEU: 21
; AccumOffset: 24
; Occupancy: 8
; WaveLimiterHint : 0
; COMPUTE_PGM_RSRC2:SCRATCH_EN: 0
; COMPUTE_PGM_RSRC2:USER_SGPR: 2
; COMPUTE_PGM_RSRC2:TRAP_HANDLER: 0
; COMPUTE_PGM_RSRC2:TGID_X_EN: 1
; COMPUTE_PGM_RSRC2:TGID_Y_EN: 0
; COMPUTE_PGM_RSRC2:TGID_Z_EN: 0
; COMPUTE_PGM_RSRC2:TIDIG_COMP_CNT: 0
; COMPUTE_PGM_RSRC3_GFX90A:ACCUM_OFFSET: 5
; COMPUTE_PGM_RSRC3_GFX90A:TG_SPLIT: 0
	.section	.text._ZN9rocsparseL16sddmm_csx_kernelILi512ELi2EL20rocsparse_direction_0EfllfffEEv20rocsparse_operation_S2_16rocsparse_order_S3_T4_S4_S4_T3_NS_24const_host_device_scalarIT2_EEPKT5_lPKT6_lS8_PT7_PKS5_PKS4_21rocsparse_index_base_b,"axG",@progbits,_ZN9rocsparseL16sddmm_csx_kernelILi512ELi2EL20rocsparse_direction_0EfllfffEEv20rocsparse_operation_S2_16rocsparse_order_S3_T4_S4_S4_T3_NS_24const_host_device_scalarIT2_EEPKT5_lPKT6_lS8_PT7_PKS5_PKS4_21rocsparse_index_base_b,comdat
	.globl	_ZN9rocsparseL16sddmm_csx_kernelILi512ELi2EL20rocsparse_direction_0EfllfffEEv20rocsparse_operation_S2_16rocsparse_order_S3_T4_S4_S4_T3_NS_24const_host_device_scalarIT2_EEPKT5_lPKT6_lS8_PT7_PKS5_PKS4_21rocsparse_index_base_b ; -- Begin function _ZN9rocsparseL16sddmm_csx_kernelILi512ELi2EL20rocsparse_direction_0EfllfffEEv20rocsparse_operation_S2_16rocsparse_order_S3_T4_S4_S4_T3_NS_24const_host_device_scalarIT2_EEPKT5_lPKT6_lS8_PT7_PKS5_PKS4_21rocsparse_index_base_b
	.p2align	8
	.type	_ZN9rocsparseL16sddmm_csx_kernelILi512ELi2EL20rocsparse_direction_0EfllfffEEv20rocsparse_operation_S2_16rocsparse_order_S3_T4_S4_S4_T3_NS_24const_host_device_scalarIT2_EEPKT5_lPKT6_lS8_PT7_PKS5_PKS4_21rocsparse_index_base_b,@function
_ZN9rocsparseL16sddmm_csx_kernelILi512ELi2EL20rocsparse_direction_0EfllfffEEv20rocsparse_operation_S2_16rocsparse_order_S3_T4_S4_S4_T3_NS_24const_host_device_scalarIT2_EEPKT5_lPKT6_lS8_PT7_PKS5_PKS4_21rocsparse_index_base_b: ; @_ZN9rocsparseL16sddmm_csx_kernelILi512ELi2EL20rocsparse_direction_0EfllfffEEv20rocsparse_operation_S2_16rocsparse_order_S3_T4_S4_S4_T3_NS_24const_host_device_scalarIT2_EEPKT5_lPKT6_lS8_PT7_PKS5_PKS4_21rocsparse_index_base_b
; %bb.0:
	s_load_dwordx2 s[10:11], s[0:1], 0x78
	s_load_dwordx2 s[6:7], s[0:1], 0x30
	s_load_dwordx4 s[12:15], s[0:1], 0x50
	s_waitcnt lgkmcnt(0)
	s_bitcmp1_b32 s11, 0
	s_cselect_b64 s[8:9], -1, 0
	s_xor_b64 s[4:5], s[8:9], -1
	s_and_b64 vcc, exec, s[8:9]
	s_mov_b32 s17, s6
	s_cbranch_vccnz .LBB178_2
; %bb.1:
	s_load_dword s17, s[6:7], 0x0
.LBB178_2:
	s_andn2_b64 vcc, exec, s[4:5]
	s_mov_b32 s16, s14
	s_cbranch_vccnz .LBB178_4
; %bb.3:
	s_load_dword s16, s[14:15], 0x0
.LBB178_4:
	s_waitcnt lgkmcnt(0)
	v_cmp_eq_f32_e64 s[4:5], s17, 0
	v_cmp_eq_f32_e64 s[6:7], s16, 1.0
	s_and_b64 s[4:5], s[4:5], s[6:7]
	s_and_b64 vcc, exec, s[4:5]
	s_cbranch_vccnz .LBB178_32
; %bb.5:
	s_load_dwordx2 s[4:5], s[0:1], 0x10
	v_lshrrev_b32_e32 v6, 1, v0
	v_lshl_or_b32 v2, s2, 8, v6
	v_mov_b32_e32 v3, 0
	s_waitcnt lgkmcnt(0)
	v_cmp_gt_i64_e32 vcc, s[4:5], v[2:3]
	s_and_saveexec_b64 s[2:3], vcc
	s_cbranch_execz .LBB178_32
; %bb.6:
	s_load_dwordx4 s[4:7], s[0:1], 0x0
	s_load_dwordx2 s[14:15], s[0:1], 0x68
	s_load_dwordx2 s[2:3], s[0:1], 0x40
	s_waitcnt lgkmcnt(0)
	s_cmp_eq_u32 s6, 1
	s_cselect_b64 s[8:9], -1, 0
	s_cmpk_eq_i32 s4, 0x6f
	s_cselect_b64 s[18:19], -1, 0
	s_cmpk_lg_i32 s4, 0x6f
	s_cselect_b64 s[20:21], -1, 0
	s_cmp_lg_u32 s6, 1
	s_cbranch_scc0 .LBB178_10
; %bb.7:
	s_andn2_b64 vcc, exec, s[18:19]
	v_mov_b64_e32 v[8:9], v[2:3]
	s_cbranch_vccnz .LBB178_9
; %bb.8:
	v_mad_u64_u32 v[8:9], s[22:23], s2, v2, 0
	v_mov_b32_e32 v4, v9
	v_mad_u64_u32 v[4:5], s[22:23], s3, v2, v[4:5]
	v_mov_b32_e32 v9, v4
.LBB178_9:
	s_cbranch_execz .LBB178_11
	s_branch .LBB178_13
.LBB178_10:
                                        ; implicit-def: $vgpr8_vgpr9
.LBB178_11:
	s_andn2_b64 vcc, exec, s[20:21]
	v_mov_b64_e32 v[8:9], v[2:3]
	s_cbranch_vccnz .LBB178_13
; %bb.12:
	v_mad_u64_u32 v[8:9], s[20:21], s2, v2, 0
	v_mov_b32_e32 v4, v9
	v_mad_u64_u32 v[4:5], s[20:21], s3, v2, v[4:5]
	v_mov_b32_e32 v9, v4
.LBB178_13:
	v_lshl_add_u64 v[2:3], v[2:3], 3, s[14:15]
	global_load_dwordx4 v[2:5], v[2:3], off
	s_waitcnt vmcnt(0)
	v_cmp_lt_i64_e32 vcc, v[2:3], v[4:5]
	s_and_b64 exec, exec, vcc
	s_cbranch_execz .LBB178_32
; %bb.14:
	s_xor_b64 s[8:9], s[18:19], s[8:9]
	s_and_b64 s[8:9], s[8:9], exec
	s_cselect_b32 s9, 0, s3
	s_cselect_b32 s8, 1, s2
	s_cmp_lg_u32 s7, 1
	s_cselect_b64 s[18:19], -1, 0
	s_cmp_eq_u32 s7, 1
	s_cselect_b64 s[2:3], -1, 0
	s_cmpk_eq_i32 s5, 0x6f
	s_cselect_b64 s[6:7], -1, 0
	s_cmpk_lg_i32 s5, 0x6f
	s_load_dwordx2 s[24:25], s[0:1], 0x48
	s_load_dwordx2 s[20:21], s[0:1], 0x60
	;; [unrolled: 1-line block ×5, first 2 shown]
	s_cselect_b64 s[4:5], -1, 0
	s_xor_b64 s[2:3], s[6:7], s[2:3]
	s_and_b64 s[2:3], s[2:3], exec
	v_and_b32_e32 v0, 1, v0
	v_subrev_co_u32_e32 v2, vcc, s10, v2
	v_cndmask_b32_e64 v12, 0, 1, s[6:7]
	s_cselect_b32 s7, s13, 0
	s_cselect_b32 s6, s12, 1
	v_subbrev_co_u32_e32 v3, vcc, 0, v3, vcc
	v_mul_lo_u32 v11, s9, v0
	v_mul_lo_u32 v10, s8, v0
	v_lshlrev_b64 v[8:9], 2, v[8:9]
	v_mov_b32_e32 v1, 0
	v_lshlrev_b32_e32 v16, 3, v6
	v_subrev_co_u32_e32 v4, vcc, s10, v4
	v_mul_lo_u32 v7, s7, v0
	v_mul_lo_u32 v6, s6, v0
	v_lshl_add_u64 v[8:9], v[10:11], 2, v[8:9]
	v_cndmask_b32_e64 v10, 0, 1, s[4:5]
	s_waitcnt lgkmcnt(0)
	v_cmp_gt_i64_e64 s[0:1], s[22:23], v[0:1]
	v_lshl_or_b32 v17, v0, 2, v16
	v_cmp_eq_u32_e64 s[2:3], 0, v0
	v_subbrev_co_u32_e32 v5, vcc, 0, v5, vcc
	v_lshl_add_u64 v[6:7], v[6:7], 2, s[24:25]
	s_lshl_b64 s[24:25], s[6:7], 3
	v_lshl_add_u64 v[8:9], s[26:27], 0, v[8:9]
	s_lshl_b64 s[26:27], s[8:9], 3
	s_mov_b64 s[28:29], 0
	v_cmp_ne_u32_e64 s[4:5], 1, v10
	v_cmp_ne_u32_e64 s[6:7], 1, v12
	s_branch .LBB178_16
.LBB178_15:                             ;   in Loop: Header=BB178_16 Depth=1
	s_or_b64 exec, exec, s[8:9]
	v_lshl_add_u64 v[2:3], v[2:3], 0, 1
	v_cmp_ge_i64_e32 vcc, v[2:3], v[4:5]
	s_or_b64 s[28:29], vcc, s[28:29]
	s_andn2_b64 exec, exec, s[28:29]
	s_cbranch_execz .LBB178_32
.LBB178_16:                             ; =>This Loop Header: Depth=1
                                        ;     Child Loop BB178_26 Depth 2
	v_lshl_add_u64 v[10:11], v[2:3], 3, s[14:15]
	global_load_dwordx2 v[10:11], v[10:11], off
	s_mov_b64 s[30:31], -1
	s_and_b64 vcc, exec, s[18:19]
                                        ; implicit-def: $vgpr12_vgpr13
	s_waitcnt vmcnt(0)
	v_subrev_co_u32_e64 v10, s[8:9], s10, v10
	s_nop 1
	v_subbrev_co_u32_e64 v11, s[8:9], 0, v11, s[8:9]
	s_cbranch_vccnz .LBB178_19
; %bb.17:                               ;   in Loop: Header=BB178_16 Depth=1
	s_andn2_b64 vcc, exec, s[30:31]
	s_cbranch_vccz .LBB178_22
.LBB178_18:                             ;   in Loop: Header=BB178_16 Depth=1
	v_mov_b32_e32 v18, 0
	s_and_saveexec_b64 s[8:9], s[0:1]
	s_cbranch_execnz .LBB178_25
	s_branch .LBB178_28
.LBB178_19:                             ;   in Loop: Header=BB178_16 Depth=1
	s_and_b64 vcc, exec, s[4:5]
	v_mov_b64_e32 v[12:13], v[10:11]
	s_cbranch_vccnz .LBB178_21
; %bb.20:                               ;   in Loop: Header=BB178_16 Depth=1
	v_mul_lo_u32 v14, v11, s12
	v_mul_lo_u32 v15, v10, s13
	v_mad_u64_u32 v[12:13], s[8:9], v10, s12, 0
	v_add3_u32 v13, v13, v15, v14
.LBB178_21:                             ;   in Loop: Header=BB178_16 Depth=1
	s_cbranch_execnz .LBB178_18
.LBB178_22:                             ;   in Loop: Header=BB178_16 Depth=1
	s_and_b64 vcc, exec, s[6:7]
	s_cbranch_vccnz .LBB178_24
; %bb.23:                               ;   in Loop: Header=BB178_16 Depth=1
	v_mul_lo_u32 v12, v11, s12
	v_mul_lo_u32 v13, v10, s13
	v_mad_u64_u32 v[10:11], s[8:9], v10, s12, 0
	v_add3_u32 v11, v11, v13, v12
.LBB178_24:                             ;   in Loop: Header=BB178_16 Depth=1
	v_mov_b64_e32 v[12:13], v[10:11]
	v_mov_b32_e32 v18, 0
	s_and_saveexec_b64 s[8:9], s[0:1]
	s_cbranch_execz .LBB178_28
.LBB178_25:                             ;   in Loop: Header=BB178_16 Depth=1
	v_lshl_add_u64 v[10:11], v[12:13], 2, v[6:7]
	v_mov_b32_e32 v18, 0
	s_mov_b64 s[30:31], 0
	v_mov_b64_e32 v[12:13], v[8:9]
	v_mov_b64_e32 v[14:15], v[0:1]
.LBB178_26:                             ;   Parent Loop BB178_16 Depth=1
                                        ; =>  This Inner Loop Header: Depth=2
	global_load_dword v19, v[12:13], off
	global_load_dword v20, v[10:11], off
	v_lshl_add_u64 v[14:15], v[14:15], 0, 2
	v_cmp_le_i64_e32 vcc, s[22:23], v[14:15]
	v_lshl_add_u64 v[10:11], v[10:11], 0, s[24:25]
	v_lshl_add_u64 v[12:13], v[12:13], 0, s[26:27]
	s_or_b64 s[30:31], vcc, s[30:31]
	s_waitcnt vmcnt(0)
	v_fmac_f32_e32 v18, v19, v20
	s_andn2_b64 exec, exec, s[30:31]
	s_cbranch_execnz .LBB178_26
; %bb.27:                               ;   in Loop: Header=BB178_16 Depth=1
	s_or_b64 exec, exec, s[30:31]
.LBB178_28:                             ;   in Loop: Header=BB178_16 Depth=1
	s_or_b64 exec, exec, s[8:9]
	ds_write_b32 v17, v18
	s_waitcnt lgkmcnt(0)
	s_barrier
	s_and_saveexec_b64 s[8:9], s[2:3]
	s_cbranch_execz .LBB178_30
; %bb.29:                               ;   in Loop: Header=BB178_16 Depth=1
	ds_read_b32 v10, v16 offset:4
	ds_read_b32 v11, v17
	s_waitcnt lgkmcnt(0)
	v_add_f32_e32 v10, v10, v11
	ds_write_b32 v17, v10
.LBB178_30:                             ;   in Loop: Header=BB178_16 Depth=1
	s_or_b64 exec, exec, s[8:9]
	s_waitcnt lgkmcnt(0)
	s_barrier
	s_and_saveexec_b64 s[8:9], s[2:3]
	s_cbranch_execz .LBB178_15
; %bb.31:                               ;   in Loop: Header=BB178_16 Depth=1
	v_lshl_add_u64 v[10:11], v[2:3], 2, s[20:21]
	global_load_dword v12, v[10:11], off
	ds_read_b32 v13, v16
	s_waitcnt vmcnt(0) lgkmcnt(0)
	v_pk_mul_f32 v[12:13], s[16:17], v[12:13]
	s_nop 0
	v_add_f32_e32 v12, v12, v13
	global_store_dword v[10:11], v12, off
	s_branch .LBB178_15
.LBB178_32:
	s_endpgm
	.section	.rodata,"a",@progbits
	.p2align	6, 0x0
	.amdhsa_kernel _ZN9rocsparseL16sddmm_csx_kernelILi512ELi2EL20rocsparse_direction_0EfllfffEEv20rocsparse_operation_S2_16rocsparse_order_S3_T4_S4_S4_T3_NS_24const_host_device_scalarIT2_EEPKT5_lPKT6_lS8_PT7_PKS5_PKS4_21rocsparse_index_base_b
		.amdhsa_group_segment_fixed_size 2048
		.amdhsa_private_segment_fixed_size 0
		.amdhsa_kernarg_size 128
		.amdhsa_user_sgpr_count 2
		.amdhsa_user_sgpr_dispatch_ptr 0
		.amdhsa_user_sgpr_queue_ptr 0
		.amdhsa_user_sgpr_kernarg_segment_ptr 1
		.amdhsa_user_sgpr_dispatch_id 0
		.amdhsa_user_sgpr_kernarg_preload_length 0
		.amdhsa_user_sgpr_kernarg_preload_offset 0
		.amdhsa_user_sgpr_private_segment_size 0
		.amdhsa_uses_dynamic_stack 0
		.amdhsa_enable_private_segment 0
		.amdhsa_system_sgpr_workgroup_id_x 1
		.amdhsa_system_sgpr_workgroup_id_y 0
		.amdhsa_system_sgpr_workgroup_id_z 0
		.amdhsa_system_sgpr_workgroup_info 0
		.amdhsa_system_vgpr_workitem_id 0
		.amdhsa_next_free_vgpr 21
		.amdhsa_next_free_sgpr 32
		.amdhsa_accum_offset 24
		.amdhsa_reserve_vcc 1
		.amdhsa_float_round_mode_32 0
		.amdhsa_float_round_mode_16_64 0
		.amdhsa_float_denorm_mode_32 3
		.amdhsa_float_denorm_mode_16_64 3
		.amdhsa_dx10_clamp 1
		.amdhsa_ieee_mode 1
		.amdhsa_fp16_overflow 0
		.amdhsa_tg_split 0
		.amdhsa_exception_fp_ieee_invalid_op 0
		.amdhsa_exception_fp_denorm_src 0
		.amdhsa_exception_fp_ieee_div_zero 0
		.amdhsa_exception_fp_ieee_overflow 0
		.amdhsa_exception_fp_ieee_underflow 0
		.amdhsa_exception_fp_ieee_inexact 0
		.amdhsa_exception_int_div_zero 0
	.end_amdhsa_kernel
	.section	.text._ZN9rocsparseL16sddmm_csx_kernelILi512ELi2EL20rocsparse_direction_0EfllfffEEv20rocsparse_operation_S2_16rocsparse_order_S3_T4_S4_S4_T3_NS_24const_host_device_scalarIT2_EEPKT5_lPKT6_lS8_PT7_PKS5_PKS4_21rocsparse_index_base_b,"axG",@progbits,_ZN9rocsparseL16sddmm_csx_kernelILi512ELi2EL20rocsparse_direction_0EfllfffEEv20rocsparse_operation_S2_16rocsparse_order_S3_T4_S4_S4_T3_NS_24const_host_device_scalarIT2_EEPKT5_lPKT6_lS8_PT7_PKS5_PKS4_21rocsparse_index_base_b,comdat
.Lfunc_end178:
	.size	_ZN9rocsparseL16sddmm_csx_kernelILi512ELi2EL20rocsparse_direction_0EfllfffEEv20rocsparse_operation_S2_16rocsparse_order_S3_T4_S4_S4_T3_NS_24const_host_device_scalarIT2_EEPKT5_lPKT6_lS8_PT7_PKS5_PKS4_21rocsparse_index_base_b, .Lfunc_end178-_ZN9rocsparseL16sddmm_csx_kernelILi512ELi2EL20rocsparse_direction_0EfllfffEEv20rocsparse_operation_S2_16rocsparse_order_S3_T4_S4_S4_T3_NS_24const_host_device_scalarIT2_EEPKT5_lPKT6_lS8_PT7_PKS5_PKS4_21rocsparse_index_base_b
                                        ; -- End function
	.set _ZN9rocsparseL16sddmm_csx_kernelILi512ELi2EL20rocsparse_direction_0EfllfffEEv20rocsparse_operation_S2_16rocsparse_order_S3_T4_S4_S4_T3_NS_24const_host_device_scalarIT2_EEPKT5_lPKT6_lS8_PT7_PKS5_PKS4_21rocsparse_index_base_b.num_vgpr, 21
	.set _ZN9rocsparseL16sddmm_csx_kernelILi512ELi2EL20rocsparse_direction_0EfllfffEEv20rocsparse_operation_S2_16rocsparse_order_S3_T4_S4_S4_T3_NS_24const_host_device_scalarIT2_EEPKT5_lPKT6_lS8_PT7_PKS5_PKS4_21rocsparse_index_base_b.num_agpr, 0
	.set _ZN9rocsparseL16sddmm_csx_kernelILi512ELi2EL20rocsparse_direction_0EfllfffEEv20rocsparse_operation_S2_16rocsparse_order_S3_T4_S4_S4_T3_NS_24const_host_device_scalarIT2_EEPKT5_lPKT6_lS8_PT7_PKS5_PKS4_21rocsparse_index_base_b.numbered_sgpr, 32
	.set _ZN9rocsparseL16sddmm_csx_kernelILi512ELi2EL20rocsparse_direction_0EfllfffEEv20rocsparse_operation_S2_16rocsparse_order_S3_T4_S4_S4_T3_NS_24const_host_device_scalarIT2_EEPKT5_lPKT6_lS8_PT7_PKS5_PKS4_21rocsparse_index_base_b.num_named_barrier, 0
	.set _ZN9rocsparseL16sddmm_csx_kernelILi512ELi2EL20rocsparse_direction_0EfllfffEEv20rocsparse_operation_S2_16rocsparse_order_S3_T4_S4_S4_T3_NS_24const_host_device_scalarIT2_EEPKT5_lPKT6_lS8_PT7_PKS5_PKS4_21rocsparse_index_base_b.private_seg_size, 0
	.set _ZN9rocsparseL16sddmm_csx_kernelILi512ELi2EL20rocsparse_direction_0EfllfffEEv20rocsparse_operation_S2_16rocsparse_order_S3_T4_S4_S4_T3_NS_24const_host_device_scalarIT2_EEPKT5_lPKT6_lS8_PT7_PKS5_PKS4_21rocsparse_index_base_b.uses_vcc, 1
	.set _ZN9rocsparseL16sddmm_csx_kernelILi512ELi2EL20rocsparse_direction_0EfllfffEEv20rocsparse_operation_S2_16rocsparse_order_S3_T4_S4_S4_T3_NS_24const_host_device_scalarIT2_EEPKT5_lPKT6_lS8_PT7_PKS5_PKS4_21rocsparse_index_base_b.uses_flat_scratch, 0
	.set _ZN9rocsparseL16sddmm_csx_kernelILi512ELi2EL20rocsparse_direction_0EfllfffEEv20rocsparse_operation_S2_16rocsparse_order_S3_T4_S4_S4_T3_NS_24const_host_device_scalarIT2_EEPKT5_lPKT6_lS8_PT7_PKS5_PKS4_21rocsparse_index_base_b.has_dyn_sized_stack, 0
	.set _ZN9rocsparseL16sddmm_csx_kernelILi512ELi2EL20rocsparse_direction_0EfllfffEEv20rocsparse_operation_S2_16rocsparse_order_S3_T4_S4_S4_T3_NS_24const_host_device_scalarIT2_EEPKT5_lPKT6_lS8_PT7_PKS5_PKS4_21rocsparse_index_base_b.has_recursion, 0
	.set _ZN9rocsparseL16sddmm_csx_kernelILi512ELi2EL20rocsparse_direction_0EfllfffEEv20rocsparse_operation_S2_16rocsparse_order_S3_T4_S4_S4_T3_NS_24const_host_device_scalarIT2_EEPKT5_lPKT6_lS8_PT7_PKS5_PKS4_21rocsparse_index_base_b.has_indirect_call, 0
	.section	.AMDGPU.csdata,"",@progbits
; Kernel info:
; codeLenInByte = 1036
; TotalNumSgprs: 38
; NumVgprs: 21
; NumAgprs: 0
; TotalNumVgprs: 21
; ScratchSize: 0
; MemoryBound: 0
; FloatMode: 240
; IeeeMode: 1
; LDSByteSize: 2048 bytes/workgroup (compile time only)
; SGPRBlocks: 4
; VGPRBlocks: 2
; NumSGPRsForWavesPerEU: 38
; NumVGPRsForWavesPerEU: 21
; AccumOffset: 24
; Occupancy: 8
; WaveLimiterHint : 0
; COMPUTE_PGM_RSRC2:SCRATCH_EN: 0
; COMPUTE_PGM_RSRC2:USER_SGPR: 2
; COMPUTE_PGM_RSRC2:TRAP_HANDLER: 0
; COMPUTE_PGM_RSRC2:TGID_X_EN: 1
; COMPUTE_PGM_RSRC2:TGID_Y_EN: 0
; COMPUTE_PGM_RSRC2:TGID_Z_EN: 0
; COMPUTE_PGM_RSRC2:TIDIG_COMP_CNT: 0
; COMPUTE_PGM_RSRC3_GFX90A:ACCUM_OFFSET: 5
; COMPUTE_PGM_RSRC3_GFX90A:TG_SPLIT: 0
	.section	.text._ZN9rocsparseL16sddmm_csx_kernelILi512ELi1EL20rocsparse_direction_0EfllfffEEv20rocsparse_operation_S2_16rocsparse_order_S3_T4_S4_S4_T3_NS_24const_host_device_scalarIT2_EEPKT5_lPKT6_lS8_PT7_PKS5_PKS4_21rocsparse_index_base_b,"axG",@progbits,_ZN9rocsparseL16sddmm_csx_kernelILi512ELi1EL20rocsparse_direction_0EfllfffEEv20rocsparse_operation_S2_16rocsparse_order_S3_T4_S4_S4_T3_NS_24const_host_device_scalarIT2_EEPKT5_lPKT6_lS8_PT7_PKS5_PKS4_21rocsparse_index_base_b,comdat
	.globl	_ZN9rocsparseL16sddmm_csx_kernelILi512ELi1EL20rocsparse_direction_0EfllfffEEv20rocsparse_operation_S2_16rocsparse_order_S3_T4_S4_S4_T3_NS_24const_host_device_scalarIT2_EEPKT5_lPKT6_lS8_PT7_PKS5_PKS4_21rocsparse_index_base_b ; -- Begin function _ZN9rocsparseL16sddmm_csx_kernelILi512ELi1EL20rocsparse_direction_0EfllfffEEv20rocsparse_operation_S2_16rocsparse_order_S3_T4_S4_S4_T3_NS_24const_host_device_scalarIT2_EEPKT5_lPKT6_lS8_PT7_PKS5_PKS4_21rocsparse_index_base_b
	.p2align	8
	.type	_ZN9rocsparseL16sddmm_csx_kernelILi512ELi1EL20rocsparse_direction_0EfllfffEEv20rocsparse_operation_S2_16rocsparse_order_S3_T4_S4_S4_T3_NS_24const_host_device_scalarIT2_EEPKT5_lPKT6_lS8_PT7_PKS5_PKS4_21rocsparse_index_base_b,@function
_ZN9rocsparseL16sddmm_csx_kernelILi512ELi1EL20rocsparse_direction_0EfllfffEEv20rocsparse_operation_S2_16rocsparse_order_S3_T4_S4_S4_T3_NS_24const_host_device_scalarIT2_EEPKT5_lPKT6_lS8_PT7_PKS5_PKS4_21rocsparse_index_base_b: ; @_ZN9rocsparseL16sddmm_csx_kernelILi512ELi1EL20rocsparse_direction_0EfllfffEEv20rocsparse_operation_S2_16rocsparse_order_S3_T4_S4_S4_T3_NS_24const_host_device_scalarIT2_EEPKT5_lPKT6_lS8_PT7_PKS5_PKS4_21rocsparse_index_base_b
; %bb.0:
	s_load_dwordx2 s[12:13], s[0:1], 0x78
	s_load_dwordx2 s[6:7], s[0:1], 0x30
	s_load_dwordx4 s[8:11], s[0:1], 0x50
	s_waitcnt lgkmcnt(0)
	s_bitcmp1_b32 s13, 0
	s_cselect_b64 s[14:15], -1, 0
	s_xor_b64 s[4:5], s[14:15], -1
	s_and_b64 vcc, exec, s[14:15]
	s_mov_b32 s15, s6
	s_cbranch_vccnz .LBB179_2
; %bb.1:
	s_load_dword s15, s[6:7], 0x0
.LBB179_2:
	s_andn2_b64 vcc, exec, s[4:5]
	s_mov_b32 s14, s10
	s_cbranch_vccnz .LBB179_4
; %bb.3:
	s_load_dword s14, s[10:11], 0x0
.LBB179_4:
	s_waitcnt lgkmcnt(0)
	v_cmp_eq_f32_e64 s[4:5], s15, 0
	v_cmp_eq_f32_e64 s[6:7], s14, 1.0
	s_and_b64 s[4:5], s[4:5], s[6:7]
	s_and_b64 vcc, exec, s[4:5]
	s_cbranch_vccnz .LBB179_28
; %bb.5:
	s_load_dwordx2 s[4:5], s[0:1], 0x10
	v_lshl_or_b32 v2, s2, 9, v0
	v_mov_b32_e32 v3, 0
	s_waitcnt lgkmcnt(0)
	v_cmp_gt_i64_e32 vcc, s[4:5], v[2:3]
	s_and_saveexec_b64 s[2:3], vcc
	s_cbranch_execz .LBB179_28
; %bb.6:
	s_load_dwordx4 s[4:7], s[0:1], 0x0
	s_load_dwordx2 s[10:11], s[0:1], 0x68
	s_load_dwordx2 s[2:3], s[0:1], 0x40
	s_waitcnt lgkmcnt(0)
	s_cmp_eq_u32 s6, 1
	s_cselect_b64 s[22:23], -1, 0
	s_cmpk_eq_i32 s4, 0x6f
	s_cselect_b64 s[24:25], -1, 0
	s_cmpk_lg_i32 s4, 0x6f
	s_cselect_b64 s[16:17], -1, 0
	s_cmp_lg_u32 s6, 1
	s_cbranch_scc0 .LBB179_10
; %bb.7:
	s_andn2_b64 vcc, exec, s[24:25]
	v_mov_b64_e32 v[6:7], v[2:3]
	s_cbranch_vccnz .LBB179_9
; %bb.8:
	v_mad_u64_u32 v[6:7], s[18:19], s2, v2, 0
	v_mov_b32_e32 v4, v7
	v_mad_u64_u32 v[4:5], s[18:19], s3, v2, v[4:5]
	v_mov_b32_e32 v7, v4
.LBB179_9:
	s_cbranch_execz .LBB179_11
	s_branch .LBB179_13
.LBB179_10:
                                        ; implicit-def: $vgpr6_vgpr7
.LBB179_11:
	s_andn2_b64 vcc, exec, s[16:17]
	v_mov_b64_e32 v[6:7], v[2:3]
	s_cbranch_vccnz .LBB179_13
; %bb.12:
	v_mad_u64_u32 v[6:7], s[16:17], s2, v2, 0
	v_mov_b32_e32 v4, v7
	v_mad_u64_u32 v[4:5], s[16:17], s3, v2, v[4:5]
	v_mov_b32_e32 v7, v4
.LBB179_13:
	v_lshl_add_u64 v[2:3], v[2:3], 3, s[10:11]
	global_load_dwordx4 v[2:5], v[2:3], off
	s_waitcnt vmcnt(0)
	v_cmp_lt_i64_e32 vcc, v[2:3], v[4:5]
	s_and_b64 exec, exec, vcc
	s_cbranch_execz .LBB179_28
; %bb.14:
	s_load_dwordx2 s[26:27], s[0:1], 0x38
	s_load_dwordx2 s[10:11], s[0:1], 0x70
	;; [unrolled: 1-line block ×5, first 2 shown]
	s_xor_b64 s[0:1], s[24:25], s[22:23]
	s_and_b64 s[0:1], s[0:1], exec
	s_cselect_b32 s1, 0, s3
	s_cselect_b32 s0, 1, s2
	s_cmp_lg_u32 s7, 1
	s_cselect_b64 s[22:23], -1, 0
	s_cmp_eq_u32 s7, 1
	s_cselect_b64 s[2:3], -1, 0
	s_cmpk_eq_i32 s5, 0x6f
	s_cselect_b64 s[6:7], -1, 0
	s_cmpk_lg_i32 s5, 0x6f
	v_subrev_co_u32_e32 v2, vcc, s12, v2
	s_cselect_b64 s[4:5], -1, 0
	s_xor_b64 s[2:3], s[6:7], s[2:3]
	v_subbrev_co_u32_e32 v3, vcc, 0, v3, vcc
	s_and_b64 s[2:3], s[2:3], exec
	v_lshlrev_b32_e32 v10, 2, v0
	v_subrev_co_u32_e32 v0, vcc, s12, v4
	v_cndmask_b32_e64 v4, 0, 1, s[4:5]
	s_waitcnt lgkmcnt(0)
	v_cmp_gt_i64_e64 s[4:5], s[20:21], 0
	v_cndmask_b32_e64 v8, 0, 1, s[6:7]
	s_cselect_b32 s3, s9, 0
	s_cselect_b32 s2, s8, 1
	s_lshl_b64 s[28:29], s[0:1], 2
	v_cmp_ne_u32_e64 s[0:1], 1, v4
	v_cndmask_b32_e64 v4, 0, 1, s[4:5]
	v_lshl_add_u64 v[6:7], v[6:7], 2, s[26:27]
	s_mov_b64 s[24:25], 0
	v_subbrev_co_u32_e32 v1, vcc, 0, v5, vcc
	s_lshl_b64 s[26:27], s[2:3], 2
	v_cmp_ne_u32_e64 s[2:3], 1, v8
	v_cmp_ne_u32_e64 s[4:5], 1, v4
	s_branch .LBB179_17
.LBB179_15:                             ;   in Loop: Header=BB179_17 Depth=1
	v_mov_b32_e32 v11, 0
.LBB179_16:                             ;   in Loop: Header=BB179_17 Depth=1
	v_lshl_add_u64 v[4:5], v[2:3], 2, s[18:19]
	ds_write_b32 v10, v11
	s_waitcnt lgkmcnt(0)
	s_barrier
	global_load_dword v8, v[4:5], off
	ds_read_b32 v9, v10
	v_lshl_add_u64 v[2:3], v[2:3], 0, 1
	v_cmp_ge_i64_e32 vcc, v[2:3], v[0:1]
	s_or_b64 s[24:25], vcc, s[24:25]
	s_waitcnt vmcnt(0) lgkmcnt(0)
	v_pk_mul_f32 v[8:9], s[14:15], v[8:9]
	s_nop 0
	v_add_f32_e32 v8, v8, v9
	global_store_dword v[4:5], v8, off
	s_andn2_b64 exec, exec, s[24:25]
	s_cbranch_execz .LBB179_28
.LBB179_17:                             ; =>This Loop Header: Depth=1
                                        ;     Child Loop BB179_27 Depth 2
	v_lshl_add_u64 v[4:5], v[2:3], 3, s[10:11]
	global_load_dwordx2 v[4:5], v[4:5], off
	s_and_b64 vcc, exec, s[22:23]
	s_mov_b64 s[30:31], -1
                                        ; implicit-def: $vgpr8_vgpr9
	s_waitcnt vmcnt(0)
	v_subrev_co_u32_e64 v4, s[6:7], s12, v4
	s_nop 1
	v_subbrev_co_u32_e64 v5, s[6:7], 0, v5, s[6:7]
	s_cbranch_vccnz .LBB179_20
; %bb.18:                               ;   in Loop: Header=BB179_17 Depth=1
	s_andn2_b64 vcc, exec, s[30:31]
	s_cbranch_vccz .LBB179_23
.LBB179_19:                             ;   in Loop: Header=BB179_17 Depth=1
	s_and_b64 vcc, exec, s[4:5]
	s_cbranch_vccz .LBB179_26
	s_branch .LBB179_15
.LBB179_20:                             ;   in Loop: Header=BB179_17 Depth=1
	s_and_b64 vcc, exec, s[0:1]
	v_mov_b64_e32 v[8:9], v[4:5]
	s_cbranch_vccnz .LBB179_22
; %bb.21:                               ;   in Loop: Header=BB179_17 Depth=1
	v_mul_lo_u32 v11, v5, s8
	v_mul_lo_u32 v12, v4, s9
	v_mad_u64_u32 v[8:9], s[6:7], v4, s8, 0
	v_add3_u32 v9, v9, v12, v11
.LBB179_22:                             ;   in Loop: Header=BB179_17 Depth=1
	s_cbranch_execnz .LBB179_19
.LBB179_23:                             ;   in Loop: Header=BB179_17 Depth=1
	s_and_b64 vcc, exec, s[2:3]
	s_cbranch_vccnz .LBB179_25
; %bb.24:                               ;   in Loop: Header=BB179_17 Depth=1
	v_mul_lo_u32 v8, v5, s8
	v_mul_lo_u32 v9, v4, s9
	v_mad_u64_u32 v[4:5], s[6:7], v4, s8, 0
	v_add3_u32 v5, v5, v9, v8
.LBB179_25:                             ;   in Loop: Header=BB179_17 Depth=1
	v_mov_b64_e32 v[8:9], v[4:5]
	s_and_b64 vcc, exec, s[4:5]
	s_cbranch_vccnz .LBB179_15
.LBB179_26:                             ;   in Loop: Header=BB179_17 Depth=1
	v_lshl_add_u64 v[4:5], v[8:9], 2, s[16:17]
	v_mov_b32_e32 v11, 0
	v_mov_b64_e32 v[8:9], v[6:7]
	s_mov_b64 s[6:7], s[20:21]
.LBB179_27:                             ;   Parent Loop BB179_17 Depth=1
                                        ; =>  This Inner Loop Header: Depth=2
	global_load_dword v12, v[8:9], off
	global_load_dword v13, v[4:5], off
	s_add_u32 s6, s6, -1
	s_addc_u32 s7, s7, -1
	v_lshl_add_u64 v[4:5], v[4:5], 0, s[26:27]
	v_lshl_add_u64 v[8:9], v[8:9], 0, s[28:29]
	s_cmp_eq_u64 s[6:7], 0
	s_waitcnt vmcnt(0)
	v_fmac_f32_e32 v11, v12, v13
	s_cbranch_scc0 .LBB179_27
	s_branch .LBB179_16
.LBB179_28:
	s_endpgm
	.section	.rodata,"a",@progbits
	.p2align	6, 0x0
	.amdhsa_kernel _ZN9rocsparseL16sddmm_csx_kernelILi512ELi1EL20rocsparse_direction_0EfllfffEEv20rocsparse_operation_S2_16rocsparse_order_S3_T4_S4_S4_T3_NS_24const_host_device_scalarIT2_EEPKT5_lPKT6_lS8_PT7_PKS5_PKS4_21rocsparse_index_base_b
		.amdhsa_group_segment_fixed_size 2048
		.amdhsa_private_segment_fixed_size 0
		.amdhsa_kernarg_size 128
		.amdhsa_user_sgpr_count 2
		.amdhsa_user_sgpr_dispatch_ptr 0
		.amdhsa_user_sgpr_queue_ptr 0
		.amdhsa_user_sgpr_kernarg_segment_ptr 1
		.amdhsa_user_sgpr_dispatch_id 0
		.amdhsa_user_sgpr_kernarg_preload_length 0
		.amdhsa_user_sgpr_kernarg_preload_offset 0
		.amdhsa_user_sgpr_private_segment_size 0
		.amdhsa_uses_dynamic_stack 0
		.amdhsa_enable_private_segment 0
		.amdhsa_system_sgpr_workgroup_id_x 1
		.amdhsa_system_sgpr_workgroup_id_y 0
		.amdhsa_system_sgpr_workgroup_id_z 0
		.amdhsa_system_sgpr_workgroup_info 0
		.amdhsa_system_vgpr_workitem_id 0
		.amdhsa_next_free_vgpr 14
		.amdhsa_next_free_sgpr 32
		.amdhsa_accum_offset 16
		.amdhsa_reserve_vcc 1
		.amdhsa_float_round_mode_32 0
		.amdhsa_float_round_mode_16_64 0
		.amdhsa_float_denorm_mode_32 3
		.amdhsa_float_denorm_mode_16_64 3
		.amdhsa_dx10_clamp 1
		.amdhsa_ieee_mode 1
		.amdhsa_fp16_overflow 0
		.amdhsa_tg_split 0
		.amdhsa_exception_fp_ieee_invalid_op 0
		.amdhsa_exception_fp_denorm_src 0
		.amdhsa_exception_fp_ieee_div_zero 0
		.amdhsa_exception_fp_ieee_overflow 0
		.amdhsa_exception_fp_ieee_underflow 0
		.amdhsa_exception_fp_ieee_inexact 0
		.amdhsa_exception_int_div_zero 0
	.end_amdhsa_kernel
	.section	.text._ZN9rocsparseL16sddmm_csx_kernelILi512ELi1EL20rocsparse_direction_0EfllfffEEv20rocsparse_operation_S2_16rocsparse_order_S3_T4_S4_S4_T3_NS_24const_host_device_scalarIT2_EEPKT5_lPKT6_lS8_PT7_PKS5_PKS4_21rocsparse_index_base_b,"axG",@progbits,_ZN9rocsparseL16sddmm_csx_kernelILi512ELi1EL20rocsparse_direction_0EfllfffEEv20rocsparse_operation_S2_16rocsparse_order_S3_T4_S4_S4_T3_NS_24const_host_device_scalarIT2_EEPKT5_lPKT6_lS8_PT7_PKS5_PKS4_21rocsparse_index_base_b,comdat
.Lfunc_end179:
	.size	_ZN9rocsparseL16sddmm_csx_kernelILi512ELi1EL20rocsparse_direction_0EfllfffEEv20rocsparse_operation_S2_16rocsparse_order_S3_T4_S4_S4_T3_NS_24const_host_device_scalarIT2_EEPKT5_lPKT6_lS8_PT7_PKS5_PKS4_21rocsparse_index_base_b, .Lfunc_end179-_ZN9rocsparseL16sddmm_csx_kernelILi512ELi1EL20rocsparse_direction_0EfllfffEEv20rocsparse_operation_S2_16rocsparse_order_S3_T4_S4_S4_T3_NS_24const_host_device_scalarIT2_EEPKT5_lPKT6_lS8_PT7_PKS5_PKS4_21rocsparse_index_base_b
                                        ; -- End function
	.set _ZN9rocsparseL16sddmm_csx_kernelILi512ELi1EL20rocsparse_direction_0EfllfffEEv20rocsparse_operation_S2_16rocsparse_order_S3_T4_S4_S4_T3_NS_24const_host_device_scalarIT2_EEPKT5_lPKT6_lS8_PT7_PKS5_PKS4_21rocsparse_index_base_b.num_vgpr, 14
	.set _ZN9rocsparseL16sddmm_csx_kernelILi512ELi1EL20rocsparse_direction_0EfllfffEEv20rocsparse_operation_S2_16rocsparse_order_S3_T4_S4_S4_T3_NS_24const_host_device_scalarIT2_EEPKT5_lPKT6_lS8_PT7_PKS5_PKS4_21rocsparse_index_base_b.num_agpr, 0
	.set _ZN9rocsparseL16sddmm_csx_kernelILi512ELi1EL20rocsparse_direction_0EfllfffEEv20rocsparse_operation_S2_16rocsparse_order_S3_T4_S4_S4_T3_NS_24const_host_device_scalarIT2_EEPKT5_lPKT6_lS8_PT7_PKS5_PKS4_21rocsparse_index_base_b.numbered_sgpr, 32
	.set _ZN9rocsparseL16sddmm_csx_kernelILi512ELi1EL20rocsparse_direction_0EfllfffEEv20rocsparse_operation_S2_16rocsparse_order_S3_T4_S4_S4_T3_NS_24const_host_device_scalarIT2_EEPKT5_lPKT6_lS8_PT7_PKS5_PKS4_21rocsparse_index_base_b.num_named_barrier, 0
	.set _ZN9rocsparseL16sddmm_csx_kernelILi512ELi1EL20rocsparse_direction_0EfllfffEEv20rocsparse_operation_S2_16rocsparse_order_S3_T4_S4_S4_T3_NS_24const_host_device_scalarIT2_EEPKT5_lPKT6_lS8_PT7_PKS5_PKS4_21rocsparse_index_base_b.private_seg_size, 0
	.set _ZN9rocsparseL16sddmm_csx_kernelILi512ELi1EL20rocsparse_direction_0EfllfffEEv20rocsparse_operation_S2_16rocsparse_order_S3_T4_S4_S4_T3_NS_24const_host_device_scalarIT2_EEPKT5_lPKT6_lS8_PT7_PKS5_PKS4_21rocsparse_index_base_b.uses_vcc, 1
	.set _ZN9rocsparseL16sddmm_csx_kernelILi512ELi1EL20rocsparse_direction_0EfllfffEEv20rocsparse_operation_S2_16rocsparse_order_S3_T4_S4_S4_T3_NS_24const_host_device_scalarIT2_EEPKT5_lPKT6_lS8_PT7_PKS5_PKS4_21rocsparse_index_base_b.uses_flat_scratch, 0
	.set _ZN9rocsparseL16sddmm_csx_kernelILi512ELi1EL20rocsparse_direction_0EfllfffEEv20rocsparse_operation_S2_16rocsparse_order_S3_T4_S4_S4_T3_NS_24const_host_device_scalarIT2_EEPKT5_lPKT6_lS8_PT7_PKS5_PKS4_21rocsparse_index_base_b.has_dyn_sized_stack, 0
	.set _ZN9rocsparseL16sddmm_csx_kernelILi512ELi1EL20rocsparse_direction_0EfllfffEEv20rocsparse_operation_S2_16rocsparse_order_S3_T4_S4_S4_T3_NS_24const_host_device_scalarIT2_EEPKT5_lPKT6_lS8_PT7_PKS5_PKS4_21rocsparse_index_base_b.has_recursion, 0
	.set _ZN9rocsparseL16sddmm_csx_kernelILi512ELi1EL20rocsparse_direction_0EfllfffEEv20rocsparse_operation_S2_16rocsparse_order_S3_T4_S4_S4_T3_NS_24const_host_device_scalarIT2_EEPKT5_lPKT6_lS8_PT7_PKS5_PKS4_21rocsparse_index_base_b.has_indirect_call, 0
	.section	.AMDGPU.csdata,"",@progbits
; Kernel info:
; codeLenInByte = 880
; TotalNumSgprs: 38
; NumVgprs: 14
; NumAgprs: 0
; TotalNumVgprs: 14
; ScratchSize: 0
; MemoryBound: 0
; FloatMode: 240
; IeeeMode: 1
; LDSByteSize: 2048 bytes/workgroup (compile time only)
; SGPRBlocks: 4
; VGPRBlocks: 1
; NumSGPRsForWavesPerEU: 38
; NumVGPRsForWavesPerEU: 14
; AccumOffset: 16
; Occupancy: 8
; WaveLimiterHint : 0
; COMPUTE_PGM_RSRC2:SCRATCH_EN: 0
; COMPUTE_PGM_RSRC2:USER_SGPR: 2
; COMPUTE_PGM_RSRC2:TRAP_HANDLER: 0
; COMPUTE_PGM_RSRC2:TGID_X_EN: 1
; COMPUTE_PGM_RSRC2:TGID_Y_EN: 0
; COMPUTE_PGM_RSRC2:TGID_Z_EN: 0
; COMPUTE_PGM_RSRC2:TIDIG_COMP_CNT: 0
; COMPUTE_PGM_RSRC3_GFX90A:ACCUM_OFFSET: 3
; COMPUTE_PGM_RSRC3_GFX90A:TG_SPLIT: 0
	.section	.text._ZN9rocsparseL16csr2dense_kernelILi16ELi32ElldEEviT2_S1_PKT3_PKT1_PKS1_PS2_l16rocsparse_order_,"axG",@progbits,_ZN9rocsparseL16csr2dense_kernelILi16ELi32ElldEEviT2_S1_PKT3_PKT1_PKS1_PS2_l16rocsparse_order_,comdat
	.globl	_ZN9rocsparseL16csr2dense_kernelILi16ELi32ElldEEviT2_S1_PKT3_PKT1_PKS1_PS2_l16rocsparse_order_ ; -- Begin function _ZN9rocsparseL16csr2dense_kernelILi16ELi32ElldEEviT2_S1_PKT3_PKT1_PKS1_PS2_l16rocsparse_order_
	.p2align	8
	.type	_ZN9rocsparseL16csr2dense_kernelILi16ELi32ElldEEviT2_S1_PKT3_PKT1_PKS1_PS2_l16rocsparse_order_,@function
_ZN9rocsparseL16csr2dense_kernelILi16ELi32ElldEEviT2_S1_PKT3_PKT1_PKS1_PS2_l16rocsparse_order_: ; @_ZN9rocsparseL16csr2dense_kernelILi16ELi32ElldEEviT2_S1_PKT3_PKT1_PKS1_PS2_l16rocsparse_order_
; %bb.0:
	s_load_dwordx2 s[4:5], s[0:1], 0x8
	v_lshrrev_b32_e32 v1, 5, v0
	v_lshl_or_b32 v8, s2, 4, v1
	v_mov_b32_e32 v1, 0
	v_mov_b32_e32 v9, v1
	s_waitcnt lgkmcnt(0)
	v_cmp_gt_i64_e32 vcc, s[4:5], v[8:9]
	s_and_saveexec_b64 s[2:3], vcc
	s_cbranch_execz .LBB180_8
; %bb.1:
	s_load_dwordx2 s[2:3], s[0:1], 0x20
	v_and_b32_e32 v0, 31, v0
	s_waitcnt lgkmcnt(0)
	v_lshl_add_u64 v[2:3], v[8:9], 3, s[2:3]
	global_load_dwordx4 v[2:5], v[2:3], off
	s_waitcnt vmcnt(0)
	v_sub_co_u32_e32 v4, vcc, v4, v2
	s_nop 1
	v_subb_co_u32_e32 v5, vcc, v5, v3, vcc
	v_cmp_gt_i64_e32 vcc, v[4:5], v[0:1]
	s_and_b64 exec, exec, vcc
	s_cbranch_execz .LBB180_8
; %bb.2:
	s_load_dword s12, s[0:1], 0x0
	s_load_dwordx4 s[8:11], s[0:1], 0x28
	s_load_dword s4, s[0:1], 0x40
	s_load_dwordx2 s[6:7], s[0:1], 0x18
	s_load_dwordx2 s[2:3], s[0:1], 0x38
	s_waitcnt lgkmcnt(0)
	s_ashr_i32 s13, s12, 31
	v_lshl_add_u64 v[6:7], v[8:9], 3, s[10:11]
	v_lshl_add_u64 v[2:3], v[2:3], 0, v[0:1]
	v_subrev_co_u32_e32 v2, vcc, s12, v2
	v_mad_u64_u32 v[10:11], s[0:1], s2, v8, 0
	v_mov_b32_e32 v12, v11
	v_mad_u64_u32 v[8:9], s[0:1], s3, v8, v[12:13]
	v_mov_b32_e32 v11, v8
	v_lshl_add_u64 v[8:9], v[10:11], 3, s[10:11]
	v_mov_b32_e32 v10, s13
	v_subb_co_u32_e32 v3, vcc, v3, v10, vcc
	s_cmp_lg_u32 s4, 1
	v_lshlrev_b64 v[10:11], 3, v[2:3]
	s_cselect_b64 s[4:5], -1, 0
	v_lshl_add_u64 v[2:3], s[8:9], 0, v[10:11]
	v_lshl_add_u64 v[10:11], s[6:7], 0, v[10:11]
	s_mov_b64 s[6:7], 0
	v_mov_b32_e32 v16, s13
	s_mov_b64 s[8:9], 0x100
	s_branch .LBB180_4
.LBB180_3:                              ;   in Loop: Header=BB180_4 Depth=1
	v_lshl_add_u64 v[0:1], v[0:1], 0, 32
	v_cmp_ge_i64_e32 vcc, v[0:1], v[4:5]
	v_lshl_add_u64 v[2:3], v[2:3], 0, s[8:9]
	s_or_b64 s[6:7], vcc, s[6:7]
	v_lshl_add_u64 v[10:11], v[10:11], 0, s[8:9]
	s_andn2_b64 exec, exec, s[6:7]
	s_cbranch_execz .LBB180_8
.LBB180_4:                              ; =>This Inner Loop Header: Depth=1
	s_barrier
	global_load_dwordx2 v[14:15], v[2:3], off
	global_load_dwordx2 v[12:13], v[10:11], off
	s_mov_b64 s[10:11], -1
	s_and_b64 vcc, exec, s[4:5]
	s_waitcnt vmcnt(1)
	v_subrev_co_u32_e64 v14, s[0:1], s12, v14
	s_nop 1
	v_subb_co_u32_e64 v15, s[0:1], v15, v16, s[0:1]
	s_cbranch_vccz .LBB180_6
; %bb.5:                                ;   in Loop: Header=BB180_4 Depth=1
	v_lshl_add_u64 v[18:19], v[14:15], 3, v[8:9]
	s_waitcnt vmcnt(0)
	global_store_dwordx2 v[18:19], v[12:13], off
	s_mov_b64 s[10:11], 0
.LBB180_6:                              ;   in Loop: Header=BB180_4 Depth=1
	s_andn2_b64 vcc, exec, s[10:11]
	s_cbranch_vccnz .LBB180_3
; %bb.7:                                ;   in Loop: Header=BB180_4 Depth=1
	v_mul_lo_u32 v17, v15, s2
	v_mul_lo_u32 v18, v14, s3
	v_mad_u64_u32 v[14:15], s[0:1], v14, s2, 0
	v_add3_u32 v15, v15, v18, v17
	v_lshl_add_u64 v[14:15], v[14:15], 3, v[6:7]
	s_waitcnt vmcnt(0)
	global_store_dwordx2 v[14:15], v[12:13], off
	s_branch .LBB180_3
.LBB180_8:
	s_endpgm
	.section	.rodata,"a",@progbits
	.p2align	6, 0x0
	.amdhsa_kernel _ZN9rocsparseL16csr2dense_kernelILi16ELi32ElldEEviT2_S1_PKT3_PKT1_PKS1_PS2_l16rocsparse_order_
		.amdhsa_group_segment_fixed_size 0
		.amdhsa_private_segment_fixed_size 0
		.amdhsa_kernarg_size 68
		.amdhsa_user_sgpr_count 2
		.amdhsa_user_sgpr_dispatch_ptr 0
		.amdhsa_user_sgpr_queue_ptr 0
		.amdhsa_user_sgpr_kernarg_segment_ptr 1
		.amdhsa_user_sgpr_dispatch_id 0
		.amdhsa_user_sgpr_kernarg_preload_length 0
		.amdhsa_user_sgpr_kernarg_preload_offset 0
		.amdhsa_user_sgpr_private_segment_size 0
		.amdhsa_uses_dynamic_stack 0
		.amdhsa_enable_private_segment 0
		.amdhsa_system_sgpr_workgroup_id_x 1
		.amdhsa_system_sgpr_workgroup_id_y 0
		.amdhsa_system_sgpr_workgroup_id_z 0
		.amdhsa_system_sgpr_workgroup_info 0
		.amdhsa_system_vgpr_workitem_id 0
		.amdhsa_next_free_vgpr 20
		.amdhsa_next_free_sgpr 14
		.amdhsa_accum_offset 20
		.amdhsa_reserve_vcc 1
		.amdhsa_float_round_mode_32 0
		.amdhsa_float_round_mode_16_64 0
		.amdhsa_float_denorm_mode_32 3
		.amdhsa_float_denorm_mode_16_64 3
		.amdhsa_dx10_clamp 1
		.amdhsa_ieee_mode 1
		.amdhsa_fp16_overflow 0
		.amdhsa_tg_split 0
		.amdhsa_exception_fp_ieee_invalid_op 0
		.amdhsa_exception_fp_denorm_src 0
		.amdhsa_exception_fp_ieee_div_zero 0
		.amdhsa_exception_fp_ieee_overflow 0
		.amdhsa_exception_fp_ieee_underflow 0
		.amdhsa_exception_fp_ieee_inexact 0
		.amdhsa_exception_int_div_zero 0
	.end_amdhsa_kernel
	.section	.text._ZN9rocsparseL16csr2dense_kernelILi16ELi32ElldEEviT2_S1_PKT3_PKT1_PKS1_PS2_l16rocsparse_order_,"axG",@progbits,_ZN9rocsparseL16csr2dense_kernelILi16ELi32ElldEEviT2_S1_PKT3_PKT1_PKS1_PS2_l16rocsparse_order_,comdat
.Lfunc_end180:
	.size	_ZN9rocsparseL16csr2dense_kernelILi16ELi32ElldEEviT2_S1_PKT3_PKT1_PKS1_PS2_l16rocsparse_order_, .Lfunc_end180-_ZN9rocsparseL16csr2dense_kernelILi16ELi32ElldEEviT2_S1_PKT3_PKT1_PKS1_PS2_l16rocsparse_order_
                                        ; -- End function
	.set _ZN9rocsparseL16csr2dense_kernelILi16ELi32ElldEEviT2_S1_PKT3_PKT1_PKS1_PS2_l16rocsparse_order_.num_vgpr, 20
	.set _ZN9rocsparseL16csr2dense_kernelILi16ELi32ElldEEviT2_S1_PKT3_PKT1_PKS1_PS2_l16rocsparse_order_.num_agpr, 0
	.set _ZN9rocsparseL16csr2dense_kernelILi16ELi32ElldEEviT2_S1_PKT3_PKT1_PKS1_PS2_l16rocsparse_order_.numbered_sgpr, 14
	.set _ZN9rocsparseL16csr2dense_kernelILi16ELi32ElldEEviT2_S1_PKT3_PKT1_PKS1_PS2_l16rocsparse_order_.num_named_barrier, 0
	.set _ZN9rocsparseL16csr2dense_kernelILi16ELi32ElldEEviT2_S1_PKT3_PKT1_PKS1_PS2_l16rocsparse_order_.private_seg_size, 0
	.set _ZN9rocsparseL16csr2dense_kernelILi16ELi32ElldEEviT2_S1_PKT3_PKT1_PKS1_PS2_l16rocsparse_order_.uses_vcc, 1
	.set _ZN9rocsparseL16csr2dense_kernelILi16ELi32ElldEEviT2_S1_PKT3_PKT1_PKS1_PS2_l16rocsparse_order_.uses_flat_scratch, 0
	.set _ZN9rocsparseL16csr2dense_kernelILi16ELi32ElldEEviT2_S1_PKT3_PKT1_PKS1_PS2_l16rocsparse_order_.has_dyn_sized_stack, 0
	.set _ZN9rocsparseL16csr2dense_kernelILi16ELi32ElldEEviT2_S1_PKT3_PKT1_PKS1_PS2_l16rocsparse_order_.has_recursion, 0
	.set _ZN9rocsparseL16csr2dense_kernelILi16ELi32ElldEEviT2_S1_PKT3_PKT1_PKS1_PS2_l16rocsparse_order_.has_indirect_call, 0
	.section	.AMDGPU.csdata,"",@progbits
; Kernel info:
; codeLenInByte = 452
; TotalNumSgprs: 20
; NumVgprs: 20
; NumAgprs: 0
; TotalNumVgprs: 20
; ScratchSize: 0
; MemoryBound: 0
; FloatMode: 240
; IeeeMode: 1
; LDSByteSize: 0 bytes/workgroup (compile time only)
; SGPRBlocks: 2
; VGPRBlocks: 2
; NumSGPRsForWavesPerEU: 20
; NumVGPRsForWavesPerEU: 20
; AccumOffset: 20
; Occupancy: 8
; WaveLimiterHint : 1
; COMPUTE_PGM_RSRC2:SCRATCH_EN: 0
; COMPUTE_PGM_RSRC2:USER_SGPR: 2
; COMPUTE_PGM_RSRC2:TRAP_HANDLER: 0
; COMPUTE_PGM_RSRC2:TGID_X_EN: 1
; COMPUTE_PGM_RSRC2:TGID_Y_EN: 0
; COMPUTE_PGM_RSRC2:TGID_Z_EN: 0
; COMPUTE_PGM_RSRC2:TIDIG_COMP_CNT: 0
; COMPUTE_PGM_RSRC3_GFX90A:ACCUM_OFFSET: 4
; COMPUTE_PGM_RSRC3_GFX90A:TG_SPLIT: 0
	.section	.text._ZN9rocsparseL16csr2dense_kernelILi16ELi64ElldEEviT2_S1_PKT3_PKT1_PKS1_PS2_l16rocsparse_order_,"axG",@progbits,_ZN9rocsparseL16csr2dense_kernelILi16ELi64ElldEEviT2_S1_PKT3_PKT1_PKS1_PS2_l16rocsparse_order_,comdat
	.globl	_ZN9rocsparseL16csr2dense_kernelILi16ELi64ElldEEviT2_S1_PKT3_PKT1_PKS1_PS2_l16rocsparse_order_ ; -- Begin function _ZN9rocsparseL16csr2dense_kernelILi16ELi64ElldEEviT2_S1_PKT3_PKT1_PKS1_PS2_l16rocsparse_order_
	.p2align	8
	.type	_ZN9rocsparseL16csr2dense_kernelILi16ELi64ElldEEviT2_S1_PKT3_PKT1_PKS1_PS2_l16rocsparse_order_,@function
_ZN9rocsparseL16csr2dense_kernelILi16ELi64ElldEEviT2_S1_PKT3_PKT1_PKS1_PS2_l16rocsparse_order_: ; @_ZN9rocsparseL16csr2dense_kernelILi16ELi64ElldEEviT2_S1_PKT3_PKT1_PKS1_PS2_l16rocsparse_order_
; %bb.0:
	s_load_dwordx2 s[4:5], s[0:1], 0x8
	v_lshrrev_b32_e32 v1, 6, v0
	v_lshl_or_b32 v8, s2, 4, v1
	v_mov_b32_e32 v1, 0
	v_mov_b32_e32 v9, v1
	s_waitcnt lgkmcnt(0)
	v_cmp_gt_i64_e32 vcc, s[4:5], v[8:9]
	s_and_saveexec_b64 s[2:3], vcc
	s_cbranch_execz .LBB181_8
; %bb.1:
	s_load_dwordx2 s[2:3], s[0:1], 0x20
	v_and_b32_e32 v0, 63, v0
	s_waitcnt lgkmcnt(0)
	v_lshl_add_u64 v[2:3], v[8:9], 3, s[2:3]
	global_load_dwordx4 v[2:5], v[2:3], off
	s_waitcnt vmcnt(0)
	v_sub_co_u32_e32 v4, vcc, v4, v2
	s_nop 1
	v_subb_co_u32_e32 v5, vcc, v5, v3, vcc
	v_cmp_gt_i64_e32 vcc, v[4:5], v[0:1]
	s_and_b64 exec, exec, vcc
	s_cbranch_execz .LBB181_8
; %bb.2:
	s_load_dword s12, s[0:1], 0x0
	s_load_dwordx4 s[8:11], s[0:1], 0x28
	s_load_dword s4, s[0:1], 0x40
	s_load_dwordx2 s[6:7], s[0:1], 0x18
	s_load_dwordx2 s[2:3], s[0:1], 0x38
	s_waitcnt lgkmcnt(0)
	s_ashr_i32 s13, s12, 31
	v_lshl_add_u64 v[6:7], v[8:9], 3, s[10:11]
	v_lshl_add_u64 v[2:3], v[2:3], 0, v[0:1]
	v_subrev_co_u32_e32 v2, vcc, s12, v2
	v_mad_u64_u32 v[10:11], s[0:1], s2, v8, 0
	v_mov_b32_e32 v12, v11
	v_mad_u64_u32 v[8:9], s[0:1], s3, v8, v[12:13]
	v_mov_b32_e32 v11, v8
	v_lshl_add_u64 v[8:9], v[10:11], 3, s[10:11]
	v_mov_b32_e32 v10, s13
	v_subb_co_u32_e32 v3, vcc, v3, v10, vcc
	s_cmp_lg_u32 s4, 1
	v_lshlrev_b64 v[10:11], 3, v[2:3]
	s_cselect_b64 s[4:5], -1, 0
	v_lshl_add_u64 v[2:3], s[8:9], 0, v[10:11]
	v_lshl_add_u64 v[10:11], s[6:7], 0, v[10:11]
	s_mov_b64 s[6:7], 0
	v_mov_b32_e32 v16, s13
	s_mov_b64 s[8:9], 0x200
	s_branch .LBB181_4
.LBB181_3:                              ;   in Loop: Header=BB181_4 Depth=1
	v_lshl_add_u64 v[0:1], v[0:1], 0, 64
	v_cmp_ge_i64_e32 vcc, v[0:1], v[4:5]
	v_lshl_add_u64 v[2:3], v[2:3], 0, s[8:9]
	s_or_b64 s[6:7], vcc, s[6:7]
	v_lshl_add_u64 v[10:11], v[10:11], 0, s[8:9]
	s_andn2_b64 exec, exec, s[6:7]
	s_cbranch_execz .LBB181_8
.LBB181_4:                              ; =>This Inner Loop Header: Depth=1
	s_barrier
	global_load_dwordx2 v[14:15], v[2:3], off
	global_load_dwordx2 v[12:13], v[10:11], off
	s_mov_b64 s[10:11], -1
	s_and_b64 vcc, exec, s[4:5]
	s_waitcnt vmcnt(1)
	v_subrev_co_u32_e64 v14, s[0:1], s12, v14
	s_nop 1
	v_subb_co_u32_e64 v15, s[0:1], v15, v16, s[0:1]
	s_cbranch_vccz .LBB181_6
; %bb.5:                                ;   in Loop: Header=BB181_4 Depth=1
	v_lshl_add_u64 v[18:19], v[14:15], 3, v[8:9]
	s_waitcnt vmcnt(0)
	global_store_dwordx2 v[18:19], v[12:13], off
	s_mov_b64 s[10:11], 0
.LBB181_6:                              ;   in Loop: Header=BB181_4 Depth=1
	s_andn2_b64 vcc, exec, s[10:11]
	s_cbranch_vccnz .LBB181_3
; %bb.7:                                ;   in Loop: Header=BB181_4 Depth=1
	v_mul_lo_u32 v17, v15, s2
	v_mul_lo_u32 v18, v14, s3
	v_mad_u64_u32 v[14:15], s[0:1], v14, s2, 0
	v_add3_u32 v15, v15, v18, v17
	v_lshl_add_u64 v[14:15], v[14:15], 3, v[6:7]
	s_waitcnt vmcnt(0)
	global_store_dwordx2 v[14:15], v[12:13], off
	s_branch .LBB181_3
.LBB181_8:
	s_endpgm
	.section	.rodata,"a",@progbits
	.p2align	6, 0x0
	.amdhsa_kernel _ZN9rocsparseL16csr2dense_kernelILi16ELi64ElldEEviT2_S1_PKT3_PKT1_PKS1_PS2_l16rocsparse_order_
		.amdhsa_group_segment_fixed_size 0
		.amdhsa_private_segment_fixed_size 0
		.amdhsa_kernarg_size 68
		.amdhsa_user_sgpr_count 2
		.amdhsa_user_sgpr_dispatch_ptr 0
		.amdhsa_user_sgpr_queue_ptr 0
		.amdhsa_user_sgpr_kernarg_segment_ptr 1
		.amdhsa_user_sgpr_dispatch_id 0
		.amdhsa_user_sgpr_kernarg_preload_length 0
		.amdhsa_user_sgpr_kernarg_preload_offset 0
		.amdhsa_user_sgpr_private_segment_size 0
		.amdhsa_uses_dynamic_stack 0
		.amdhsa_enable_private_segment 0
		.amdhsa_system_sgpr_workgroup_id_x 1
		.amdhsa_system_sgpr_workgroup_id_y 0
		.amdhsa_system_sgpr_workgroup_id_z 0
		.amdhsa_system_sgpr_workgroup_info 0
		.amdhsa_system_vgpr_workitem_id 0
		.amdhsa_next_free_vgpr 20
		.amdhsa_next_free_sgpr 14
		.amdhsa_accum_offset 20
		.amdhsa_reserve_vcc 1
		.amdhsa_float_round_mode_32 0
		.amdhsa_float_round_mode_16_64 0
		.amdhsa_float_denorm_mode_32 3
		.amdhsa_float_denorm_mode_16_64 3
		.amdhsa_dx10_clamp 1
		.amdhsa_ieee_mode 1
		.amdhsa_fp16_overflow 0
		.amdhsa_tg_split 0
		.amdhsa_exception_fp_ieee_invalid_op 0
		.amdhsa_exception_fp_denorm_src 0
		.amdhsa_exception_fp_ieee_div_zero 0
		.amdhsa_exception_fp_ieee_overflow 0
		.amdhsa_exception_fp_ieee_underflow 0
		.amdhsa_exception_fp_ieee_inexact 0
		.amdhsa_exception_int_div_zero 0
	.end_amdhsa_kernel
	.section	.text._ZN9rocsparseL16csr2dense_kernelILi16ELi64ElldEEviT2_S1_PKT3_PKT1_PKS1_PS2_l16rocsparse_order_,"axG",@progbits,_ZN9rocsparseL16csr2dense_kernelILi16ELi64ElldEEviT2_S1_PKT3_PKT1_PKS1_PS2_l16rocsparse_order_,comdat
.Lfunc_end181:
	.size	_ZN9rocsparseL16csr2dense_kernelILi16ELi64ElldEEviT2_S1_PKT3_PKT1_PKS1_PS2_l16rocsparse_order_, .Lfunc_end181-_ZN9rocsparseL16csr2dense_kernelILi16ELi64ElldEEviT2_S1_PKT3_PKT1_PKS1_PS2_l16rocsparse_order_
                                        ; -- End function
	.set _ZN9rocsparseL16csr2dense_kernelILi16ELi64ElldEEviT2_S1_PKT3_PKT1_PKS1_PS2_l16rocsparse_order_.num_vgpr, 20
	.set _ZN9rocsparseL16csr2dense_kernelILi16ELi64ElldEEviT2_S1_PKT3_PKT1_PKS1_PS2_l16rocsparse_order_.num_agpr, 0
	.set _ZN9rocsparseL16csr2dense_kernelILi16ELi64ElldEEviT2_S1_PKT3_PKT1_PKS1_PS2_l16rocsparse_order_.numbered_sgpr, 14
	.set _ZN9rocsparseL16csr2dense_kernelILi16ELi64ElldEEviT2_S1_PKT3_PKT1_PKS1_PS2_l16rocsparse_order_.num_named_barrier, 0
	.set _ZN9rocsparseL16csr2dense_kernelILi16ELi64ElldEEviT2_S1_PKT3_PKT1_PKS1_PS2_l16rocsparse_order_.private_seg_size, 0
	.set _ZN9rocsparseL16csr2dense_kernelILi16ELi64ElldEEviT2_S1_PKT3_PKT1_PKS1_PS2_l16rocsparse_order_.uses_vcc, 1
	.set _ZN9rocsparseL16csr2dense_kernelILi16ELi64ElldEEviT2_S1_PKT3_PKT1_PKS1_PS2_l16rocsparse_order_.uses_flat_scratch, 0
	.set _ZN9rocsparseL16csr2dense_kernelILi16ELi64ElldEEviT2_S1_PKT3_PKT1_PKS1_PS2_l16rocsparse_order_.has_dyn_sized_stack, 0
	.set _ZN9rocsparseL16csr2dense_kernelILi16ELi64ElldEEviT2_S1_PKT3_PKT1_PKS1_PS2_l16rocsparse_order_.has_recursion, 0
	.set _ZN9rocsparseL16csr2dense_kernelILi16ELi64ElldEEviT2_S1_PKT3_PKT1_PKS1_PS2_l16rocsparse_order_.has_indirect_call, 0
	.section	.AMDGPU.csdata,"",@progbits
; Kernel info:
; codeLenInByte = 452
; TotalNumSgprs: 20
; NumVgprs: 20
; NumAgprs: 0
; TotalNumVgprs: 20
; ScratchSize: 0
; MemoryBound: 0
; FloatMode: 240
; IeeeMode: 1
; LDSByteSize: 0 bytes/workgroup (compile time only)
; SGPRBlocks: 2
; VGPRBlocks: 2
; NumSGPRsForWavesPerEU: 20
; NumVGPRsForWavesPerEU: 20
; AccumOffset: 20
; Occupancy: 8
; WaveLimiterHint : 1
; COMPUTE_PGM_RSRC2:SCRATCH_EN: 0
; COMPUTE_PGM_RSRC2:USER_SGPR: 2
; COMPUTE_PGM_RSRC2:TRAP_HANDLER: 0
; COMPUTE_PGM_RSRC2:TGID_X_EN: 1
; COMPUTE_PGM_RSRC2:TGID_Y_EN: 0
; COMPUTE_PGM_RSRC2:TGID_Z_EN: 0
; COMPUTE_PGM_RSRC2:TIDIG_COMP_CNT: 0
; COMPUTE_PGM_RSRC3_GFX90A:ACCUM_OFFSET: 4
; COMPUTE_PGM_RSRC3_GFX90A:TG_SPLIT: 0
	.section	.text._ZN9rocsparseL16csc2dense_kernelILi16ELi32ElldEEviT2_S1_PKT3_PKT1_PKS1_PS2_l16rocsparse_order_,"axG",@progbits,_ZN9rocsparseL16csc2dense_kernelILi16ELi32ElldEEviT2_S1_PKT3_PKT1_PKS1_PS2_l16rocsparse_order_,comdat
	.globl	_ZN9rocsparseL16csc2dense_kernelILi16ELi32ElldEEviT2_S1_PKT3_PKT1_PKS1_PS2_l16rocsparse_order_ ; -- Begin function _ZN9rocsparseL16csc2dense_kernelILi16ELi32ElldEEviT2_S1_PKT3_PKT1_PKS1_PS2_l16rocsparse_order_
	.p2align	8
	.type	_ZN9rocsparseL16csc2dense_kernelILi16ELi32ElldEEviT2_S1_PKT3_PKT1_PKS1_PS2_l16rocsparse_order_,@function
_ZN9rocsparseL16csc2dense_kernelILi16ELi32ElldEEviT2_S1_PKT3_PKT1_PKS1_PS2_l16rocsparse_order_: ; @_ZN9rocsparseL16csc2dense_kernelILi16ELi32ElldEEviT2_S1_PKT3_PKT1_PKS1_PS2_l16rocsparse_order_
; %bb.0:
	s_load_dwordx2 s[4:5], s[0:1], 0x10
	v_lshrrev_b32_e32 v1, 5, v0
	v_lshl_or_b32 v8, s2, 4, v1
	v_mov_b32_e32 v1, 0
	v_mov_b32_e32 v9, v1
	s_waitcnt lgkmcnt(0)
	v_cmp_gt_i64_e32 vcc, s[4:5], v[8:9]
	s_and_saveexec_b64 s[2:3], vcc
	s_cbranch_execz .LBB182_8
; %bb.1:
	s_load_dwordx2 s[2:3], s[0:1], 0x20
	v_and_b32_e32 v0, 31, v0
	s_waitcnt lgkmcnt(0)
	v_lshl_add_u64 v[2:3], v[8:9], 3, s[2:3]
	global_load_dwordx4 v[2:5], v[2:3], off
	s_waitcnt vmcnt(0)
	v_sub_co_u32_e32 v4, vcc, v4, v2
	s_nop 1
	v_subb_co_u32_e32 v5, vcc, v5, v3, vcc
	v_cmp_gt_i64_e32 vcc, v[4:5], v[0:1]
	s_and_b64 exec, exec, vcc
	s_cbranch_execz .LBB182_8
; %bb.2:
	s_load_dword s12, s[0:1], 0x0
	s_load_dwordx4 s[8:11], s[0:1], 0x28
	s_load_dword s4, s[0:1], 0x40
	s_load_dwordx2 s[6:7], s[0:1], 0x18
	s_load_dwordx2 s[2:3], s[0:1], 0x38
	s_waitcnt lgkmcnt(0)
	s_ashr_i32 s13, s12, 31
	v_lshl_add_u64 v[6:7], v[8:9], 3, s[10:11]
	v_lshl_add_u64 v[2:3], v[2:3], 0, v[0:1]
	v_subrev_co_u32_e32 v2, vcc, s12, v2
	v_mad_u64_u32 v[10:11], s[0:1], s2, v8, 0
	v_mov_b32_e32 v12, v11
	v_mad_u64_u32 v[8:9], s[0:1], s3, v8, v[12:13]
	v_mov_b32_e32 v11, v8
	v_lshl_add_u64 v[8:9], v[10:11], 3, s[10:11]
	v_mov_b32_e32 v10, s13
	v_subb_co_u32_e32 v3, vcc, v3, v10, vcc
	s_cmp_lg_u32 s4, 1
	v_lshlrev_b64 v[10:11], 3, v[2:3]
	s_cselect_b64 s[4:5], -1, 0
	v_lshl_add_u64 v[2:3], s[8:9], 0, v[10:11]
	v_lshl_add_u64 v[10:11], s[6:7], 0, v[10:11]
	s_mov_b64 s[6:7], 0
	v_mov_b32_e32 v16, s13
	s_mov_b64 s[8:9], 0x100
	s_branch .LBB182_4
.LBB182_3:                              ;   in Loop: Header=BB182_4 Depth=1
	v_lshl_add_u64 v[0:1], v[0:1], 0, 32
	v_cmp_ge_i64_e32 vcc, v[0:1], v[4:5]
	v_lshl_add_u64 v[2:3], v[2:3], 0, s[8:9]
	s_or_b64 s[6:7], vcc, s[6:7]
	v_lshl_add_u64 v[10:11], v[10:11], 0, s[8:9]
	s_andn2_b64 exec, exec, s[6:7]
	s_cbranch_execz .LBB182_8
.LBB182_4:                              ; =>This Inner Loop Header: Depth=1
	global_load_dwordx2 v[14:15], v[2:3], off
	global_load_dwordx2 v[12:13], v[10:11], off
	s_mov_b64 s[10:11], -1
	s_and_b64 vcc, exec, s[4:5]
	s_waitcnt vmcnt(1)
	v_subrev_co_u32_e64 v14, s[0:1], s12, v14
	s_nop 1
	v_subb_co_u32_e64 v15, s[0:1], v15, v16, s[0:1]
	s_cbranch_vccz .LBB182_6
; %bb.5:                                ;   in Loop: Header=BB182_4 Depth=1
	v_mul_lo_u32 v17, v15, s2
	v_mul_lo_u32 v20, v14, s3
	v_mad_u64_u32 v[18:19], s[0:1], v14, s2, 0
	v_add3_u32 v19, v19, v20, v17
	v_lshl_add_u64 v[18:19], v[18:19], 3, v[6:7]
	s_waitcnt vmcnt(0)
	global_store_dwordx2 v[18:19], v[12:13], off
	s_mov_b64 s[10:11], 0
.LBB182_6:                              ;   in Loop: Header=BB182_4 Depth=1
	s_andn2_b64 vcc, exec, s[10:11]
	s_cbranch_vccnz .LBB182_3
; %bb.7:                                ;   in Loop: Header=BB182_4 Depth=1
	v_lshl_add_u64 v[14:15], v[14:15], 3, v[8:9]
	s_waitcnt vmcnt(0)
	global_store_dwordx2 v[14:15], v[12:13], off
	s_branch .LBB182_3
.LBB182_8:
	s_endpgm
	.section	.rodata,"a",@progbits
	.p2align	6, 0x0
	.amdhsa_kernel _ZN9rocsparseL16csc2dense_kernelILi16ELi32ElldEEviT2_S1_PKT3_PKT1_PKS1_PS2_l16rocsparse_order_
		.amdhsa_group_segment_fixed_size 0
		.amdhsa_private_segment_fixed_size 0
		.amdhsa_kernarg_size 68
		.amdhsa_user_sgpr_count 2
		.amdhsa_user_sgpr_dispatch_ptr 0
		.amdhsa_user_sgpr_queue_ptr 0
		.amdhsa_user_sgpr_kernarg_segment_ptr 1
		.amdhsa_user_sgpr_dispatch_id 0
		.amdhsa_user_sgpr_kernarg_preload_length 0
		.amdhsa_user_sgpr_kernarg_preload_offset 0
		.amdhsa_user_sgpr_private_segment_size 0
		.amdhsa_uses_dynamic_stack 0
		.amdhsa_enable_private_segment 0
		.amdhsa_system_sgpr_workgroup_id_x 1
		.amdhsa_system_sgpr_workgroup_id_y 0
		.amdhsa_system_sgpr_workgroup_id_z 0
		.amdhsa_system_sgpr_workgroup_info 0
		.amdhsa_system_vgpr_workitem_id 0
		.amdhsa_next_free_vgpr 21
		.amdhsa_next_free_sgpr 14
		.amdhsa_accum_offset 24
		.amdhsa_reserve_vcc 1
		.amdhsa_float_round_mode_32 0
		.amdhsa_float_round_mode_16_64 0
		.amdhsa_float_denorm_mode_32 3
		.amdhsa_float_denorm_mode_16_64 3
		.amdhsa_dx10_clamp 1
		.amdhsa_ieee_mode 1
		.amdhsa_fp16_overflow 0
		.amdhsa_tg_split 0
		.amdhsa_exception_fp_ieee_invalid_op 0
		.amdhsa_exception_fp_denorm_src 0
		.amdhsa_exception_fp_ieee_div_zero 0
		.amdhsa_exception_fp_ieee_overflow 0
		.amdhsa_exception_fp_ieee_underflow 0
		.amdhsa_exception_fp_ieee_inexact 0
		.amdhsa_exception_int_div_zero 0
	.end_amdhsa_kernel
	.section	.text._ZN9rocsparseL16csc2dense_kernelILi16ELi32ElldEEviT2_S1_PKT3_PKT1_PKS1_PS2_l16rocsparse_order_,"axG",@progbits,_ZN9rocsparseL16csc2dense_kernelILi16ELi32ElldEEviT2_S1_PKT3_PKT1_PKS1_PS2_l16rocsparse_order_,comdat
.Lfunc_end182:
	.size	_ZN9rocsparseL16csc2dense_kernelILi16ELi32ElldEEviT2_S1_PKT3_PKT1_PKS1_PS2_l16rocsparse_order_, .Lfunc_end182-_ZN9rocsparseL16csc2dense_kernelILi16ELi32ElldEEviT2_S1_PKT3_PKT1_PKS1_PS2_l16rocsparse_order_
                                        ; -- End function
	.set _ZN9rocsparseL16csc2dense_kernelILi16ELi32ElldEEviT2_S1_PKT3_PKT1_PKS1_PS2_l16rocsparse_order_.num_vgpr, 21
	.set _ZN9rocsparseL16csc2dense_kernelILi16ELi32ElldEEviT2_S1_PKT3_PKT1_PKS1_PS2_l16rocsparse_order_.num_agpr, 0
	.set _ZN9rocsparseL16csc2dense_kernelILi16ELi32ElldEEviT2_S1_PKT3_PKT1_PKS1_PS2_l16rocsparse_order_.numbered_sgpr, 14
	.set _ZN9rocsparseL16csc2dense_kernelILi16ELi32ElldEEviT2_S1_PKT3_PKT1_PKS1_PS2_l16rocsparse_order_.num_named_barrier, 0
	.set _ZN9rocsparseL16csc2dense_kernelILi16ELi32ElldEEviT2_S1_PKT3_PKT1_PKS1_PS2_l16rocsparse_order_.private_seg_size, 0
	.set _ZN9rocsparseL16csc2dense_kernelILi16ELi32ElldEEviT2_S1_PKT3_PKT1_PKS1_PS2_l16rocsparse_order_.uses_vcc, 1
	.set _ZN9rocsparseL16csc2dense_kernelILi16ELi32ElldEEviT2_S1_PKT3_PKT1_PKS1_PS2_l16rocsparse_order_.uses_flat_scratch, 0
	.set _ZN9rocsparseL16csc2dense_kernelILi16ELi32ElldEEviT2_S1_PKT3_PKT1_PKS1_PS2_l16rocsparse_order_.has_dyn_sized_stack, 0
	.set _ZN9rocsparseL16csc2dense_kernelILi16ELi32ElldEEviT2_S1_PKT3_PKT1_PKS1_PS2_l16rocsparse_order_.has_recursion, 0
	.set _ZN9rocsparseL16csc2dense_kernelILi16ELi32ElldEEviT2_S1_PKT3_PKT1_PKS1_PS2_l16rocsparse_order_.has_indirect_call, 0
	.section	.AMDGPU.csdata,"",@progbits
; Kernel info:
; codeLenInByte = 448
; TotalNumSgprs: 20
; NumVgprs: 21
; NumAgprs: 0
; TotalNumVgprs: 21
; ScratchSize: 0
; MemoryBound: 0
; FloatMode: 240
; IeeeMode: 1
; LDSByteSize: 0 bytes/workgroup (compile time only)
; SGPRBlocks: 2
; VGPRBlocks: 2
; NumSGPRsForWavesPerEU: 20
; NumVGPRsForWavesPerEU: 21
; AccumOffset: 24
; Occupancy: 8
; WaveLimiterHint : 1
; COMPUTE_PGM_RSRC2:SCRATCH_EN: 0
; COMPUTE_PGM_RSRC2:USER_SGPR: 2
; COMPUTE_PGM_RSRC2:TRAP_HANDLER: 0
; COMPUTE_PGM_RSRC2:TGID_X_EN: 1
; COMPUTE_PGM_RSRC2:TGID_Y_EN: 0
; COMPUTE_PGM_RSRC2:TGID_Z_EN: 0
; COMPUTE_PGM_RSRC2:TIDIG_COMP_CNT: 0
; COMPUTE_PGM_RSRC3_GFX90A:ACCUM_OFFSET: 5
; COMPUTE_PGM_RSRC3_GFX90A:TG_SPLIT: 0
	.section	.text._ZN9rocsparseL16csc2dense_kernelILi16ELi64ElldEEviT2_S1_PKT3_PKT1_PKS1_PS2_l16rocsparse_order_,"axG",@progbits,_ZN9rocsparseL16csc2dense_kernelILi16ELi64ElldEEviT2_S1_PKT3_PKT1_PKS1_PS2_l16rocsparse_order_,comdat
	.globl	_ZN9rocsparseL16csc2dense_kernelILi16ELi64ElldEEviT2_S1_PKT3_PKT1_PKS1_PS2_l16rocsparse_order_ ; -- Begin function _ZN9rocsparseL16csc2dense_kernelILi16ELi64ElldEEviT2_S1_PKT3_PKT1_PKS1_PS2_l16rocsparse_order_
	.p2align	8
	.type	_ZN9rocsparseL16csc2dense_kernelILi16ELi64ElldEEviT2_S1_PKT3_PKT1_PKS1_PS2_l16rocsparse_order_,@function
_ZN9rocsparseL16csc2dense_kernelILi16ELi64ElldEEviT2_S1_PKT3_PKT1_PKS1_PS2_l16rocsparse_order_: ; @_ZN9rocsparseL16csc2dense_kernelILi16ELi64ElldEEviT2_S1_PKT3_PKT1_PKS1_PS2_l16rocsparse_order_
; %bb.0:
	s_load_dwordx2 s[4:5], s[0:1], 0x10
	v_lshrrev_b32_e32 v1, 6, v0
	v_lshl_or_b32 v8, s2, 4, v1
	v_mov_b32_e32 v1, 0
	v_mov_b32_e32 v9, v1
	s_waitcnt lgkmcnt(0)
	v_cmp_gt_i64_e32 vcc, s[4:5], v[8:9]
	s_and_saveexec_b64 s[2:3], vcc
	s_cbranch_execz .LBB183_8
; %bb.1:
	s_load_dwordx2 s[2:3], s[0:1], 0x20
	v_and_b32_e32 v0, 63, v0
	s_waitcnt lgkmcnt(0)
	v_lshl_add_u64 v[2:3], v[8:9], 3, s[2:3]
	global_load_dwordx4 v[2:5], v[2:3], off
	s_waitcnt vmcnt(0)
	v_sub_co_u32_e32 v4, vcc, v4, v2
	s_nop 1
	v_subb_co_u32_e32 v5, vcc, v5, v3, vcc
	v_cmp_gt_i64_e32 vcc, v[4:5], v[0:1]
	s_and_b64 exec, exec, vcc
	s_cbranch_execz .LBB183_8
; %bb.2:
	s_load_dword s12, s[0:1], 0x0
	s_load_dwordx4 s[8:11], s[0:1], 0x28
	s_load_dword s4, s[0:1], 0x40
	s_load_dwordx2 s[6:7], s[0:1], 0x18
	s_load_dwordx2 s[2:3], s[0:1], 0x38
	s_waitcnt lgkmcnt(0)
	s_ashr_i32 s13, s12, 31
	v_lshl_add_u64 v[6:7], v[8:9], 3, s[10:11]
	v_lshl_add_u64 v[2:3], v[2:3], 0, v[0:1]
	v_subrev_co_u32_e32 v2, vcc, s12, v2
	v_mad_u64_u32 v[10:11], s[0:1], s2, v8, 0
	v_mov_b32_e32 v12, v11
	v_mad_u64_u32 v[8:9], s[0:1], s3, v8, v[12:13]
	v_mov_b32_e32 v11, v8
	v_lshl_add_u64 v[8:9], v[10:11], 3, s[10:11]
	v_mov_b32_e32 v10, s13
	v_subb_co_u32_e32 v3, vcc, v3, v10, vcc
	s_cmp_lg_u32 s4, 1
	v_lshlrev_b64 v[10:11], 3, v[2:3]
	s_cselect_b64 s[4:5], -1, 0
	v_lshl_add_u64 v[2:3], s[8:9], 0, v[10:11]
	v_lshl_add_u64 v[10:11], s[6:7], 0, v[10:11]
	s_mov_b64 s[6:7], 0
	v_mov_b32_e32 v16, s13
	s_mov_b64 s[8:9], 0x200
	s_branch .LBB183_4
.LBB183_3:                              ;   in Loop: Header=BB183_4 Depth=1
	v_lshl_add_u64 v[0:1], v[0:1], 0, 64
	v_cmp_ge_i64_e32 vcc, v[0:1], v[4:5]
	v_lshl_add_u64 v[2:3], v[2:3], 0, s[8:9]
	s_or_b64 s[6:7], vcc, s[6:7]
	v_lshl_add_u64 v[10:11], v[10:11], 0, s[8:9]
	s_andn2_b64 exec, exec, s[6:7]
	s_cbranch_execz .LBB183_8
.LBB183_4:                              ; =>This Inner Loop Header: Depth=1
	global_load_dwordx2 v[14:15], v[2:3], off
	global_load_dwordx2 v[12:13], v[10:11], off
	s_mov_b64 s[10:11], -1
	s_and_b64 vcc, exec, s[4:5]
	s_waitcnt vmcnt(1)
	v_subrev_co_u32_e64 v14, s[0:1], s12, v14
	s_nop 1
	v_subb_co_u32_e64 v15, s[0:1], v15, v16, s[0:1]
	s_cbranch_vccz .LBB183_6
; %bb.5:                                ;   in Loop: Header=BB183_4 Depth=1
	v_mul_lo_u32 v17, v15, s2
	v_mul_lo_u32 v20, v14, s3
	v_mad_u64_u32 v[18:19], s[0:1], v14, s2, 0
	v_add3_u32 v19, v19, v20, v17
	v_lshl_add_u64 v[18:19], v[18:19], 3, v[6:7]
	s_waitcnt vmcnt(0)
	global_store_dwordx2 v[18:19], v[12:13], off
	s_mov_b64 s[10:11], 0
.LBB183_6:                              ;   in Loop: Header=BB183_4 Depth=1
	s_andn2_b64 vcc, exec, s[10:11]
	s_cbranch_vccnz .LBB183_3
; %bb.7:                                ;   in Loop: Header=BB183_4 Depth=1
	v_lshl_add_u64 v[14:15], v[14:15], 3, v[8:9]
	s_waitcnt vmcnt(0)
	global_store_dwordx2 v[14:15], v[12:13], off
	s_branch .LBB183_3
.LBB183_8:
	s_endpgm
	.section	.rodata,"a",@progbits
	.p2align	6, 0x0
	.amdhsa_kernel _ZN9rocsparseL16csc2dense_kernelILi16ELi64ElldEEviT2_S1_PKT3_PKT1_PKS1_PS2_l16rocsparse_order_
		.amdhsa_group_segment_fixed_size 0
		.amdhsa_private_segment_fixed_size 0
		.amdhsa_kernarg_size 68
		.amdhsa_user_sgpr_count 2
		.amdhsa_user_sgpr_dispatch_ptr 0
		.amdhsa_user_sgpr_queue_ptr 0
		.amdhsa_user_sgpr_kernarg_segment_ptr 1
		.amdhsa_user_sgpr_dispatch_id 0
		.amdhsa_user_sgpr_kernarg_preload_length 0
		.amdhsa_user_sgpr_kernarg_preload_offset 0
		.amdhsa_user_sgpr_private_segment_size 0
		.amdhsa_uses_dynamic_stack 0
		.amdhsa_enable_private_segment 0
		.amdhsa_system_sgpr_workgroup_id_x 1
		.amdhsa_system_sgpr_workgroup_id_y 0
		.amdhsa_system_sgpr_workgroup_id_z 0
		.amdhsa_system_sgpr_workgroup_info 0
		.amdhsa_system_vgpr_workitem_id 0
		.amdhsa_next_free_vgpr 21
		.amdhsa_next_free_sgpr 14
		.amdhsa_accum_offset 24
		.amdhsa_reserve_vcc 1
		.amdhsa_float_round_mode_32 0
		.amdhsa_float_round_mode_16_64 0
		.amdhsa_float_denorm_mode_32 3
		.amdhsa_float_denorm_mode_16_64 3
		.amdhsa_dx10_clamp 1
		.amdhsa_ieee_mode 1
		.amdhsa_fp16_overflow 0
		.amdhsa_tg_split 0
		.amdhsa_exception_fp_ieee_invalid_op 0
		.amdhsa_exception_fp_denorm_src 0
		.amdhsa_exception_fp_ieee_div_zero 0
		.amdhsa_exception_fp_ieee_overflow 0
		.amdhsa_exception_fp_ieee_underflow 0
		.amdhsa_exception_fp_ieee_inexact 0
		.amdhsa_exception_int_div_zero 0
	.end_amdhsa_kernel
	.section	.text._ZN9rocsparseL16csc2dense_kernelILi16ELi64ElldEEviT2_S1_PKT3_PKT1_PKS1_PS2_l16rocsparse_order_,"axG",@progbits,_ZN9rocsparseL16csc2dense_kernelILi16ELi64ElldEEviT2_S1_PKT3_PKT1_PKS1_PS2_l16rocsparse_order_,comdat
.Lfunc_end183:
	.size	_ZN9rocsparseL16csc2dense_kernelILi16ELi64ElldEEviT2_S1_PKT3_PKT1_PKS1_PS2_l16rocsparse_order_, .Lfunc_end183-_ZN9rocsparseL16csc2dense_kernelILi16ELi64ElldEEviT2_S1_PKT3_PKT1_PKS1_PS2_l16rocsparse_order_
                                        ; -- End function
	.set _ZN9rocsparseL16csc2dense_kernelILi16ELi64ElldEEviT2_S1_PKT3_PKT1_PKS1_PS2_l16rocsparse_order_.num_vgpr, 21
	.set _ZN9rocsparseL16csc2dense_kernelILi16ELi64ElldEEviT2_S1_PKT3_PKT1_PKS1_PS2_l16rocsparse_order_.num_agpr, 0
	.set _ZN9rocsparseL16csc2dense_kernelILi16ELi64ElldEEviT2_S1_PKT3_PKT1_PKS1_PS2_l16rocsparse_order_.numbered_sgpr, 14
	.set _ZN9rocsparseL16csc2dense_kernelILi16ELi64ElldEEviT2_S1_PKT3_PKT1_PKS1_PS2_l16rocsparse_order_.num_named_barrier, 0
	.set _ZN9rocsparseL16csc2dense_kernelILi16ELi64ElldEEviT2_S1_PKT3_PKT1_PKS1_PS2_l16rocsparse_order_.private_seg_size, 0
	.set _ZN9rocsparseL16csc2dense_kernelILi16ELi64ElldEEviT2_S1_PKT3_PKT1_PKS1_PS2_l16rocsparse_order_.uses_vcc, 1
	.set _ZN9rocsparseL16csc2dense_kernelILi16ELi64ElldEEviT2_S1_PKT3_PKT1_PKS1_PS2_l16rocsparse_order_.uses_flat_scratch, 0
	.set _ZN9rocsparseL16csc2dense_kernelILi16ELi64ElldEEviT2_S1_PKT3_PKT1_PKS1_PS2_l16rocsparse_order_.has_dyn_sized_stack, 0
	.set _ZN9rocsparseL16csc2dense_kernelILi16ELi64ElldEEviT2_S1_PKT3_PKT1_PKS1_PS2_l16rocsparse_order_.has_recursion, 0
	.set _ZN9rocsparseL16csc2dense_kernelILi16ELi64ElldEEviT2_S1_PKT3_PKT1_PKS1_PS2_l16rocsparse_order_.has_indirect_call, 0
	.section	.AMDGPU.csdata,"",@progbits
; Kernel info:
; codeLenInByte = 448
; TotalNumSgprs: 20
; NumVgprs: 21
; NumAgprs: 0
; TotalNumVgprs: 21
; ScratchSize: 0
; MemoryBound: 0
; FloatMode: 240
; IeeeMode: 1
; LDSByteSize: 0 bytes/workgroup (compile time only)
; SGPRBlocks: 2
; VGPRBlocks: 2
; NumSGPRsForWavesPerEU: 20
; NumVGPRsForWavesPerEU: 21
; AccumOffset: 24
; Occupancy: 8
; WaveLimiterHint : 1
; COMPUTE_PGM_RSRC2:SCRATCH_EN: 0
; COMPUTE_PGM_RSRC2:USER_SGPR: 2
; COMPUTE_PGM_RSRC2:TRAP_HANDLER: 0
; COMPUTE_PGM_RSRC2:TGID_X_EN: 1
; COMPUTE_PGM_RSRC2:TGID_Y_EN: 0
; COMPUTE_PGM_RSRC2:TGID_Z_EN: 0
; COMPUTE_PGM_RSRC2:TIDIG_COMP_CNT: 0
; COMPUTE_PGM_RSRC3_GFX90A:ACCUM_OFFSET: 5
; COMPUTE_PGM_RSRC3_GFX90A:TG_SPLIT: 0
	.section	.text._ZN9rocsparseL23sddmm_csx_sample_kernelILi512ELi64EL20rocsparse_direction_1EdlldEEvT4_S2_T3_PKT5_S2_PS4_PKS3_PKS2_21rocsparse_index_base_,"axG",@progbits,_ZN9rocsparseL23sddmm_csx_sample_kernelILi512ELi64EL20rocsparse_direction_1EdlldEEvT4_S2_T3_PKT5_S2_PS4_PKS3_PKS2_21rocsparse_index_base_,comdat
	.globl	_ZN9rocsparseL23sddmm_csx_sample_kernelILi512ELi64EL20rocsparse_direction_1EdlldEEvT4_S2_T3_PKT5_S2_PS4_PKS3_PKS2_21rocsparse_index_base_ ; -- Begin function _ZN9rocsparseL23sddmm_csx_sample_kernelILi512ELi64EL20rocsparse_direction_1EdlldEEvT4_S2_T3_PKT5_S2_PS4_PKS3_PKS2_21rocsparse_index_base_
	.p2align	8
	.type	_ZN9rocsparseL23sddmm_csx_sample_kernelILi512ELi64EL20rocsparse_direction_1EdlldEEvT4_S2_T3_PKT5_S2_PS4_PKS3_PKS2_21rocsparse_index_base_,@function
_ZN9rocsparseL23sddmm_csx_sample_kernelILi512ELi64EL20rocsparse_direction_1EdlldEEvT4_S2_T3_PKT5_S2_PS4_PKS3_PKS2_21rocsparse_index_base_: ; @_ZN9rocsparseL23sddmm_csx_sample_kernelILi512ELi64EL20rocsparse_direction_1EdlldEEvT4_S2_T3_PKT5_S2_PS4_PKS3_PKS2_21rocsparse_index_base_
; %bb.0:
	s_load_dwordx2 s[4:5], s[0:1], 0x8
	v_lshrrev_b32_e32 v1, 6, v0
	v_lshl_or_b32 v4, s2, 3, v1
	v_mov_b32_e32 v5, 0
	s_waitcnt lgkmcnt(0)
	v_cmp_gt_i64_e32 vcc, s[4:5], v[4:5]
	s_and_saveexec_b64 s[2:3], vcc
	s_cbranch_execz .LBB184_4
; %bb.1:
	s_load_dwordx2 s[2:3], s[0:1], 0x30
	s_load_dword s4, s[0:1], 0x40
	v_add_u32_e32 v2, 1, v4
	v_mov_b32_e32 v3, v5
	v_and_b32_e32 v0, 63, v0
	s_waitcnt lgkmcnt(0)
	v_lshl_add_u64 v[6:7], v[4:5], 3, s[2:3]
	v_lshl_add_u64 v[2:3], v[2:3], 3, s[2:3]
	global_load_dwordx2 v[6:7], v[6:7], off
	v_subrev_co_u32_e32 v0, vcc, s4, v0
	global_load_dwordx2 v[2:3], v[2:3], off
	s_nop 0
	v_subb_co_u32_e64 v1, s[2:3], 0, 0, vcc
	s_waitcnt vmcnt(1)
	v_lshl_add_u64 v[0:1], v[0:1], 0, v[6:7]
	s_waitcnt vmcnt(0)
	v_subrev_co_u32_e32 v2, vcc, s4, v2
	s_nop 1
	v_subbrev_co_u32_e32 v3, vcc, 0, v3, vcc
	v_cmp_lt_i64_e32 vcc, v[0:1], v[2:3]
	s_and_b64 exec, exec, vcc
	s_cbranch_execz .LBB184_4
; %bb.2:
	s_load_dwordx4 s[8:11], s[0:1], 0x18
	s_load_dwordx2 s[2:3], s[0:1], 0x28
	s_load_dwordx2 s[6:7], s[0:1], 0x38
	s_waitcnt lgkmcnt(0)
	v_mad_u64_u32 v[6:7], s[0:1], s10, v4, 0
	v_mov_b32_e32 v8, v7
	v_mad_u64_u32 v[4:5], s[0:1], s11, v4, v[8:9]
	v_mov_b32_e32 v7, v4
	v_lshlrev_b64 v[8:9], 3, v[0:1]
	v_lshl_add_u64 v[4:5], v[6:7], 3, s[8:9]
	v_lshl_add_u64 v[6:7], s[2:3], 0, v[8:9]
	v_lshl_add_u64 v[8:9], s[6:7], 0, v[8:9]
	s_mov_b64 s[0:1], 0
	s_mov_b64 s[2:3], 0x200
.LBB184_3:                              ; =>This Inner Loop Header: Depth=1
	global_load_dwordx2 v[10:11], v[8:9], off
	v_lshl_add_u64 v[0:1], v[0:1], 0, 64
	v_lshl_add_u64 v[8:9], v[8:9], 0, s[2:3]
	s_waitcnt vmcnt(0)
	v_subrev_co_u32_e32 v10, vcc, s4, v10
	s_nop 1
	v_subbrev_co_u32_e32 v11, vcc, 0, v11, vcc
	v_lshl_add_u64 v[10:11], v[10:11], 3, v[4:5]
	global_load_dwordx2 v[10:11], v[10:11], off
	v_cmp_ge_i64_e32 vcc, v[0:1], v[2:3]
	s_or_b64 s[0:1], vcc, s[0:1]
	s_waitcnt vmcnt(0)
	global_store_dwordx2 v[6:7], v[10:11], off
	v_lshl_add_u64 v[6:7], v[6:7], 0, s[2:3]
	s_andn2_b64 exec, exec, s[0:1]
	s_cbranch_execnz .LBB184_3
.LBB184_4:
	s_endpgm
	.section	.rodata,"a",@progbits
	.p2align	6, 0x0
	.amdhsa_kernel _ZN9rocsparseL23sddmm_csx_sample_kernelILi512ELi64EL20rocsparse_direction_1EdlldEEvT4_S2_T3_PKT5_S2_PS4_PKS3_PKS2_21rocsparse_index_base_
		.amdhsa_group_segment_fixed_size 0
		.amdhsa_private_segment_fixed_size 0
		.amdhsa_kernarg_size 68
		.amdhsa_user_sgpr_count 2
		.amdhsa_user_sgpr_dispatch_ptr 0
		.amdhsa_user_sgpr_queue_ptr 0
		.amdhsa_user_sgpr_kernarg_segment_ptr 1
		.amdhsa_user_sgpr_dispatch_id 0
		.amdhsa_user_sgpr_kernarg_preload_length 0
		.amdhsa_user_sgpr_kernarg_preload_offset 0
		.amdhsa_user_sgpr_private_segment_size 0
		.amdhsa_uses_dynamic_stack 0
		.amdhsa_enable_private_segment 0
		.amdhsa_system_sgpr_workgroup_id_x 1
		.amdhsa_system_sgpr_workgroup_id_y 0
		.amdhsa_system_sgpr_workgroup_id_z 0
		.amdhsa_system_sgpr_workgroup_info 0
		.amdhsa_system_vgpr_workitem_id 0
		.amdhsa_next_free_vgpr 12
		.amdhsa_next_free_sgpr 12
		.amdhsa_accum_offset 12
		.amdhsa_reserve_vcc 1
		.amdhsa_float_round_mode_32 0
		.amdhsa_float_round_mode_16_64 0
		.amdhsa_float_denorm_mode_32 3
		.amdhsa_float_denorm_mode_16_64 3
		.amdhsa_dx10_clamp 1
		.amdhsa_ieee_mode 1
		.amdhsa_fp16_overflow 0
		.amdhsa_tg_split 0
		.amdhsa_exception_fp_ieee_invalid_op 0
		.amdhsa_exception_fp_denorm_src 0
		.amdhsa_exception_fp_ieee_div_zero 0
		.amdhsa_exception_fp_ieee_overflow 0
		.amdhsa_exception_fp_ieee_underflow 0
		.amdhsa_exception_fp_ieee_inexact 0
		.amdhsa_exception_int_div_zero 0
	.end_amdhsa_kernel
	.section	.text._ZN9rocsparseL23sddmm_csx_sample_kernelILi512ELi64EL20rocsparse_direction_1EdlldEEvT4_S2_T3_PKT5_S2_PS4_PKS3_PKS2_21rocsparse_index_base_,"axG",@progbits,_ZN9rocsparseL23sddmm_csx_sample_kernelILi512ELi64EL20rocsparse_direction_1EdlldEEvT4_S2_T3_PKT5_S2_PS4_PKS3_PKS2_21rocsparse_index_base_,comdat
.Lfunc_end184:
	.size	_ZN9rocsparseL23sddmm_csx_sample_kernelILi512ELi64EL20rocsparse_direction_1EdlldEEvT4_S2_T3_PKT5_S2_PS4_PKS3_PKS2_21rocsparse_index_base_, .Lfunc_end184-_ZN9rocsparseL23sddmm_csx_sample_kernelILi512ELi64EL20rocsparse_direction_1EdlldEEvT4_S2_T3_PKT5_S2_PS4_PKS3_PKS2_21rocsparse_index_base_
                                        ; -- End function
	.set _ZN9rocsparseL23sddmm_csx_sample_kernelILi512ELi64EL20rocsparse_direction_1EdlldEEvT4_S2_T3_PKT5_S2_PS4_PKS3_PKS2_21rocsparse_index_base_.num_vgpr, 12
	.set _ZN9rocsparseL23sddmm_csx_sample_kernelILi512ELi64EL20rocsparse_direction_1EdlldEEvT4_S2_T3_PKT5_S2_PS4_PKS3_PKS2_21rocsparse_index_base_.num_agpr, 0
	.set _ZN9rocsparseL23sddmm_csx_sample_kernelILi512ELi64EL20rocsparse_direction_1EdlldEEvT4_S2_T3_PKT5_S2_PS4_PKS3_PKS2_21rocsparse_index_base_.numbered_sgpr, 12
	.set _ZN9rocsparseL23sddmm_csx_sample_kernelILi512ELi64EL20rocsparse_direction_1EdlldEEvT4_S2_T3_PKT5_S2_PS4_PKS3_PKS2_21rocsparse_index_base_.num_named_barrier, 0
	.set _ZN9rocsparseL23sddmm_csx_sample_kernelILi512ELi64EL20rocsparse_direction_1EdlldEEvT4_S2_T3_PKT5_S2_PS4_PKS3_PKS2_21rocsparse_index_base_.private_seg_size, 0
	.set _ZN9rocsparseL23sddmm_csx_sample_kernelILi512ELi64EL20rocsparse_direction_1EdlldEEvT4_S2_T3_PKT5_S2_PS4_PKS3_PKS2_21rocsparse_index_base_.uses_vcc, 1
	.set _ZN9rocsparseL23sddmm_csx_sample_kernelILi512ELi64EL20rocsparse_direction_1EdlldEEvT4_S2_T3_PKT5_S2_PS4_PKS3_PKS2_21rocsparse_index_base_.uses_flat_scratch, 0
	.set _ZN9rocsparseL23sddmm_csx_sample_kernelILi512ELi64EL20rocsparse_direction_1EdlldEEvT4_S2_T3_PKT5_S2_PS4_PKS3_PKS2_21rocsparse_index_base_.has_dyn_sized_stack, 0
	.set _ZN9rocsparseL23sddmm_csx_sample_kernelILi512ELi64EL20rocsparse_direction_1EdlldEEvT4_S2_T3_PKT5_S2_PS4_PKS3_PKS2_21rocsparse_index_base_.has_recursion, 0
	.set _ZN9rocsparseL23sddmm_csx_sample_kernelILi512ELi64EL20rocsparse_direction_1EdlldEEvT4_S2_T3_PKT5_S2_PS4_PKS3_PKS2_21rocsparse_index_base_.has_indirect_call, 0
	.section	.AMDGPU.csdata,"",@progbits
; Kernel info:
; codeLenInByte = 352
; TotalNumSgprs: 18
; NumVgprs: 12
; NumAgprs: 0
; TotalNumVgprs: 12
; ScratchSize: 0
; MemoryBound: 0
; FloatMode: 240
; IeeeMode: 1
; LDSByteSize: 0 bytes/workgroup (compile time only)
; SGPRBlocks: 2
; VGPRBlocks: 1
; NumSGPRsForWavesPerEU: 18
; NumVGPRsForWavesPerEU: 12
; AccumOffset: 12
; Occupancy: 8
; WaveLimiterHint : 1
; COMPUTE_PGM_RSRC2:SCRATCH_EN: 0
; COMPUTE_PGM_RSRC2:USER_SGPR: 2
; COMPUTE_PGM_RSRC2:TRAP_HANDLER: 0
; COMPUTE_PGM_RSRC2:TGID_X_EN: 1
; COMPUTE_PGM_RSRC2:TGID_Y_EN: 0
; COMPUTE_PGM_RSRC2:TGID_Z_EN: 0
; COMPUTE_PGM_RSRC2:TIDIG_COMP_CNT: 0
; COMPUTE_PGM_RSRC3_GFX90A:ACCUM_OFFSET: 2
; COMPUTE_PGM_RSRC3_GFX90A:TG_SPLIT: 0
	.section	.text._ZN9rocsparseL23sddmm_csx_sample_kernelILi512ELi32EL20rocsparse_direction_1EdlldEEvT4_S2_T3_PKT5_S2_PS4_PKS3_PKS2_21rocsparse_index_base_,"axG",@progbits,_ZN9rocsparseL23sddmm_csx_sample_kernelILi512ELi32EL20rocsparse_direction_1EdlldEEvT4_S2_T3_PKT5_S2_PS4_PKS3_PKS2_21rocsparse_index_base_,comdat
	.globl	_ZN9rocsparseL23sddmm_csx_sample_kernelILi512ELi32EL20rocsparse_direction_1EdlldEEvT4_S2_T3_PKT5_S2_PS4_PKS3_PKS2_21rocsparse_index_base_ ; -- Begin function _ZN9rocsparseL23sddmm_csx_sample_kernelILi512ELi32EL20rocsparse_direction_1EdlldEEvT4_S2_T3_PKT5_S2_PS4_PKS3_PKS2_21rocsparse_index_base_
	.p2align	8
	.type	_ZN9rocsparseL23sddmm_csx_sample_kernelILi512ELi32EL20rocsparse_direction_1EdlldEEvT4_S2_T3_PKT5_S2_PS4_PKS3_PKS2_21rocsparse_index_base_,@function
_ZN9rocsparseL23sddmm_csx_sample_kernelILi512ELi32EL20rocsparse_direction_1EdlldEEvT4_S2_T3_PKT5_S2_PS4_PKS3_PKS2_21rocsparse_index_base_: ; @_ZN9rocsparseL23sddmm_csx_sample_kernelILi512ELi32EL20rocsparse_direction_1EdlldEEvT4_S2_T3_PKT5_S2_PS4_PKS3_PKS2_21rocsparse_index_base_
; %bb.0:
	s_load_dwordx2 s[4:5], s[0:1], 0x8
	v_lshrrev_b32_e32 v1, 5, v0
	v_lshl_or_b32 v4, s2, 4, v1
	v_mov_b32_e32 v5, 0
	s_waitcnt lgkmcnt(0)
	v_cmp_gt_i64_e32 vcc, s[4:5], v[4:5]
	s_and_saveexec_b64 s[2:3], vcc
	s_cbranch_execz .LBB185_4
; %bb.1:
	s_load_dwordx2 s[2:3], s[0:1], 0x30
	s_load_dword s4, s[0:1], 0x40
	v_add_u32_e32 v2, 1, v4
	v_mov_b32_e32 v3, v5
	v_and_b32_e32 v0, 31, v0
	s_waitcnt lgkmcnt(0)
	v_lshl_add_u64 v[6:7], v[4:5], 3, s[2:3]
	v_lshl_add_u64 v[2:3], v[2:3], 3, s[2:3]
	global_load_dwordx2 v[6:7], v[6:7], off
	v_subrev_co_u32_e32 v0, vcc, s4, v0
	global_load_dwordx2 v[2:3], v[2:3], off
	s_nop 0
	v_subb_co_u32_e64 v1, s[2:3], 0, 0, vcc
	s_waitcnt vmcnt(1)
	v_lshl_add_u64 v[0:1], v[0:1], 0, v[6:7]
	s_waitcnt vmcnt(0)
	v_subrev_co_u32_e32 v2, vcc, s4, v2
	s_nop 1
	v_subbrev_co_u32_e32 v3, vcc, 0, v3, vcc
	v_cmp_lt_i64_e32 vcc, v[0:1], v[2:3]
	s_and_b64 exec, exec, vcc
	s_cbranch_execz .LBB185_4
; %bb.2:
	s_load_dwordx4 s[8:11], s[0:1], 0x18
	s_load_dwordx2 s[2:3], s[0:1], 0x28
	s_load_dwordx2 s[6:7], s[0:1], 0x38
	s_waitcnt lgkmcnt(0)
	v_mad_u64_u32 v[6:7], s[0:1], s10, v4, 0
	v_mov_b32_e32 v8, v7
	v_mad_u64_u32 v[4:5], s[0:1], s11, v4, v[8:9]
	v_mov_b32_e32 v7, v4
	v_lshlrev_b64 v[8:9], 3, v[0:1]
	v_lshl_add_u64 v[4:5], v[6:7], 3, s[8:9]
	v_lshl_add_u64 v[6:7], s[2:3], 0, v[8:9]
	;; [unrolled: 1-line block ×3, first 2 shown]
	s_mov_b64 s[0:1], 0
	s_mov_b64 s[2:3], 0x100
.LBB185_3:                              ; =>This Inner Loop Header: Depth=1
	global_load_dwordx2 v[10:11], v[8:9], off
	v_lshl_add_u64 v[0:1], v[0:1], 0, 32
	v_lshl_add_u64 v[8:9], v[8:9], 0, s[2:3]
	s_waitcnt vmcnt(0)
	v_subrev_co_u32_e32 v10, vcc, s4, v10
	s_nop 1
	v_subbrev_co_u32_e32 v11, vcc, 0, v11, vcc
	v_lshl_add_u64 v[10:11], v[10:11], 3, v[4:5]
	global_load_dwordx2 v[10:11], v[10:11], off
	v_cmp_ge_i64_e32 vcc, v[0:1], v[2:3]
	s_or_b64 s[0:1], vcc, s[0:1]
	s_waitcnt vmcnt(0)
	global_store_dwordx2 v[6:7], v[10:11], off
	v_lshl_add_u64 v[6:7], v[6:7], 0, s[2:3]
	s_andn2_b64 exec, exec, s[0:1]
	s_cbranch_execnz .LBB185_3
.LBB185_4:
	s_endpgm
	.section	.rodata,"a",@progbits
	.p2align	6, 0x0
	.amdhsa_kernel _ZN9rocsparseL23sddmm_csx_sample_kernelILi512ELi32EL20rocsparse_direction_1EdlldEEvT4_S2_T3_PKT5_S2_PS4_PKS3_PKS2_21rocsparse_index_base_
		.amdhsa_group_segment_fixed_size 0
		.amdhsa_private_segment_fixed_size 0
		.amdhsa_kernarg_size 68
		.amdhsa_user_sgpr_count 2
		.amdhsa_user_sgpr_dispatch_ptr 0
		.amdhsa_user_sgpr_queue_ptr 0
		.amdhsa_user_sgpr_kernarg_segment_ptr 1
		.amdhsa_user_sgpr_dispatch_id 0
		.amdhsa_user_sgpr_kernarg_preload_length 0
		.amdhsa_user_sgpr_kernarg_preload_offset 0
		.amdhsa_user_sgpr_private_segment_size 0
		.amdhsa_uses_dynamic_stack 0
		.amdhsa_enable_private_segment 0
		.amdhsa_system_sgpr_workgroup_id_x 1
		.amdhsa_system_sgpr_workgroup_id_y 0
		.amdhsa_system_sgpr_workgroup_id_z 0
		.amdhsa_system_sgpr_workgroup_info 0
		.amdhsa_system_vgpr_workitem_id 0
		.amdhsa_next_free_vgpr 12
		.amdhsa_next_free_sgpr 12
		.amdhsa_accum_offset 12
		.amdhsa_reserve_vcc 1
		.amdhsa_float_round_mode_32 0
		.amdhsa_float_round_mode_16_64 0
		.amdhsa_float_denorm_mode_32 3
		.amdhsa_float_denorm_mode_16_64 3
		.amdhsa_dx10_clamp 1
		.amdhsa_ieee_mode 1
		.amdhsa_fp16_overflow 0
		.amdhsa_tg_split 0
		.amdhsa_exception_fp_ieee_invalid_op 0
		.amdhsa_exception_fp_denorm_src 0
		.amdhsa_exception_fp_ieee_div_zero 0
		.amdhsa_exception_fp_ieee_overflow 0
		.amdhsa_exception_fp_ieee_underflow 0
		.amdhsa_exception_fp_ieee_inexact 0
		.amdhsa_exception_int_div_zero 0
	.end_amdhsa_kernel
	.section	.text._ZN9rocsparseL23sddmm_csx_sample_kernelILi512ELi32EL20rocsparse_direction_1EdlldEEvT4_S2_T3_PKT5_S2_PS4_PKS3_PKS2_21rocsparse_index_base_,"axG",@progbits,_ZN9rocsparseL23sddmm_csx_sample_kernelILi512ELi32EL20rocsparse_direction_1EdlldEEvT4_S2_T3_PKT5_S2_PS4_PKS3_PKS2_21rocsparse_index_base_,comdat
.Lfunc_end185:
	.size	_ZN9rocsparseL23sddmm_csx_sample_kernelILi512ELi32EL20rocsparse_direction_1EdlldEEvT4_S2_T3_PKT5_S2_PS4_PKS3_PKS2_21rocsparse_index_base_, .Lfunc_end185-_ZN9rocsparseL23sddmm_csx_sample_kernelILi512ELi32EL20rocsparse_direction_1EdlldEEvT4_S2_T3_PKT5_S2_PS4_PKS3_PKS2_21rocsparse_index_base_
                                        ; -- End function
	.set _ZN9rocsparseL23sddmm_csx_sample_kernelILi512ELi32EL20rocsparse_direction_1EdlldEEvT4_S2_T3_PKT5_S2_PS4_PKS3_PKS2_21rocsparse_index_base_.num_vgpr, 12
	.set _ZN9rocsparseL23sddmm_csx_sample_kernelILi512ELi32EL20rocsparse_direction_1EdlldEEvT4_S2_T3_PKT5_S2_PS4_PKS3_PKS2_21rocsparse_index_base_.num_agpr, 0
	.set _ZN9rocsparseL23sddmm_csx_sample_kernelILi512ELi32EL20rocsparse_direction_1EdlldEEvT4_S2_T3_PKT5_S2_PS4_PKS3_PKS2_21rocsparse_index_base_.numbered_sgpr, 12
	.set _ZN9rocsparseL23sddmm_csx_sample_kernelILi512ELi32EL20rocsparse_direction_1EdlldEEvT4_S2_T3_PKT5_S2_PS4_PKS3_PKS2_21rocsparse_index_base_.num_named_barrier, 0
	.set _ZN9rocsparseL23sddmm_csx_sample_kernelILi512ELi32EL20rocsparse_direction_1EdlldEEvT4_S2_T3_PKT5_S2_PS4_PKS3_PKS2_21rocsparse_index_base_.private_seg_size, 0
	.set _ZN9rocsparseL23sddmm_csx_sample_kernelILi512ELi32EL20rocsparse_direction_1EdlldEEvT4_S2_T3_PKT5_S2_PS4_PKS3_PKS2_21rocsparse_index_base_.uses_vcc, 1
	.set _ZN9rocsparseL23sddmm_csx_sample_kernelILi512ELi32EL20rocsparse_direction_1EdlldEEvT4_S2_T3_PKT5_S2_PS4_PKS3_PKS2_21rocsparse_index_base_.uses_flat_scratch, 0
	.set _ZN9rocsparseL23sddmm_csx_sample_kernelILi512ELi32EL20rocsparse_direction_1EdlldEEvT4_S2_T3_PKT5_S2_PS4_PKS3_PKS2_21rocsparse_index_base_.has_dyn_sized_stack, 0
	.set _ZN9rocsparseL23sddmm_csx_sample_kernelILi512ELi32EL20rocsparse_direction_1EdlldEEvT4_S2_T3_PKT5_S2_PS4_PKS3_PKS2_21rocsparse_index_base_.has_recursion, 0
	.set _ZN9rocsparseL23sddmm_csx_sample_kernelILi512ELi32EL20rocsparse_direction_1EdlldEEvT4_S2_T3_PKT5_S2_PS4_PKS3_PKS2_21rocsparse_index_base_.has_indirect_call, 0
	.section	.AMDGPU.csdata,"",@progbits
; Kernel info:
; codeLenInByte = 352
; TotalNumSgprs: 18
; NumVgprs: 12
; NumAgprs: 0
; TotalNumVgprs: 12
; ScratchSize: 0
; MemoryBound: 0
; FloatMode: 240
; IeeeMode: 1
; LDSByteSize: 0 bytes/workgroup (compile time only)
; SGPRBlocks: 2
; VGPRBlocks: 1
; NumSGPRsForWavesPerEU: 18
; NumVGPRsForWavesPerEU: 12
; AccumOffset: 12
; Occupancy: 8
; WaveLimiterHint : 1
; COMPUTE_PGM_RSRC2:SCRATCH_EN: 0
; COMPUTE_PGM_RSRC2:USER_SGPR: 2
; COMPUTE_PGM_RSRC2:TRAP_HANDLER: 0
; COMPUTE_PGM_RSRC2:TGID_X_EN: 1
; COMPUTE_PGM_RSRC2:TGID_Y_EN: 0
; COMPUTE_PGM_RSRC2:TGID_Z_EN: 0
; COMPUTE_PGM_RSRC2:TIDIG_COMP_CNT: 0
; COMPUTE_PGM_RSRC3_GFX90A:ACCUM_OFFSET: 2
; COMPUTE_PGM_RSRC3_GFX90A:TG_SPLIT: 0
	.section	.text._ZN9rocsparseL23sddmm_csx_sample_kernelILi512ELi16EL20rocsparse_direction_1EdlldEEvT4_S2_T3_PKT5_S2_PS4_PKS3_PKS2_21rocsparse_index_base_,"axG",@progbits,_ZN9rocsparseL23sddmm_csx_sample_kernelILi512ELi16EL20rocsparse_direction_1EdlldEEvT4_S2_T3_PKT5_S2_PS4_PKS3_PKS2_21rocsparse_index_base_,comdat
	.globl	_ZN9rocsparseL23sddmm_csx_sample_kernelILi512ELi16EL20rocsparse_direction_1EdlldEEvT4_S2_T3_PKT5_S2_PS4_PKS3_PKS2_21rocsparse_index_base_ ; -- Begin function _ZN9rocsparseL23sddmm_csx_sample_kernelILi512ELi16EL20rocsparse_direction_1EdlldEEvT4_S2_T3_PKT5_S2_PS4_PKS3_PKS2_21rocsparse_index_base_
	.p2align	8
	.type	_ZN9rocsparseL23sddmm_csx_sample_kernelILi512ELi16EL20rocsparse_direction_1EdlldEEvT4_S2_T3_PKT5_S2_PS4_PKS3_PKS2_21rocsparse_index_base_,@function
_ZN9rocsparseL23sddmm_csx_sample_kernelILi512ELi16EL20rocsparse_direction_1EdlldEEvT4_S2_T3_PKT5_S2_PS4_PKS3_PKS2_21rocsparse_index_base_: ; @_ZN9rocsparseL23sddmm_csx_sample_kernelILi512ELi16EL20rocsparse_direction_1EdlldEEvT4_S2_T3_PKT5_S2_PS4_PKS3_PKS2_21rocsparse_index_base_
; %bb.0:
	s_load_dwordx2 s[4:5], s[0:1], 0x8
	v_lshrrev_b32_e32 v1, 4, v0
	v_lshl_or_b32 v4, s2, 5, v1
	v_mov_b32_e32 v5, 0
	s_waitcnt lgkmcnt(0)
	v_cmp_gt_i64_e32 vcc, s[4:5], v[4:5]
	s_and_saveexec_b64 s[2:3], vcc
	s_cbranch_execz .LBB186_4
; %bb.1:
	s_load_dwordx2 s[2:3], s[0:1], 0x30
	s_load_dword s4, s[0:1], 0x40
	v_add_u32_e32 v2, 1, v4
	v_mov_b32_e32 v3, v5
	v_and_b32_e32 v0, 15, v0
	s_waitcnt lgkmcnt(0)
	v_lshl_add_u64 v[6:7], v[4:5], 3, s[2:3]
	v_lshl_add_u64 v[2:3], v[2:3], 3, s[2:3]
	global_load_dwordx2 v[6:7], v[6:7], off
	v_subrev_co_u32_e32 v0, vcc, s4, v0
	global_load_dwordx2 v[2:3], v[2:3], off
	s_nop 0
	v_subb_co_u32_e64 v1, s[2:3], 0, 0, vcc
	s_waitcnt vmcnt(1)
	v_lshl_add_u64 v[0:1], v[0:1], 0, v[6:7]
	s_waitcnt vmcnt(0)
	v_subrev_co_u32_e32 v2, vcc, s4, v2
	s_nop 1
	v_subbrev_co_u32_e32 v3, vcc, 0, v3, vcc
	v_cmp_lt_i64_e32 vcc, v[0:1], v[2:3]
	s_and_b64 exec, exec, vcc
	s_cbranch_execz .LBB186_4
; %bb.2:
	s_load_dwordx4 s[8:11], s[0:1], 0x18
	s_load_dwordx2 s[2:3], s[0:1], 0x28
	s_load_dwordx2 s[6:7], s[0:1], 0x38
	s_waitcnt lgkmcnt(0)
	v_mad_u64_u32 v[6:7], s[0:1], s10, v4, 0
	v_mov_b32_e32 v8, v7
	v_mad_u64_u32 v[4:5], s[0:1], s11, v4, v[8:9]
	v_mov_b32_e32 v7, v4
	v_lshlrev_b64 v[8:9], 3, v[0:1]
	v_lshl_add_u64 v[4:5], v[6:7], 3, s[8:9]
	v_lshl_add_u64 v[6:7], s[2:3], 0, v[8:9]
	;; [unrolled: 1-line block ×3, first 2 shown]
	s_mov_b64 s[0:1], 0
	s_mov_b64 s[2:3], 0x80
.LBB186_3:                              ; =>This Inner Loop Header: Depth=1
	global_load_dwordx2 v[10:11], v[8:9], off
	v_lshl_add_u64 v[0:1], v[0:1], 0, 16
	v_lshl_add_u64 v[8:9], v[8:9], 0, s[2:3]
	s_waitcnt vmcnt(0)
	v_subrev_co_u32_e32 v10, vcc, s4, v10
	s_nop 1
	v_subbrev_co_u32_e32 v11, vcc, 0, v11, vcc
	v_lshl_add_u64 v[10:11], v[10:11], 3, v[4:5]
	global_load_dwordx2 v[10:11], v[10:11], off
	v_cmp_ge_i64_e32 vcc, v[0:1], v[2:3]
	s_or_b64 s[0:1], vcc, s[0:1]
	s_waitcnt vmcnt(0)
	global_store_dwordx2 v[6:7], v[10:11], off
	v_lshl_add_u64 v[6:7], v[6:7], 0, s[2:3]
	s_andn2_b64 exec, exec, s[0:1]
	s_cbranch_execnz .LBB186_3
.LBB186_4:
	s_endpgm
	.section	.rodata,"a",@progbits
	.p2align	6, 0x0
	.amdhsa_kernel _ZN9rocsparseL23sddmm_csx_sample_kernelILi512ELi16EL20rocsparse_direction_1EdlldEEvT4_S2_T3_PKT5_S2_PS4_PKS3_PKS2_21rocsparse_index_base_
		.amdhsa_group_segment_fixed_size 0
		.amdhsa_private_segment_fixed_size 0
		.amdhsa_kernarg_size 68
		.amdhsa_user_sgpr_count 2
		.amdhsa_user_sgpr_dispatch_ptr 0
		.amdhsa_user_sgpr_queue_ptr 0
		.amdhsa_user_sgpr_kernarg_segment_ptr 1
		.amdhsa_user_sgpr_dispatch_id 0
		.amdhsa_user_sgpr_kernarg_preload_length 0
		.amdhsa_user_sgpr_kernarg_preload_offset 0
		.amdhsa_user_sgpr_private_segment_size 0
		.amdhsa_uses_dynamic_stack 0
		.amdhsa_enable_private_segment 0
		.amdhsa_system_sgpr_workgroup_id_x 1
		.amdhsa_system_sgpr_workgroup_id_y 0
		.amdhsa_system_sgpr_workgroup_id_z 0
		.amdhsa_system_sgpr_workgroup_info 0
		.amdhsa_system_vgpr_workitem_id 0
		.amdhsa_next_free_vgpr 12
		.amdhsa_next_free_sgpr 12
		.amdhsa_accum_offset 12
		.amdhsa_reserve_vcc 1
		.amdhsa_float_round_mode_32 0
		.amdhsa_float_round_mode_16_64 0
		.amdhsa_float_denorm_mode_32 3
		.amdhsa_float_denorm_mode_16_64 3
		.amdhsa_dx10_clamp 1
		.amdhsa_ieee_mode 1
		.amdhsa_fp16_overflow 0
		.amdhsa_tg_split 0
		.amdhsa_exception_fp_ieee_invalid_op 0
		.amdhsa_exception_fp_denorm_src 0
		.amdhsa_exception_fp_ieee_div_zero 0
		.amdhsa_exception_fp_ieee_overflow 0
		.amdhsa_exception_fp_ieee_underflow 0
		.amdhsa_exception_fp_ieee_inexact 0
		.amdhsa_exception_int_div_zero 0
	.end_amdhsa_kernel
	.section	.text._ZN9rocsparseL23sddmm_csx_sample_kernelILi512ELi16EL20rocsparse_direction_1EdlldEEvT4_S2_T3_PKT5_S2_PS4_PKS3_PKS2_21rocsparse_index_base_,"axG",@progbits,_ZN9rocsparseL23sddmm_csx_sample_kernelILi512ELi16EL20rocsparse_direction_1EdlldEEvT4_S2_T3_PKT5_S2_PS4_PKS3_PKS2_21rocsparse_index_base_,comdat
.Lfunc_end186:
	.size	_ZN9rocsparseL23sddmm_csx_sample_kernelILi512ELi16EL20rocsparse_direction_1EdlldEEvT4_S2_T3_PKT5_S2_PS4_PKS3_PKS2_21rocsparse_index_base_, .Lfunc_end186-_ZN9rocsparseL23sddmm_csx_sample_kernelILi512ELi16EL20rocsparse_direction_1EdlldEEvT4_S2_T3_PKT5_S2_PS4_PKS3_PKS2_21rocsparse_index_base_
                                        ; -- End function
	.set _ZN9rocsparseL23sddmm_csx_sample_kernelILi512ELi16EL20rocsparse_direction_1EdlldEEvT4_S2_T3_PKT5_S2_PS4_PKS3_PKS2_21rocsparse_index_base_.num_vgpr, 12
	.set _ZN9rocsparseL23sddmm_csx_sample_kernelILi512ELi16EL20rocsparse_direction_1EdlldEEvT4_S2_T3_PKT5_S2_PS4_PKS3_PKS2_21rocsparse_index_base_.num_agpr, 0
	.set _ZN9rocsparseL23sddmm_csx_sample_kernelILi512ELi16EL20rocsparse_direction_1EdlldEEvT4_S2_T3_PKT5_S2_PS4_PKS3_PKS2_21rocsparse_index_base_.numbered_sgpr, 12
	.set _ZN9rocsparseL23sddmm_csx_sample_kernelILi512ELi16EL20rocsparse_direction_1EdlldEEvT4_S2_T3_PKT5_S2_PS4_PKS3_PKS2_21rocsparse_index_base_.num_named_barrier, 0
	.set _ZN9rocsparseL23sddmm_csx_sample_kernelILi512ELi16EL20rocsparse_direction_1EdlldEEvT4_S2_T3_PKT5_S2_PS4_PKS3_PKS2_21rocsparse_index_base_.private_seg_size, 0
	.set _ZN9rocsparseL23sddmm_csx_sample_kernelILi512ELi16EL20rocsparse_direction_1EdlldEEvT4_S2_T3_PKT5_S2_PS4_PKS3_PKS2_21rocsparse_index_base_.uses_vcc, 1
	.set _ZN9rocsparseL23sddmm_csx_sample_kernelILi512ELi16EL20rocsparse_direction_1EdlldEEvT4_S2_T3_PKT5_S2_PS4_PKS3_PKS2_21rocsparse_index_base_.uses_flat_scratch, 0
	.set _ZN9rocsparseL23sddmm_csx_sample_kernelILi512ELi16EL20rocsparse_direction_1EdlldEEvT4_S2_T3_PKT5_S2_PS4_PKS3_PKS2_21rocsparse_index_base_.has_dyn_sized_stack, 0
	.set _ZN9rocsparseL23sddmm_csx_sample_kernelILi512ELi16EL20rocsparse_direction_1EdlldEEvT4_S2_T3_PKT5_S2_PS4_PKS3_PKS2_21rocsparse_index_base_.has_recursion, 0
	.set _ZN9rocsparseL23sddmm_csx_sample_kernelILi512ELi16EL20rocsparse_direction_1EdlldEEvT4_S2_T3_PKT5_S2_PS4_PKS3_PKS2_21rocsparse_index_base_.has_indirect_call, 0
	.section	.AMDGPU.csdata,"",@progbits
; Kernel info:
; codeLenInByte = 352
; TotalNumSgprs: 18
; NumVgprs: 12
; NumAgprs: 0
; TotalNumVgprs: 12
; ScratchSize: 0
; MemoryBound: 0
; FloatMode: 240
; IeeeMode: 1
; LDSByteSize: 0 bytes/workgroup (compile time only)
; SGPRBlocks: 2
; VGPRBlocks: 1
; NumSGPRsForWavesPerEU: 18
; NumVGPRsForWavesPerEU: 12
; AccumOffset: 12
; Occupancy: 8
; WaveLimiterHint : 1
; COMPUTE_PGM_RSRC2:SCRATCH_EN: 0
; COMPUTE_PGM_RSRC2:USER_SGPR: 2
; COMPUTE_PGM_RSRC2:TRAP_HANDLER: 0
; COMPUTE_PGM_RSRC2:TGID_X_EN: 1
; COMPUTE_PGM_RSRC2:TGID_Y_EN: 0
; COMPUTE_PGM_RSRC2:TGID_Z_EN: 0
; COMPUTE_PGM_RSRC2:TIDIG_COMP_CNT: 0
; COMPUTE_PGM_RSRC3_GFX90A:ACCUM_OFFSET: 2
; COMPUTE_PGM_RSRC3_GFX90A:TG_SPLIT: 0
	.section	.text._ZN9rocsparseL23sddmm_csx_sample_kernelILi512ELi8EL20rocsparse_direction_1EdlldEEvT4_S2_T3_PKT5_S2_PS4_PKS3_PKS2_21rocsparse_index_base_,"axG",@progbits,_ZN9rocsparseL23sddmm_csx_sample_kernelILi512ELi8EL20rocsparse_direction_1EdlldEEvT4_S2_T3_PKT5_S2_PS4_PKS3_PKS2_21rocsparse_index_base_,comdat
	.globl	_ZN9rocsparseL23sddmm_csx_sample_kernelILi512ELi8EL20rocsparse_direction_1EdlldEEvT4_S2_T3_PKT5_S2_PS4_PKS3_PKS2_21rocsparse_index_base_ ; -- Begin function _ZN9rocsparseL23sddmm_csx_sample_kernelILi512ELi8EL20rocsparse_direction_1EdlldEEvT4_S2_T3_PKT5_S2_PS4_PKS3_PKS2_21rocsparse_index_base_
	.p2align	8
	.type	_ZN9rocsparseL23sddmm_csx_sample_kernelILi512ELi8EL20rocsparse_direction_1EdlldEEvT4_S2_T3_PKT5_S2_PS4_PKS3_PKS2_21rocsparse_index_base_,@function
_ZN9rocsparseL23sddmm_csx_sample_kernelILi512ELi8EL20rocsparse_direction_1EdlldEEvT4_S2_T3_PKT5_S2_PS4_PKS3_PKS2_21rocsparse_index_base_: ; @_ZN9rocsparseL23sddmm_csx_sample_kernelILi512ELi8EL20rocsparse_direction_1EdlldEEvT4_S2_T3_PKT5_S2_PS4_PKS3_PKS2_21rocsparse_index_base_
; %bb.0:
	s_load_dwordx2 s[4:5], s[0:1], 0x8
	v_lshrrev_b32_e32 v1, 3, v0
	v_lshl_or_b32 v4, s2, 6, v1
	v_mov_b32_e32 v5, 0
	s_waitcnt lgkmcnt(0)
	v_cmp_gt_i64_e32 vcc, s[4:5], v[4:5]
	s_and_saveexec_b64 s[2:3], vcc
	s_cbranch_execz .LBB187_4
; %bb.1:
	s_load_dwordx2 s[4:5], s[0:1], 0x30
	s_load_dword s2, s[0:1], 0x40
	v_add_u32_e32 v2, 1, v4
	v_mov_b32_e32 v3, v5
	v_and_b32_e32 v0, 7, v0
	s_waitcnt lgkmcnt(0)
	v_lshl_add_u64 v[6:7], v[4:5], 3, s[4:5]
	v_lshl_add_u64 v[2:3], v[2:3], 3, s[4:5]
	global_load_dwordx2 v[6:7], v[6:7], off
	v_subrev_co_u32_e32 v0, vcc, s2, v0
	global_load_dwordx2 v[2:3], v[2:3], off
	s_nop 0
	v_subb_co_u32_e64 v1, s[4:5], 0, 0, vcc
	s_waitcnt vmcnt(1)
	v_lshl_add_u64 v[0:1], v[0:1], 0, v[6:7]
	s_waitcnt vmcnt(0)
	v_subrev_co_u32_e32 v2, vcc, s2, v2
	s_nop 1
	v_subbrev_co_u32_e32 v3, vcc, 0, v3, vcc
	v_cmp_lt_i64_e32 vcc, v[0:1], v[2:3]
	s_and_b64 exec, exec, vcc
	s_cbranch_execz .LBB187_4
; %bb.2:
	s_load_dwordx4 s[4:7], s[0:1], 0x18
	s_load_dwordx2 s[8:9], s[0:1], 0x28
	s_load_dwordx2 s[10:11], s[0:1], 0x38
	s_waitcnt lgkmcnt(0)
	v_mad_u64_u32 v[6:7], s[0:1], s6, v4, 0
	v_mov_b32_e32 v8, v7
	v_mad_u64_u32 v[4:5], s[0:1], s7, v4, v[8:9]
	v_mov_b32_e32 v7, v4
	v_lshlrev_b64 v[8:9], 3, v[0:1]
	v_lshl_add_u64 v[4:5], v[6:7], 3, s[4:5]
	v_lshl_add_u64 v[6:7], s[8:9], 0, v[8:9]
	;; [unrolled: 1-line block ×3, first 2 shown]
	s_mov_b64 s[0:1], 0
.LBB187_3:                              ; =>This Inner Loop Header: Depth=1
	global_load_dwordx2 v[10:11], v[8:9], off
	v_lshl_add_u64 v[0:1], v[0:1], 0, 8
	v_lshl_add_u64 v[8:9], v[8:9], 0, 64
	s_waitcnt vmcnt(0)
	v_subrev_co_u32_e32 v10, vcc, s2, v10
	s_nop 1
	v_subbrev_co_u32_e32 v11, vcc, 0, v11, vcc
	v_lshl_add_u64 v[10:11], v[10:11], 3, v[4:5]
	global_load_dwordx2 v[10:11], v[10:11], off
	v_cmp_ge_i64_e32 vcc, v[0:1], v[2:3]
	s_or_b64 s[0:1], vcc, s[0:1]
	s_waitcnt vmcnt(0)
	global_store_dwordx2 v[6:7], v[10:11], off
	v_lshl_add_u64 v[6:7], v[6:7], 0, 64
	s_andn2_b64 exec, exec, s[0:1]
	s_cbranch_execnz .LBB187_3
.LBB187_4:
	s_endpgm
	.section	.rodata,"a",@progbits
	.p2align	6, 0x0
	.amdhsa_kernel _ZN9rocsparseL23sddmm_csx_sample_kernelILi512ELi8EL20rocsparse_direction_1EdlldEEvT4_S2_T3_PKT5_S2_PS4_PKS3_PKS2_21rocsparse_index_base_
		.amdhsa_group_segment_fixed_size 0
		.amdhsa_private_segment_fixed_size 0
		.amdhsa_kernarg_size 68
		.amdhsa_user_sgpr_count 2
		.amdhsa_user_sgpr_dispatch_ptr 0
		.amdhsa_user_sgpr_queue_ptr 0
		.amdhsa_user_sgpr_kernarg_segment_ptr 1
		.amdhsa_user_sgpr_dispatch_id 0
		.amdhsa_user_sgpr_kernarg_preload_length 0
		.amdhsa_user_sgpr_kernarg_preload_offset 0
		.amdhsa_user_sgpr_private_segment_size 0
		.amdhsa_uses_dynamic_stack 0
		.amdhsa_enable_private_segment 0
		.amdhsa_system_sgpr_workgroup_id_x 1
		.amdhsa_system_sgpr_workgroup_id_y 0
		.amdhsa_system_sgpr_workgroup_id_z 0
		.amdhsa_system_sgpr_workgroup_info 0
		.amdhsa_system_vgpr_workitem_id 0
		.amdhsa_next_free_vgpr 12
		.amdhsa_next_free_sgpr 12
		.amdhsa_accum_offset 12
		.amdhsa_reserve_vcc 1
		.amdhsa_float_round_mode_32 0
		.amdhsa_float_round_mode_16_64 0
		.amdhsa_float_denorm_mode_32 3
		.amdhsa_float_denorm_mode_16_64 3
		.amdhsa_dx10_clamp 1
		.amdhsa_ieee_mode 1
		.amdhsa_fp16_overflow 0
		.amdhsa_tg_split 0
		.amdhsa_exception_fp_ieee_invalid_op 0
		.amdhsa_exception_fp_denorm_src 0
		.amdhsa_exception_fp_ieee_div_zero 0
		.amdhsa_exception_fp_ieee_overflow 0
		.amdhsa_exception_fp_ieee_underflow 0
		.amdhsa_exception_fp_ieee_inexact 0
		.amdhsa_exception_int_div_zero 0
	.end_amdhsa_kernel
	.section	.text._ZN9rocsparseL23sddmm_csx_sample_kernelILi512ELi8EL20rocsparse_direction_1EdlldEEvT4_S2_T3_PKT5_S2_PS4_PKS3_PKS2_21rocsparse_index_base_,"axG",@progbits,_ZN9rocsparseL23sddmm_csx_sample_kernelILi512ELi8EL20rocsparse_direction_1EdlldEEvT4_S2_T3_PKT5_S2_PS4_PKS3_PKS2_21rocsparse_index_base_,comdat
.Lfunc_end187:
	.size	_ZN9rocsparseL23sddmm_csx_sample_kernelILi512ELi8EL20rocsparse_direction_1EdlldEEvT4_S2_T3_PKT5_S2_PS4_PKS3_PKS2_21rocsparse_index_base_, .Lfunc_end187-_ZN9rocsparseL23sddmm_csx_sample_kernelILi512ELi8EL20rocsparse_direction_1EdlldEEvT4_S2_T3_PKT5_S2_PS4_PKS3_PKS2_21rocsparse_index_base_
                                        ; -- End function
	.set _ZN9rocsparseL23sddmm_csx_sample_kernelILi512ELi8EL20rocsparse_direction_1EdlldEEvT4_S2_T3_PKT5_S2_PS4_PKS3_PKS2_21rocsparse_index_base_.num_vgpr, 12
	.set _ZN9rocsparseL23sddmm_csx_sample_kernelILi512ELi8EL20rocsparse_direction_1EdlldEEvT4_S2_T3_PKT5_S2_PS4_PKS3_PKS2_21rocsparse_index_base_.num_agpr, 0
	.set _ZN9rocsparseL23sddmm_csx_sample_kernelILi512ELi8EL20rocsparse_direction_1EdlldEEvT4_S2_T3_PKT5_S2_PS4_PKS3_PKS2_21rocsparse_index_base_.numbered_sgpr, 12
	.set _ZN9rocsparseL23sddmm_csx_sample_kernelILi512ELi8EL20rocsparse_direction_1EdlldEEvT4_S2_T3_PKT5_S2_PS4_PKS3_PKS2_21rocsparse_index_base_.num_named_barrier, 0
	.set _ZN9rocsparseL23sddmm_csx_sample_kernelILi512ELi8EL20rocsparse_direction_1EdlldEEvT4_S2_T3_PKT5_S2_PS4_PKS3_PKS2_21rocsparse_index_base_.private_seg_size, 0
	.set _ZN9rocsparseL23sddmm_csx_sample_kernelILi512ELi8EL20rocsparse_direction_1EdlldEEvT4_S2_T3_PKT5_S2_PS4_PKS3_PKS2_21rocsparse_index_base_.uses_vcc, 1
	.set _ZN9rocsparseL23sddmm_csx_sample_kernelILi512ELi8EL20rocsparse_direction_1EdlldEEvT4_S2_T3_PKT5_S2_PS4_PKS3_PKS2_21rocsparse_index_base_.uses_flat_scratch, 0
	.set _ZN9rocsparseL23sddmm_csx_sample_kernelILi512ELi8EL20rocsparse_direction_1EdlldEEvT4_S2_T3_PKT5_S2_PS4_PKS3_PKS2_21rocsparse_index_base_.has_dyn_sized_stack, 0
	.set _ZN9rocsparseL23sddmm_csx_sample_kernelILi512ELi8EL20rocsparse_direction_1EdlldEEvT4_S2_T3_PKT5_S2_PS4_PKS3_PKS2_21rocsparse_index_base_.has_recursion, 0
	.set _ZN9rocsparseL23sddmm_csx_sample_kernelILi512ELi8EL20rocsparse_direction_1EdlldEEvT4_S2_T3_PKT5_S2_PS4_PKS3_PKS2_21rocsparse_index_base_.has_indirect_call, 0
	.section	.AMDGPU.csdata,"",@progbits
; Kernel info:
; codeLenInByte = 344
; TotalNumSgprs: 18
; NumVgprs: 12
; NumAgprs: 0
; TotalNumVgprs: 12
; ScratchSize: 0
; MemoryBound: 0
; FloatMode: 240
; IeeeMode: 1
; LDSByteSize: 0 bytes/workgroup (compile time only)
; SGPRBlocks: 2
; VGPRBlocks: 1
; NumSGPRsForWavesPerEU: 18
; NumVGPRsForWavesPerEU: 12
; AccumOffset: 12
; Occupancy: 8
; WaveLimiterHint : 1
; COMPUTE_PGM_RSRC2:SCRATCH_EN: 0
; COMPUTE_PGM_RSRC2:USER_SGPR: 2
; COMPUTE_PGM_RSRC2:TRAP_HANDLER: 0
; COMPUTE_PGM_RSRC2:TGID_X_EN: 1
; COMPUTE_PGM_RSRC2:TGID_Y_EN: 0
; COMPUTE_PGM_RSRC2:TGID_Z_EN: 0
; COMPUTE_PGM_RSRC2:TIDIG_COMP_CNT: 0
; COMPUTE_PGM_RSRC3_GFX90A:ACCUM_OFFSET: 2
; COMPUTE_PGM_RSRC3_GFX90A:TG_SPLIT: 0
	.section	.text._ZN9rocsparseL23sddmm_csx_sample_kernelILi512ELi4EL20rocsparse_direction_1EdlldEEvT4_S2_T3_PKT5_S2_PS4_PKS3_PKS2_21rocsparse_index_base_,"axG",@progbits,_ZN9rocsparseL23sddmm_csx_sample_kernelILi512ELi4EL20rocsparse_direction_1EdlldEEvT4_S2_T3_PKT5_S2_PS4_PKS3_PKS2_21rocsparse_index_base_,comdat
	.globl	_ZN9rocsparseL23sddmm_csx_sample_kernelILi512ELi4EL20rocsparse_direction_1EdlldEEvT4_S2_T3_PKT5_S2_PS4_PKS3_PKS2_21rocsparse_index_base_ ; -- Begin function _ZN9rocsparseL23sddmm_csx_sample_kernelILi512ELi4EL20rocsparse_direction_1EdlldEEvT4_S2_T3_PKT5_S2_PS4_PKS3_PKS2_21rocsparse_index_base_
	.p2align	8
	.type	_ZN9rocsparseL23sddmm_csx_sample_kernelILi512ELi4EL20rocsparse_direction_1EdlldEEvT4_S2_T3_PKT5_S2_PS4_PKS3_PKS2_21rocsparse_index_base_,@function
_ZN9rocsparseL23sddmm_csx_sample_kernelILi512ELi4EL20rocsparse_direction_1EdlldEEvT4_S2_T3_PKT5_S2_PS4_PKS3_PKS2_21rocsparse_index_base_: ; @_ZN9rocsparseL23sddmm_csx_sample_kernelILi512ELi4EL20rocsparse_direction_1EdlldEEvT4_S2_T3_PKT5_S2_PS4_PKS3_PKS2_21rocsparse_index_base_
; %bb.0:
	s_load_dwordx2 s[4:5], s[0:1], 0x8
	v_lshrrev_b32_e32 v1, 2, v0
	v_lshl_or_b32 v4, s2, 7, v1
	v_mov_b32_e32 v5, 0
	s_waitcnt lgkmcnt(0)
	v_cmp_gt_i64_e32 vcc, s[4:5], v[4:5]
	s_and_saveexec_b64 s[2:3], vcc
	s_cbranch_execz .LBB188_4
; %bb.1:
	s_load_dwordx2 s[4:5], s[0:1], 0x30
	s_load_dword s2, s[0:1], 0x40
	v_add_u32_e32 v2, 1, v4
	v_mov_b32_e32 v3, v5
	v_and_b32_e32 v0, 3, v0
	s_waitcnt lgkmcnt(0)
	v_lshl_add_u64 v[6:7], v[4:5], 3, s[4:5]
	v_lshl_add_u64 v[2:3], v[2:3], 3, s[4:5]
	global_load_dwordx2 v[6:7], v[6:7], off
	v_subrev_co_u32_e32 v0, vcc, s2, v0
	global_load_dwordx2 v[2:3], v[2:3], off
	s_nop 0
	v_subb_co_u32_e64 v1, s[4:5], 0, 0, vcc
	s_waitcnt vmcnt(1)
	v_lshl_add_u64 v[0:1], v[0:1], 0, v[6:7]
	s_waitcnt vmcnt(0)
	v_subrev_co_u32_e32 v2, vcc, s2, v2
	s_nop 1
	v_subbrev_co_u32_e32 v3, vcc, 0, v3, vcc
	v_cmp_lt_i64_e32 vcc, v[0:1], v[2:3]
	s_and_b64 exec, exec, vcc
	s_cbranch_execz .LBB188_4
; %bb.2:
	s_load_dwordx4 s[4:7], s[0:1], 0x18
	s_load_dwordx2 s[8:9], s[0:1], 0x28
	s_load_dwordx2 s[10:11], s[0:1], 0x38
	s_waitcnt lgkmcnt(0)
	v_mad_u64_u32 v[6:7], s[0:1], s6, v4, 0
	v_mov_b32_e32 v8, v7
	v_mad_u64_u32 v[4:5], s[0:1], s7, v4, v[8:9]
	v_mov_b32_e32 v7, v4
	v_lshlrev_b64 v[8:9], 3, v[0:1]
	v_lshl_add_u64 v[4:5], v[6:7], 3, s[4:5]
	v_lshl_add_u64 v[6:7], s[8:9], 0, v[8:9]
	;; [unrolled: 1-line block ×3, first 2 shown]
	s_mov_b64 s[0:1], 0
.LBB188_3:                              ; =>This Inner Loop Header: Depth=1
	global_load_dwordx2 v[10:11], v[8:9], off
	v_lshl_add_u64 v[0:1], v[0:1], 0, 4
	v_lshl_add_u64 v[8:9], v[8:9], 0, 32
	s_waitcnt vmcnt(0)
	v_subrev_co_u32_e32 v10, vcc, s2, v10
	s_nop 1
	v_subbrev_co_u32_e32 v11, vcc, 0, v11, vcc
	v_lshl_add_u64 v[10:11], v[10:11], 3, v[4:5]
	global_load_dwordx2 v[10:11], v[10:11], off
	v_cmp_ge_i64_e32 vcc, v[0:1], v[2:3]
	s_or_b64 s[0:1], vcc, s[0:1]
	s_waitcnt vmcnt(0)
	global_store_dwordx2 v[6:7], v[10:11], off
	v_lshl_add_u64 v[6:7], v[6:7], 0, 32
	s_andn2_b64 exec, exec, s[0:1]
	s_cbranch_execnz .LBB188_3
.LBB188_4:
	s_endpgm
	.section	.rodata,"a",@progbits
	.p2align	6, 0x0
	.amdhsa_kernel _ZN9rocsparseL23sddmm_csx_sample_kernelILi512ELi4EL20rocsparse_direction_1EdlldEEvT4_S2_T3_PKT5_S2_PS4_PKS3_PKS2_21rocsparse_index_base_
		.amdhsa_group_segment_fixed_size 0
		.amdhsa_private_segment_fixed_size 0
		.amdhsa_kernarg_size 68
		.amdhsa_user_sgpr_count 2
		.amdhsa_user_sgpr_dispatch_ptr 0
		.amdhsa_user_sgpr_queue_ptr 0
		.amdhsa_user_sgpr_kernarg_segment_ptr 1
		.amdhsa_user_sgpr_dispatch_id 0
		.amdhsa_user_sgpr_kernarg_preload_length 0
		.amdhsa_user_sgpr_kernarg_preload_offset 0
		.amdhsa_user_sgpr_private_segment_size 0
		.amdhsa_uses_dynamic_stack 0
		.amdhsa_enable_private_segment 0
		.amdhsa_system_sgpr_workgroup_id_x 1
		.amdhsa_system_sgpr_workgroup_id_y 0
		.amdhsa_system_sgpr_workgroup_id_z 0
		.amdhsa_system_sgpr_workgroup_info 0
		.amdhsa_system_vgpr_workitem_id 0
		.amdhsa_next_free_vgpr 12
		.amdhsa_next_free_sgpr 12
		.amdhsa_accum_offset 12
		.amdhsa_reserve_vcc 1
		.amdhsa_float_round_mode_32 0
		.amdhsa_float_round_mode_16_64 0
		.amdhsa_float_denorm_mode_32 3
		.amdhsa_float_denorm_mode_16_64 3
		.amdhsa_dx10_clamp 1
		.amdhsa_ieee_mode 1
		.amdhsa_fp16_overflow 0
		.amdhsa_tg_split 0
		.amdhsa_exception_fp_ieee_invalid_op 0
		.amdhsa_exception_fp_denorm_src 0
		.amdhsa_exception_fp_ieee_div_zero 0
		.amdhsa_exception_fp_ieee_overflow 0
		.amdhsa_exception_fp_ieee_underflow 0
		.amdhsa_exception_fp_ieee_inexact 0
		.amdhsa_exception_int_div_zero 0
	.end_amdhsa_kernel
	.section	.text._ZN9rocsparseL23sddmm_csx_sample_kernelILi512ELi4EL20rocsparse_direction_1EdlldEEvT4_S2_T3_PKT5_S2_PS4_PKS3_PKS2_21rocsparse_index_base_,"axG",@progbits,_ZN9rocsparseL23sddmm_csx_sample_kernelILi512ELi4EL20rocsparse_direction_1EdlldEEvT4_S2_T3_PKT5_S2_PS4_PKS3_PKS2_21rocsparse_index_base_,comdat
.Lfunc_end188:
	.size	_ZN9rocsparseL23sddmm_csx_sample_kernelILi512ELi4EL20rocsparse_direction_1EdlldEEvT4_S2_T3_PKT5_S2_PS4_PKS3_PKS2_21rocsparse_index_base_, .Lfunc_end188-_ZN9rocsparseL23sddmm_csx_sample_kernelILi512ELi4EL20rocsparse_direction_1EdlldEEvT4_S2_T3_PKT5_S2_PS4_PKS3_PKS2_21rocsparse_index_base_
                                        ; -- End function
	.set _ZN9rocsparseL23sddmm_csx_sample_kernelILi512ELi4EL20rocsparse_direction_1EdlldEEvT4_S2_T3_PKT5_S2_PS4_PKS3_PKS2_21rocsparse_index_base_.num_vgpr, 12
	.set _ZN9rocsparseL23sddmm_csx_sample_kernelILi512ELi4EL20rocsparse_direction_1EdlldEEvT4_S2_T3_PKT5_S2_PS4_PKS3_PKS2_21rocsparse_index_base_.num_agpr, 0
	.set _ZN9rocsparseL23sddmm_csx_sample_kernelILi512ELi4EL20rocsparse_direction_1EdlldEEvT4_S2_T3_PKT5_S2_PS4_PKS3_PKS2_21rocsparse_index_base_.numbered_sgpr, 12
	.set _ZN9rocsparseL23sddmm_csx_sample_kernelILi512ELi4EL20rocsparse_direction_1EdlldEEvT4_S2_T3_PKT5_S2_PS4_PKS3_PKS2_21rocsparse_index_base_.num_named_barrier, 0
	.set _ZN9rocsparseL23sddmm_csx_sample_kernelILi512ELi4EL20rocsparse_direction_1EdlldEEvT4_S2_T3_PKT5_S2_PS4_PKS3_PKS2_21rocsparse_index_base_.private_seg_size, 0
	.set _ZN9rocsparseL23sddmm_csx_sample_kernelILi512ELi4EL20rocsparse_direction_1EdlldEEvT4_S2_T3_PKT5_S2_PS4_PKS3_PKS2_21rocsparse_index_base_.uses_vcc, 1
	.set _ZN9rocsparseL23sddmm_csx_sample_kernelILi512ELi4EL20rocsparse_direction_1EdlldEEvT4_S2_T3_PKT5_S2_PS4_PKS3_PKS2_21rocsparse_index_base_.uses_flat_scratch, 0
	.set _ZN9rocsparseL23sddmm_csx_sample_kernelILi512ELi4EL20rocsparse_direction_1EdlldEEvT4_S2_T3_PKT5_S2_PS4_PKS3_PKS2_21rocsparse_index_base_.has_dyn_sized_stack, 0
	.set _ZN9rocsparseL23sddmm_csx_sample_kernelILi512ELi4EL20rocsparse_direction_1EdlldEEvT4_S2_T3_PKT5_S2_PS4_PKS3_PKS2_21rocsparse_index_base_.has_recursion, 0
	.set _ZN9rocsparseL23sddmm_csx_sample_kernelILi512ELi4EL20rocsparse_direction_1EdlldEEvT4_S2_T3_PKT5_S2_PS4_PKS3_PKS2_21rocsparse_index_base_.has_indirect_call, 0
	.section	.AMDGPU.csdata,"",@progbits
; Kernel info:
; codeLenInByte = 344
; TotalNumSgprs: 18
; NumVgprs: 12
; NumAgprs: 0
; TotalNumVgprs: 12
; ScratchSize: 0
; MemoryBound: 0
; FloatMode: 240
; IeeeMode: 1
; LDSByteSize: 0 bytes/workgroup (compile time only)
; SGPRBlocks: 2
; VGPRBlocks: 1
; NumSGPRsForWavesPerEU: 18
; NumVGPRsForWavesPerEU: 12
; AccumOffset: 12
; Occupancy: 8
; WaveLimiterHint : 1
; COMPUTE_PGM_RSRC2:SCRATCH_EN: 0
; COMPUTE_PGM_RSRC2:USER_SGPR: 2
; COMPUTE_PGM_RSRC2:TRAP_HANDLER: 0
; COMPUTE_PGM_RSRC2:TGID_X_EN: 1
; COMPUTE_PGM_RSRC2:TGID_Y_EN: 0
; COMPUTE_PGM_RSRC2:TGID_Z_EN: 0
; COMPUTE_PGM_RSRC2:TIDIG_COMP_CNT: 0
; COMPUTE_PGM_RSRC3_GFX90A:ACCUM_OFFSET: 2
; COMPUTE_PGM_RSRC3_GFX90A:TG_SPLIT: 0
	.section	.text._ZN9rocsparseL23sddmm_csx_sample_kernelILi512ELi2EL20rocsparse_direction_1EdlldEEvT4_S2_T3_PKT5_S2_PS4_PKS3_PKS2_21rocsparse_index_base_,"axG",@progbits,_ZN9rocsparseL23sddmm_csx_sample_kernelILi512ELi2EL20rocsparse_direction_1EdlldEEvT4_S2_T3_PKT5_S2_PS4_PKS3_PKS2_21rocsparse_index_base_,comdat
	.globl	_ZN9rocsparseL23sddmm_csx_sample_kernelILi512ELi2EL20rocsparse_direction_1EdlldEEvT4_S2_T3_PKT5_S2_PS4_PKS3_PKS2_21rocsparse_index_base_ ; -- Begin function _ZN9rocsparseL23sddmm_csx_sample_kernelILi512ELi2EL20rocsparse_direction_1EdlldEEvT4_S2_T3_PKT5_S2_PS4_PKS3_PKS2_21rocsparse_index_base_
	.p2align	8
	.type	_ZN9rocsparseL23sddmm_csx_sample_kernelILi512ELi2EL20rocsparse_direction_1EdlldEEvT4_S2_T3_PKT5_S2_PS4_PKS3_PKS2_21rocsparse_index_base_,@function
_ZN9rocsparseL23sddmm_csx_sample_kernelILi512ELi2EL20rocsparse_direction_1EdlldEEvT4_S2_T3_PKT5_S2_PS4_PKS3_PKS2_21rocsparse_index_base_: ; @_ZN9rocsparseL23sddmm_csx_sample_kernelILi512ELi2EL20rocsparse_direction_1EdlldEEvT4_S2_T3_PKT5_S2_PS4_PKS3_PKS2_21rocsparse_index_base_
; %bb.0:
	s_load_dwordx2 s[4:5], s[0:1], 0x8
	v_lshrrev_b32_e32 v1, 1, v0
	v_lshl_or_b32 v4, s2, 8, v1
	v_mov_b32_e32 v5, 0
	s_waitcnt lgkmcnt(0)
	v_cmp_gt_i64_e32 vcc, s[4:5], v[4:5]
	s_and_saveexec_b64 s[2:3], vcc
	s_cbranch_execz .LBB189_4
; %bb.1:
	s_load_dwordx2 s[4:5], s[0:1], 0x30
	s_load_dword s2, s[0:1], 0x40
	v_add_u32_e32 v2, 1, v4
	v_mov_b32_e32 v3, v5
	v_and_b32_e32 v0, 1, v0
	s_waitcnt lgkmcnt(0)
	v_lshl_add_u64 v[6:7], v[4:5], 3, s[4:5]
	v_lshl_add_u64 v[2:3], v[2:3], 3, s[4:5]
	global_load_dwordx2 v[6:7], v[6:7], off
	v_subrev_co_u32_e32 v0, vcc, s2, v0
	global_load_dwordx2 v[2:3], v[2:3], off
	s_nop 0
	v_subb_co_u32_e64 v1, s[4:5], 0, 0, vcc
	s_waitcnt vmcnt(1)
	v_lshl_add_u64 v[0:1], v[0:1], 0, v[6:7]
	s_waitcnt vmcnt(0)
	v_subrev_co_u32_e32 v2, vcc, s2, v2
	s_nop 1
	v_subbrev_co_u32_e32 v3, vcc, 0, v3, vcc
	v_cmp_lt_i64_e32 vcc, v[0:1], v[2:3]
	s_and_b64 exec, exec, vcc
	s_cbranch_execz .LBB189_4
; %bb.2:
	s_load_dwordx4 s[4:7], s[0:1], 0x18
	s_load_dwordx2 s[8:9], s[0:1], 0x28
	s_load_dwordx2 s[10:11], s[0:1], 0x38
	s_waitcnt lgkmcnt(0)
	v_mad_u64_u32 v[6:7], s[0:1], s6, v4, 0
	v_mov_b32_e32 v8, v7
	v_mad_u64_u32 v[4:5], s[0:1], s7, v4, v[8:9]
	v_mov_b32_e32 v7, v4
	v_lshlrev_b64 v[8:9], 3, v[0:1]
	v_lshl_add_u64 v[4:5], v[6:7], 3, s[4:5]
	v_lshl_add_u64 v[6:7], s[8:9], 0, v[8:9]
	;; [unrolled: 1-line block ×3, first 2 shown]
	s_mov_b64 s[0:1], 0
.LBB189_3:                              ; =>This Inner Loop Header: Depth=1
	global_load_dwordx2 v[10:11], v[8:9], off
	v_lshl_add_u64 v[0:1], v[0:1], 0, 2
	v_lshl_add_u64 v[8:9], v[8:9], 0, 16
	s_waitcnt vmcnt(0)
	v_subrev_co_u32_e32 v10, vcc, s2, v10
	s_nop 1
	v_subbrev_co_u32_e32 v11, vcc, 0, v11, vcc
	v_lshl_add_u64 v[10:11], v[10:11], 3, v[4:5]
	global_load_dwordx2 v[10:11], v[10:11], off
	v_cmp_ge_i64_e32 vcc, v[0:1], v[2:3]
	s_or_b64 s[0:1], vcc, s[0:1]
	s_waitcnt vmcnt(0)
	global_store_dwordx2 v[6:7], v[10:11], off
	v_lshl_add_u64 v[6:7], v[6:7], 0, 16
	s_andn2_b64 exec, exec, s[0:1]
	s_cbranch_execnz .LBB189_3
.LBB189_4:
	s_endpgm
	.section	.rodata,"a",@progbits
	.p2align	6, 0x0
	.amdhsa_kernel _ZN9rocsparseL23sddmm_csx_sample_kernelILi512ELi2EL20rocsparse_direction_1EdlldEEvT4_S2_T3_PKT5_S2_PS4_PKS3_PKS2_21rocsparse_index_base_
		.amdhsa_group_segment_fixed_size 0
		.amdhsa_private_segment_fixed_size 0
		.amdhsa_kernarg_size 68
		.amdhsa_user_sgpr_count 2
		.amdhsa_user_sgpr_dispatch_ptr 0
		.amdhsa_user_sgpr_queue_ptr 0
		.amdhsa_user_sgpr_kernarg_segment_ptr 1
		.amdhsa_user_sgpr_dispatch_id 0
		.amdhsa_user_sgpr_kernarg_preload_length 0
		.amdhsa_user_sgpr_kernarg_preload_offset 0
		.amdhsa_user_sgpr_private_segment_size 0
		.amdhsa_uses_dynamic_stack 0
		.amdhsa_enable_private_segment 0
		.amdhsa_system_sgpr_workgroup_id_x 1
		.amdhsa_system_sgpr_workgroup_id_y 0
		.amdhsa_system_sgpr_workgroup_id_z 0
		.amdhsa_system_sgpr_workgroup_info 0
		.amdhsa_system_vgpr_workitem_id 0
		.amdhsa_next_free_vgpr 12
		.amdhsa_next_free_sgpr 12
		.amdhsa_accum_offset 12
		.amdhsa_reserve_vcc 1
		.amdhsa_float_round_mode_32 0
		.amdhsa_float_round_mode_16_64 0
		.amdhsa_float_denorm_mode_32 3
		.amdhsa_float_denorm_mode_16_64 3
		.amdhsa_dx10_clamp 1
		.amdhsa_ieee_mode 1
		.amdhsa_fp16_overflow 0
		.amdhsa_tg_split 0
		.amdhsa_exception_fp_ieee_invalid_op 0
		.amdhsa_exception_fp_denorm_src 0
		.amdhsa_exception_fp_ieee_div_zero 0
		.amdhsa_exception_fp_ieee_overflow 0
		.amdhsa_exception_fp_ieee_underflow 0
		.amdhsa_exception_fp_ieee_inexact 0
		.amdhsa_exception_int_div_zero 0
	.end_amdhsa_kernel
	.section	.text._ZN9rocsparseL23sddmm_csx_sample_kernelILi512ELi2EL20rocsparse_direction_1EdlldEEvT4_S2_T3_PKT5_S2_PS4_PKS3_PKS2_21rocsparse_index_base_,"axG",@progbits,_ZN9rocsparseL23sddmm_csx_sample_kernelILi512ELi2EL20rocsparse_direction_1EdlldEEvT4_S2_T3_PKT5_S2_PS4_PKS3_PKS2_21rocsparse_index_base_,comdat
.Lfunc_end189:
	.size	_ZN9rocsparseL23sddmm_csx_sample_kernelILi512ELi2EL20rocsparse_direction_1EdlldEEvT4_S2_T3_PKT5_S2_PS4_PKS3_PKS2_21rocsparse_index_base_, .Lfunc_end189-_ZN9rocsparseL23sddmm_csx_sample_kernelILi512ELi2EL20rocsparse_direction_1EdlldEEvT4_S2_T3_PKT5_S2_PS4_PKS3_PKS2_21rocsparse_index_base_
                                        ; -- End function
	.set _ZN9rocsparseL23sddmm_csx_sample_kernelILi512ELi2EL20rocsparse_direction_1EdlldEEvT4_S2_T3_PKT5_S2_PS4_PKS3_PKS2_21rocsparse_index_base_.num_vgpr, 12
	.set _ZN9rocsparseL23sddmm_csx_sample_kernelILi512ELi2EL20rocsparse_direction_1EdlldEEvT4_S2_T3_PKT5_S2_PS4_PKS3_PKS2_21rocsparse_index_base_.num_agpr, 0
	.set _ZN9rocsparseL23sddmm_csx_sample_kernelILi512ELi2EL20rocsparse_direction_1EdlldEEvT4_S2_T3_PKT5_S2_PS4_PKS3_PKS2_21rocsparse_index_base_.numbered_sgpr, 12
	.set _ZN9rocsparseL23sddmm_csx_sample_kernelILi512ELi2EL20rocsparse_direction_1EdlldEEvT4_S2_T3_PKT5_S2_PS4_PKS3_PKS2_21rocsparse_index_base_.num_named_barrier, 0
	.set _ZN9rocsparseL23sddmm_csx_sample_kernelILi512ELi2EL20rocsparse_direction_1EdlldEEvT4_S2_T3_PKT5_S2_PS4_PKS3_PKS2_21rocsparse_index_base_.private_seg_size, 0
	.set _ZN9rocsparseL23sddmm_csx_sample_kernelILi512ELi2EL20rocsparse_direction_1EdlldEEvT4_S2_T3_PKT5_S2_PS4_PKS3_PKS2_21rocsparse_index_base_.uses_vcc, 1
	.set _ZN9rocsparseL23sddmm_csx_sample_kernelILi512ELi2EL20rocsparse_direction_1EdlldEEvT4_S2_T3_PKT5_S2_PS4_PKS3_PKS2_21rocsparse_index_base_.uses_flat_scratch, 0
	.set _ZN9rocsparseL23sddmm_csx_sample_kernelILi512ELi2EL20rocsparse_direction_1EdlldEEvT4_S2_T3_PKT5_S2_PS4_PKS3_PKS2_21rocsparse_index_base_.has_dyn_sized_stack, 0
	.set _ZN9rocsparseL23sddmm_csx_sample_kernelILi512ELi2EL20rocsparse_direction_1EdlldEEvT4_S2_T3_PKT5_S2_PS4_PKS3_PKS2_21rocsparse_index_base_.has_recursion, 0
	.set _ZN9rocsparseL23sddmm_csx_sample_kernelILi512ELi2EL20rocsparse_direction_1EdlldEEvT4_S2_T3_PKT5_S2_PS4_PKS3_PKS2_21rocsparse_index_base_.has_indirect_call, 0
	.section	.AMDGPU.csdata,"",@progbits
; Kernel info:
; codeLenInByte = 344
; TotalNumSgprs: 18
; NumVgprs: 12
; NumAgprs: 0
; TotalNumVgprs: 12
; ScratchSize: 0
; MemoryBound: 0
; FloatMode: 240
; IeeeMode: 1
; LDSByteSize: 0 bytes/workgroup (compile time only)
; SGPRBlocks: 2
; VGPRBlocks: 1
; NumSGPRsForWavesPerEU: 18
; NumVGPRsForWavesPerEU: 12
; AccumOffset: 12
; Occupancy: 8
; WaveLimiterHint : 1
; COMPUTE_PGM_RSRC2:SCRATCH_EN: 0
; COMPUTE_PGM_RSRC2:USER_SGPR: 2
; COMPUTE_PGM_RSRC2:TRAP_HANDLER: 0
; COMPUTE_PGM_RSRC2:TGID_X_EN: 1
; COMPUTE_PGM_RSRC2:TGID_Y_EN: 0
; COMPUTE_PGM_RSRC2:TGID_Z_EN: 0
; COMPUTE_PGM_RSRC2:TIDIG_COMP_CNT: 0
; COMPUTE_PGM_RSRC3_GFX90A:ACCUM_OFFSET: 2
; COMPUTE_PGM_RSRC3_GFX90A:TG_SPLIT: 0
	.section	.text._ZN9rocsparseL23sddmm_csx_sample_kernelILi512ELi1EL20rocsparse_direction_1EdlldEEvT4_S2_T3_PKT5_S2_PS4_PKS3_PKS2_21rocsparse_index_base_,"axG",@progbits,_ZN9rocsparseL23sddmm_csx_sample_kernelILi512ELi1EL20rocsparse_direction_1EdlldEEvT4_S2_T3_PKT5_S2_PS4_PKS3_PKS2_21rocsparse_index_base_,comdat
	.globl	_ZN9rocsparseL23sddmm_csx_sample_kernelILi512ELi1EL20rocsparse_direction_1EdlldEEvT4_S2_T3_PKT5_S2_PS4_PKS3_PKS2_21rocsparse_index_base_ ; -- Begin function _ZN9rocsparseL23sddmm_csx_sample_kernelILi512ELi1EL20rocsparse_direction_1EdlldEEvT4_S2_T3_PKT5_S2_PS4_PKS3_PKS2_21rocsparse_index_base_
	.p2align	8
	.type	_ZN9rocsparseL23sddmm_csx_sample_kernelILi512ELi1EL20rocsparse_direction_1EdlldEEvT4_S2_T3_PKT5_S2_PS4_PKS3_PKS2_21rocsparse_index_base_,@function
_ZN9rocsparseL23sddmm_csx_sample_kernelILi512ELi1EL20rocsparse_direction_1EdlldEEvT4_S2_T3_PKT5_S2_PS4_PKS3_PKS2_21rocsparse_index_base_: ; @_ZN9rocsparseL23sddmm_csx_sample_kernelILi512ELi1EL20rocsparse_direction_1EdlldEEvT4_S2_T3_PKT5_S2_PS4_PKS3_PKS2_21rocsparse_index_base_
; %bb.0:
	s_load_dwordx2 s[4:5], s[0:1], 0x8
	v_lshl_or_b32 v4, s2, 9, v0
	v_mov_b32_e32 v5, 0
	s_waitcnt lgkmcnt(0)
	v_cmp_gt_i64_e32 vcc, s[4:5], v[4:5]
	s_and_saveexec_b64 s[2:3], vcc
	s_cbranch_execz .LBB190_4
; %bb.1:
	s_load_dwordx2 s[2:3], s[0:1], 0x30
	v_add_u32_e32 v0, 1, v4
	v_mov_b32_e32 v1, v5
	s_waitcnt lgkmcnt(0)
	v_lshl_add_u64 v[2:3], v[4:5], 3, s[2:3]
	v_lshl_add_u64 v[8:9], v[0:1], 3, s[2:3]
	global_load_dwordx2 v[6:7], v[2:3], off
	global_load_dwordx2 v[0:1], v[8:9], off
	s_waitcnt vmcnt(0)
	v_cmp_lt_i64_e32 vcc, v[6:7], v[0:1]
	s_and_b64 exec, exec, vcc
	s_cbranch_execz .LBB190_4
; %bb.2:
	s_load_dwordx2 s[8:9], s[0:1], 0x38
	s_load_dword s2, s[0:1], 0x40
	s_load_dwordx4 s[4:7], s[0:1], 0x18
	s_load_dwordx2 s[10:11], s[0:1], 0x28
	s_mov_b32 s3, 0
	s_waitcnt lgkmcnt(0)
	v_subrev_co_u32_e32 v0, vcc, s2, v0
	v_mad_u64_u32 v[8:9], s[0:1], s6, v4, 0
	s_nop 0
	v_subbrev_co_u32_e32 v1, vcc, 0, v1, vcc
	v_mov_b32_e32 v10, v9
	v_subrev_co_u32_e32 v2, vcc, s2, v6
	v_mad_u64_u32 v[4:5], s[0:1], s7, v4, v[10:11]
	s_nop 0
	v_subbrev_co_u32_e32 v3, vcc, 0, v7, vcc
	v_mov_b32_e32 v9, v4
	v_lshlrev_b64 v[6:7], 3, v[6:7]
	s_lshl_b64 s[0:1], s[2:3], 3
	v_lshl_add_u64 v[4:5], v[8:9], 3, s[4:5]
	v_mov_b32_e32 v9, s1
	v_subrev_co_u32_e32 v8, vcc, s0, v6
	s_mov_b64 s[0:1], 0
	s_nop 0
	v_subb_co_u32_e32 v9, vcc, v7, v9, vcc
	v_lshl_add_u64 v[6:7], s[10:11], 0, v[8:9]
	v_lshl_add_u64 v[8:9], s[8:9], 0, v[8:9]
.LBB190_3:                              ; =>This Inner Loop Header: Depth=1
	global_load_dwordx2 v[10:11], v[8:9], off
	v_lshl_add_u64 v[2:3], v[2:3], 0, 1
	v_lshl_add_u64 v[8:9], v[8:9], 0, 8
	s_waitcnt vmcnt(0)
	v_subrev_co_u32_e32 v10, vcc, s2, v10
	s_nop 1
	v_subbrev_co_u32_e32 v11, vcc, 0, v11, vcc
	v_lshl_add_u64 v[10:11], v[10:11], 3, v[4:5]
	global_load_dwordx2 v[10:11], v[10:11], off
	v_cmp_ge_i64_e32 vcc, v[2:3], v[0:1]
	s_or_b64 s[0:1], vcc, s[0:1]
	s_waitcnt vmcnt(0)
	global_store_dwordx2 v[6:7], v[10:11], off
	v_lshl_add_u64 v[6:7], v[6:7], 0, 8
	s_andn2_b64 exec, exec, s[0:1]
	s_cbranch_execnz .LBB190_3
.LBB190_4:
	s_endpgm
	.section	.rodata,"a",@progbits
	.p2align	6, 0x0
	.amdhsa_kernel _ZN9rocsparseL23sddmm_csx_sample_kernelILi512ELi1EL20rocsparse_direction_1EdlldEEvT4_S2_T3_PKT5_S2_PS4_PKS3_PKS2_21rocsparse_index_base_
		.amdhsa_group_segment_fixed_size 0
		.amdhsa_private_segment_fixed_size 0
		.amdhsa_kernarg_size 68
		.amdhsa_user_sgpr_count 2
		.amdhsa_user_sgpr_dispatch_ptr 0
		.amdhsa_user_sgpr_queue_ptr 0
		.amdhsa_user_sgpr_kernarg_segment_ptr 1
		.amdhsa_user_sgpr_dispatch_id 0
		.amdhsa_user_sgpr_kernarg_preload_length 0
		.amdhsa_user_sgpr_kernarg_preload_offset 0
		.amdhsa_user_sgpr_private_segment_size 0
		.amdhsa_uses_dynamic_stack 0
		.amdhsa_enable_private_segment 0
		.amdhsa_system_sgpr_workgroup_id_x 1
		.amdhsa_system_sgpr_workgroup_id_y 0
		.amdhsa_system_sgpr_workgroup_id_z 0
		.amdhsa_system_sgpr_workgroup_info 0
		.amdhsa_system_vgpr_workitem_id 0
		.amdhsa_next_free_vgpr 12
		.amdhsa_next_free_sgpr 12
		.amdhsa_accum_offset 12
		.amdhsa_reserve_vcc 1
		.amdhsa_float_round_mode_32 0
		.amdhsa_float_round_mode_16_64 0
		.amdhsa_float_denorm_mode_32 3
		.amdhsa_float_denorm_mode_16_64 3
		.amdhsa_dx10_clamp 1
		.amdhsa_ieee_mode 1
		.amdhsa_fp16_overflow 0
		.amdhsa_tg_split 0
		.amdhsa_exception_fp_ieee_invalid_op 0
		.amdhsa_exception_fp_denorm_src 0
		.amdhsa_exception_fp_ieee_div_zero 0
		.amdhsa_exception_fp_ieee_overflow 0
		.amdhsa_exception_fp_ieee_underflow 0
		.amdhsa_exception_fp_ieee_inexact 0
		.amdhsa_exception_int_div_zero 0
	.end_amdhsa_kernel
	.section	.text._ZN9rocsparseL23sddmm_csx_sample_kernelILi512ELi1EL20rocsparse_direction_1EdlldEEvT4_S2_T3_PKT5_S2_PS4_PKS3_PKS2_21rocsparse_index_base_,"axG",@progbits,_ZN9rocsparseL23sddmm_csx_sample_kernelILi512ELi1EL20rocsparse_direction_1EdlldEEvT4_S2_T3_PKT5_S2_PS4_PKS3_PKS2_21rocsparse_index_base_,comdat
.Lfunc_end190:
	.size	_ZN9rocsparseL23sddmm_csx_sample_kernelILi512ELi1EL20rocsparse_direction_1EdlldEEvT4_S2_T3_PKT5_S2_PS4_PKS3_PKS2_21rocsparse_index_base_, .Lfunc_end190-_ZN9rocsparseL23sddmm_csx_sample_kernelILi512ELi1EL20rocsparse_direction_1EdlldEEvT4_S2_T3_PKT5_S2_PS4_PKS3_PKS2_21rocsparse_index_base_
                                        ; -- End function
	.set _ZN9rocsparseL23sddmm_csx_sample_kernelILi512ELi1EL20rocsparse_direction_1EdlldEEvT4_S2_T3_PKT5_S2_PS4_PKS3_PKS2_21rocsparse_index_base_.num_vgpr, 12
	.set _ZN9rocsparseL23sddmm_csx_sample_kernelILi512ELi1EL20rocsparse_direction_1EdlldEEvT4_S2_T3_PKT5_S2_PS4_PKS3_PKS2_21rocsparse_index_base_.num_agpr, 0
	.set _ZN9rocsparseL23sddmm_csx_sample_kernelILi512ELi1EL20rocsparse_direction_1EdlldEEvT4_S2_T3_PKT5_S2_PS4_PKS3_PKS2_21rocsparse_index_base_.numbered_sgpr, 12
	.set _ZN9rocsparseL23sddmm_csx_sample_kernelILi512ELi1EL20rocsparse_direction_1EdlldEEvT4_S2_T3_PKT5_S2_PS4_PKS3_PKS2_21rocsparse_index_base_.num_named_barrier, 0
	.set _ZN9rocsparseL23sddmm_csx_sample_kernelILi512ELi1EL20rocsparse_direction_1EdlldEEvT4_S2_T3_PKT5_S2_PS4_PKS3_PKS2_21rocsparse_index_base_.private_seg_size, 0
	.set _ZN9rocsparseL23sddmm_csx_sample_kernelILi512ELi1EL20rocsparse_direction_1EdlldEEvT4_S2_T3_PKT5_S2_PS4_PKS3_PKS2_21rocsparse_index_base_.uses_vcc, 1
	.set _ZN9rocsparseL23sddmm_csx_sample_kernelILi512ELi1EL20rocsparse_direction_1EdlldEEvT4_S2_T3_PKT5_S2_PS4_PKS3_PKS2_21rocsparse_index_base_.uses_flat_scratch, 0
	.set _ZN9rocsparseL23sddmm_csx_sample_kernelILi512ELi1EL20rocsparse_direction_1EdlldEEvT4_S2_T3_PKT5_S2_PS4_PKS3_PKS2_21rocsparse_index_base_.has_dyn_sized_stack, 0
	.set _ZN9rocsparseL23sddmm_csx_sample_kernelILi512ELi1EL20rocsparse_direction_1EdlldEEvT4_S2_T3_PKT5_S2_PS4_PKS3_PKS2_21rocsparse_index_base_.has_recursion, 0
	.set _ZN9rocsparseL23sddmm_csx_sample_kernelILi512ELi1EL20rocsparse_direction_1EdlldEEvT4_S2_T3_PKT5_S2_PS4_PKS3_PKS2_21rocsparse_index_base_.has_indirect_call, 0
	.section	.AMDGPU.csdata,"",@progbits
; Kernel info:
; codeLenInByte = 344
; TotalNumSgprs: 18
; NumVgprs: 12
; NumAgprs: 0
; TotalNumVgprs: 12
; ScratchSize: 0
; MemoryBound: 0
; FloatMode: 240
; IeeeMode: 1
; LDSByteSize: 0 bytes/workgroup (compile time only)
; SGPRBlocks: 2
; VGPRBlocks: 1
; NumSGPRsForWavesPerEU: 18
; NumVGPRsForWavesPerEU: 12
; AccumOffset: 12
; Occupancy: 8
; WaveLimiterHint : 1
; COMPUTE_PGM_RSRC2:SCRATCH_EN: 0
; COMPUTE_PGM_RSRC2:USER_SGPR: 2
; COMPUTE_PGM_RSRC2:TRAP_HANDLER: 0
; COMPUTE_PGM_RSRC2:TGID_X_EN: 1
; COMPUTE_PGM_RSRC2:TGID_Y_EN: 0
; COMPUTE_PGM_RSRC2:TGID_Z_EN: 0
; COMPUTE_PGM_RSRC2:TIDIG_COMP_CNT: 0
; COMPUTE_PGM_RSRC3_GFX90A:ACCUM_OFFSET: 2
; COMPUTE_PGM_RSRC3_GFX90A:TG_SPLIT: 0
	.section	.text._ZN9rocsparseL16sddmm_csx_kernelILi512ELi8EL20rocsparse_direction_0EdlldddEEv20rocsparse_operation_S2_16rocsparse_order_S3_T4_S4_S4_T3_NS_24const_host_device_scalarIT2_EEPKT5_lPKT6_lS8_PT7_PKS5_PKS4_21rocsparse_index_base_b,"axG",@progbits,_ZN9rocsparseL16sddmm_csx_kernelILi512ELi8EL20rocsparse_direction_0EdlldddEEv20rocsparse_operation_S2_16rocsparse_order_S3_T4_S4_S4_T3_NS_24const_host_device_scalarIT2_EEPKT5_lPKT6_lS8_PT7_PKS5_PKS4_21rocsparse_index_base_b,comdat
	.globl	_ZN9rocsparseL16sddmm_csx_kernelILi512ELi8EL20rocsparse_direction_0EdlldddEEv20rocsparse_operation_S2_16rocsparse_order_S3_T4_S4_S4_T3_NS_24const_host_device_scalarIT2_EEPKT5_lPKT6_lS8_PT7_PKS5_PKS4_21rocsparse_index_base_b ; -- Begin function _ZN9rocsparseL16sddmm_csx_kernelILi512ELi8EL20rocsparse_direction_0EdlldddEEv20rocsparse_operation_S2_16rocsparse_order_S3_T4_S4_S4_T3_NS_24const_host_device_scalarIT2_EEPKT5_lPKT6_lS8_PT7_PKS5_PKS4_21rocsparse_index_base_b
	.p2align	8
	.type	_ZN9rocsparseL16sddmm_csx_kernelILi512ELi8EL20rocsparse_direction_0EdlldddEEv20rocsparse_operation_S2_16rocsparse_order_S3_T4_S4_S4_T3_NS_24const_host_device_scalarIT2_EEPKT5_lPKT6_lS8_PT7_PKS5_PKS4_21rocsparse_index_base_b,@function
_ZN9rocsparseL16sddmm_csx_kernelILi512ELi8EL20rocsparse_direction_0EdlldddEEv20rocsparse_operation_S2_16rocsparse_order_S3_T4_S4_S4_T3_NS_24const_host_device_scalarIT2_EEPKT5_lPKT6_lS8_PT7_PKS5_PKS4_21rocsparse_index_base_b: ; @_ZN9rocsparseL16sddmm_csx_kernelILi512ELi8EL20rocsparse_direction_0EdlldddEEv20rocsparse_operation_S2_16rocsparse_order_S3_T4_S4_S4_T3_NS_24const_host_device_scalarIT2_EEPKT5_lPKT6_lS8_PT7_PKS5_PKS4_21rocsparse_index_base_b
; %bb.0:
	s_load_dwordx2 s[14:15], s[0:1], 0x78
	s_load_dwordx2 s[6:7], s[0:1], 0x30
	s_load_dwordx4 s[16:19], s[0:1], 0x50
	s_waitcnt lgkmcnt(0)
	s_bitcmp1_b32 s15, 0
	s_cselect_b64 s[8:9], -1, 0
	s_xor_b64 s[4:5], s[8:9], -1
	s_and_b64 vcc, exec, s[8:9]
	v_mov_b64_e32 v[6:7], s[6:7]
	s_cbranch_vccnz .LBB191_2
; %bb.1:
	v_mov_b64_e32 v[2:3], s[6:7]
	flat_load_dwordx2 v[6:7], v[2:3]
.LBB191_2:
	s_andn2_b64 vcc, exec, s[4:5]
	v_mov_b64_e32 v[8:9], s[18:19]
	s_cbranch_vccnz .LBB191_4
; %bb.3:
	v_mov_b64_e32 v[2:3], s[18:19]
	flat_load_dwordx2 v[8:9], v[2:3]
.LBB191_4:
	s_waitcnt vmcnt(0) lgkmcnt(0)
	v_cmp_neq_f64_e32 vcc, 0, v[6:7]
	v_cmp_neq_f64_e64 s[4:5], 1.0, v[8:9]
	s_or_b64 s[4:5], vcc, s[4:5]
	s_and_saveexec_b64 s[6:7], s[4:5]
	s_cbranch_execz .LBB191_36
; %bb.5:
	s_load_dwordx2 s[4:5], s[0:1], 0x10
	v_lshrrev_b32_e32 v10, 3, v0
	v_lshl_or_b32 v2, s2, 6, v10
	v_mov_b32_e32 v3, 0
	s_waitcnt lgkmcnt(0)
	v_cmp_gt_i64_e32 vcc, s[4:5], v[2:3]
	s_and_b64 exec, exec, vcc
	s_cbranch_execz .LBB191_36
; %bb.6:
	s_load_dwordx4 s[4:7], s[0:1], 0x0
	s_load_dwordx2 s[12:13], s[0:1], 0x68
	s_load_dwordx2 s[2:3], s[0:1], 0x40
	s_waitcnt lgkmcnt(0)
	s_cmp_eq_u32 s6, 1
	s_cselect_b64 s[8:9], -1, 0
	s_cmpk_eq_i32 s4, 0x6f
	s_cselect_b64 s[10:11], -1, 0
	s_cmpk_lg_i32 s4, 0x6f
	s_cselect_b64 s[18:19], -1, 0
	s_cmp_lg_u32 s6, 1
	s_cbranch_scc0 .LBB191_10
; %bb.7:
	s_andn2_b64 vcc, exec, s[10:11]
	v_mov_b64_e32 v[12:13], v[2:3]
	s_cbranch_vccnz .LBB191_9
; %bb.8:
	v_mad_u64_u32 v[12:13], s[20:21], s2, v2, 0
	v_mov_b32_e32 v4, v13
	v_mad_u64_u32 v[4:5], s[20:21], s3, v2, v[4:5]
	v_mov_b32_e32 v13, v4
.LBB191_9:
	s_cbranch_execz .LBB191_11
	s_branch .LBB191_13
.LBB191_10:
                                        ; implicit-def: $vgpr12_vgpr13
.LBB191_11:
	s_andn2_b64 vcc, exec, s[18:19]
	v_mov_b64_e32 v[12:13], v[2:3]
	s_cbranch_vccnz .LBB191_13
; %bb.12:
	v_mad_u64_u32 v[12:13], s[18:19], s2, v2, 0
	v_mov_b32_e32 v4, v13
	v_mad_u64_u32 v[4:5], s[18:19], s3, v2, v[4:5]
	v_mov_b32_e32 v13, v4
.LBB191_13:
	v_lshl_add_u64 v[2:3], v[2:3], 3, s[12:13]
	global_load_dwordx4 v[2:5], v[2:3], off
	s_waitcnt vmcnt(0)
	v_cmp_lt_i64_e32 vcc, v[2:3], v[4:5]
	s_and_b64 exec, exec, vcc
	s_cbranch_execz .LBB191_36
; %bb.14:
	s_xor_b64 s[8:9], s[10:11], s[8:9]
	s_and_b64 s[8:9], s[8:9], exec
	s_cselect_b32 s9, 0, s3
	s_cselect_b32 s8, 1, s2
	s_cmp_lg_u32 s7, 1
	s_cselect_b64 s[20:21], -1, 0
	s_cmp_eq_u32 s7, 1
	s_cselect_b64 s[2:3], -1, 0
	s_cmpk_eq_i32 s5, 0x6f
	s_cselect_b64 s[6:7], -1, 0
	s_cmpk_lg_i32 s5, 0x6f
	s_cselect_b64 s[10:11], -1, 0
	s_xor_b64 s[2:3], s[6:7], s[2:3]
	s_and_b64 s[2:3], s[2:3], exec
	s_cselect_b32 s12, s16, 1
	v_and_b32_e32 v0, 7, v0
	v_lshlrev_b32_e32 v22, 6, v10
	v_mad_u64_u32 v[10:11], s[30:31], s12, v0, 0
	s_cselect_b32 s13, s17, 0
	v_mov_b32_e32 v14, v11
	s_load_dwordx2 s[26:27], s[0:1], 0x48
	s_load_dwordx2 s[22:23], s[0:1], 0x60
	;; [unrolled: 1-line block ×4, first 2 shown]
	v_mad_u64_u32 v[14:15], s[30:31], s13, v0, v[14:15]
	v_mov_b32_e32 v11, v14
	s_waitcnt lgkmcnt(0)
	v_lshl_add_u64 v[10:11], v[10:11], 3, s[26:27]
	s_lshl_b64 s[26:27], s[12:13], 6
	v_mad_u64_u32 v[14:15], s[12:13], s8, v0, 0
	s_load_dwordx2 s[18:19], s[0:1], 0x70
	v_mov_b32_e32 v16, v15
	v_subrev_co_u32_e32 v2, vcc, s14, v2
	v_mad_u64_u32 v[16:17], s[12:13], s9, v0, v[16:17]
	s_nop 0
	v_subbrev_co_u32_e32 v3, vcc, 0, v3, vcc
	v_mov_b32_e32 v15, v16
	v_lshlrev_b64 v[12:13], 3, v[12:13]
	v_cndmask_b32_e64 v18, 0, 1, s[6:7]
	v_mov_b32_e32 v1, 0
	v_subrev_co_u32_e32 v4, vcc, s14, v4
	v_lshl_add_u64 v[12:13], v[14:15], 3, v[12:13]
	v_cndmask_b32_e64 v14, 0, 1, s[10:11]
	v_cmp_gt_i64_e64 s[0:1], s[24:25], v[0:1]
	v_lshl_or_b32 v23, v0, 3, v22
	v_cmp_eq_u32_e64 s[2:3], 0, v0
	v_cmp_gt_u32_e64 s[4:5], 4, v0
	v_cmp_gt_u32_e64 s[6:7], 2, v0
	v_subbrev_co_u32_e32 v5, vcc, 0, v5, vcc
	v_lshl_add_u64 v[12:13], s[28:29], 0, v[12:13]
	s_lshl_b64 s[28:29], s[8:9], 6
	s_mov_b64 s[30:31], 0
	v_cmp_ne_u32_e64 s[8:9], 1, v14
	v_cmp_ne_u32_e64 s[10:11], 1, v18
	s_branch .LBB191_16
.LBB191_15:                             ;   in Loop: Header=BB191_16 Depth=1
	s_or_b64 exec, exec, s[12:13]
	v_lshl_add_u64 v[2:3], v[2:3], 0, 1
	v_cmp_ge_i64_e32 vcc, v[2:3], v[4:5]
	s_or_b64 s[30:31], vcc, s[30:31]
	s_andn2_b64 exec, exec, s[30:31]
	s_cbranch_execz .LBB191_36
.LBB191_16:                             ; =>This Loop Header: Depth=1
                                        ;     Child Loop BB191_26 Depth 2
	s_waitcnt lgkmcnt(0)
	v_lshl_add_u64 v[14:15], v[2:3], 3, s[18:19]
	global_load_dwordx2 v[14:15], v[14:15], off
	s_mov_b64 s[34:35], -1
	s_and_b64 vcc, exec, s[20:21]
                                        ; implicit-def: $vgpr16_vgpr17
	s_waitcnt vmcnt(0)
	v_subrev_co_u32_e64 v14, s[12:13], s14, v14
	s_nop 1
	v_subbrev_co_u32_e64 v15, s[12:13], 0, v15, s[12:13]
	s_cbranch_vccnz .LBB191_19
; %bb.17:                               ;   in Loop: Header=BB191_16 Depth=1
	s_andn2_b64 vcc, exec, s[34:35]
	s_cbranch_vccz .LBB191_22
.LBB191_18:                             ;   in Loop: Header=BB191_16 Depth=1
	v_mov_b64_e32 v[14:15], 0
	s_and_saveexec_b64 s[12:13], s[0:1]
	s_cbranch_execnz .LBB191_25
	s_branch .LBB191_28
.LBB191_19:                             ;   in Loop: Header=BB191_16 Depth=1
	s_and_b64 vcc, exec, s[8:9]
	v_mov_b64_e32 v[16:17], v[14:15]
	s_cbranch_vccnz .LBB191_21
; %bb.20:                               ;   in Loop: Header=BB191_16 Depth=1
	v_mul_lo_u32 v18, v15, s16
	v_mul_lo_u32 v19, v14, s17
	v_mad_u64_u32 v[16:17], s[12:13], v14, s16, 0
	v_add3_u32 v17, v17, v19, v18
.LBB191_21:                             ;   in Loop: Header=BB191_16 Depth=1
	s_cbranch_execnz .LBB191_18
.LBB191_22:                             ;   in Loop: Header=BB191_16 Depth=1
	s_and_b64 vcc, exec, s[10:11]
	s_cbranch_vccnz .LBB191_24
; %bb.23:                               ;   in Loop: Header=BB191_16 Depth=1
	v_mul_lo_u32 v16, v15, s16
	v_mul_lo_u32 v17, v14, s17
	v_mad_u64_u32 v[14:15], s[12:13], v14, s16, 0
	v_add3_u32 v15, v15, v17, v16
.LBB191_24:                             ;   in Loop: Header=BB191_16 Depth=1
	v_mov_b64_e32 v[16:17], v[14:15]
	v_mov_b64_e32 v[14:15], 0
	s_and_saveexec_b64 s[12:13], s[0:1]
	s_cbranch_execz .LBB191_28
.LBB191_25:                             ;   in Loop: Header=BB191_16 Depth=1
	v_lshl_add_u64 v[16:17], v[16:17], 3, v[10:11]
	v_mov_b64_e32 v[14:15], 0
	s_mov_b64 s[34:35], 0
	v_mov_b64_e32 v[18:19], v[12:13]
	v_mov_b64_e32 v[20:21], v[0:1]
.LBB191_26:                             ;   Parent Loop BB191_16 Depth=1
                                        ; =>  This Inner Loop Header: Depth=2
	global_load_dwordx2 v[24:25], v[18:19], off
	global_load_dwordx2 v[26:27], v[16:17], off
	v_lshl_add_u64 v[20:21], v[20:21], 0, 8
	v_cmp_le_i64_e32 vcc, s[24:25], v[20:21]
	v_lshl_add_u64 v[16:17], v[16:17], 0, s[26:27]
	v_lshl_add_u64 v[18:19], v[18:19], 0, s[28:29]
	s_or_b64 s[34:35], vcc, s[34:35]
	s_waitcnt vmcnt(0)
	v_fmac_f64_e32 v[14:15], v[24:25], v[26:27]
	s_andn2_b64 exec, exec, s[34:35]
	s_cbranch_execnz .LBB191_26
; %bb.27:                               ;   in Loop: Header=BB191_16 Depth=1
	s_or_b64 exec, exec, s[34:35]
.LBB191_28:                             ;   in Loop: Header=BB191_16 Depth=1
	s_or_b64 exec, exec, s[12:13]
	ds_write_b64 v23, v[14:15]
	s_waitcnt lgkmcnt(0)
	s_barrier
	s_and_saveexec_b64 s[12:13], s[4:5]
	s_cbranch_execz .LBB191_30
; %bb.29:                               ;   in Loop: Header=BB191_16 Depth=1
	ds_read2_b64 v[14:17], v23 offset1:4
	s_waitcnt lgkmcnt(0)
	v_add_f64 v[14:15], v[16:17], v[14:15]
	ds_write_b64 v23, v[14:15]
.LBB191_30:                             ;   in Loop: Header=BB191_16 Depth=1
	s_or_b64 exec, exec, s[12:13]
	s_waitcnt lgkmcnt(0)
	s_barrier
	s_and_saveexec_b64 s[12:13], s[6:7]
	s_cbranch_execz .LBB191_32
; %bb.31:                               ;   in Loop: Header=BB191_16 Depth=1
	ds_read2_b64 v[14:17], v23 offset1:2
	s_waitcnt lgkmcnt(0)
	v_add_f64 v[14:15], v[16:17], v[14:15]
	ds_write_b64 v23, v[14:15]
.LBB191_32:                             ;   in Loop: Header=BB191_16 Depth=1
	s_or_b64 exec, exec, s[12:13]
	;; [unrolled: 11-line block ×3, first 2 shown]
	s_waitcnt lgkmcnt(0)
	s_barrier
	s_and_saveexec_b64 s[12:13], s[2:3]
	s_cbranch_execz .LBB191_15
; %bb.35:                               ;   in Loop: Header=BB191_16 Depth=1
	v_lshl_add_u64 v[14:15], v[2:3], 3, s[22:23]
	global_load_dwordx2 v[16:17], v[14:15], off
	ds_read_b64 v[18:19], v22
	s_waitcnt lgkmcnt(0)
	v_mul_f64 v[18:19], v[6:7], v[18:19]
	s_waitcnt vmcnt(0)
	v_fmac_f64_e32 v[18:19], v[8:9], v[16:17]
	global_store_dwordx2 v[14:15], v[18:19], off
	s_branch .LBB191_15
.LBB191_36:
	s_endpgm
	.section	.rodata,"a",@progbits
	.p2align	6, 0x0
	.amdhsa_kernel _ZN9rocsparseL16sddmm_csx_kernelILi512ELi8EL20rocsparse_direction_0EdlldddEEv20rocsparse_operation_S2_16rocsparse_order_S3_T4_S4_S4_T3_NS_24const_host_device_scalarIT2_EEPKT5_lPKT6_lS8_PT7_PKS5_PKS4_21rocsparse_index_base_b
		.amdhsa_group_segment_fixed_size 4096
		.amdhsa_private_segment_fixed_size 0
		.amdhsa_kernarg_size 128
		.amdhsa_user_sgpr_count 2
		.amdhsa_user_sgpr_dispatch_ptr 0
		.amdhsa_user_sgpr_queue_ptr 0
		.amdhsa_user_sgpr_kernarg_segment_ptr 1
		.amdhsa_user_sgpr_dispatch_id 0
		.amdhsa_user_sgpr_kernarg_preload_length 0
		.amdhsa_user_sgpr_kernarg_preload_offset 0
		.amdhsa_user_sgpr_private_segment_size 0
		.amdhsa_uses_dynamic_stack 0
		.amdhsa_enable_private_segment 0
		.amdhsa_system_sgpr_workgroup_id_x 1
		.amdhsa_system_sgpr_workgroup_id_y 0
		.amdhsa_system_sgpr_workgroup_id_z 0
		.amdhsa_system_sgpr_workgroup_info 0
		.amdhsa_system_vgpr_workitem_id 0
		.amdhsa_next_free_vgpr 28
		.amdhsa_next_free_sgpr 36
		.amdhsa_accum_offset 28
		.amdhsa_reserve_vcc 1
		.amdhsa_float_round_mode_32 0
		.amdhsa_float_round_mode_16_64 0
		.amdhsa_float_denorm_mode_32 3
		.amdhsa_float_denorm_mode_16_64 3
		.amdhsa_dx10_clamp 1
		.amdhsa_ieee_mode 1
		.amdhsa_fp16_overflow 0
		.amdhsa_tg_split 0
		.amdhsa_exception_fp_ieee_invalid_op 0
		.amdhsa_exception_fp_denorm_src 0
		.amdhsa_exception_fp_ieee_div_zero 0
		.amdhsa_exception_fp_ieee_overflow 0
		.amdhsa_exception_fp_ieee_underflow 0
		.amdhsa_exception_fp_ieee_inexact 0
		.amdhsa_exception_int_div_zero 0
	.end_amdhsa_kernel
	.section	.text._ZN9rocsparseL16sddmm_csx_kernelILi512ELi8EL20rocsparse_direction_0EdlldddEEv20rocsparse_operation_S2_16rocsparse_order_S3_T4_S4_S4_T3_NS_24const_host_device_scalarIT2_EEPKT5_lPKT6_lS8_PT7_PKS5_PKS4_21rocsparse_index_base_b,"axG",@progbits,_ZN9rocsparseL16sddmm_csx_kernelILi512ELi8EL20rocsparse_direction_0EdlldddEEv20rocsparse_operation_S2_16rocsparse_order_S3_T4_S4_S4_T3_NS_24const_host_device_scalarIT2_EEPKT5_lPKT6_lS8_PT7_PKS5_PKS4_21rocsparse_index_base_b,comdat
.Lfunc_end191:
	.size	_ZN9rocsparseL16sddmm_csx_kernelILi512ELi8EL20rocsparse_direction_0EdlldddEEv20rocsparse_operation_S2_16rocsparse_order_S3_T4_S4_S4_T3_NS_24const_host_device_scalarIT2_EEPKT5_lPKT6_lS8_PT7_PKS5_PKS4_21rocsparse_index_base_b, .Lfunc_end191-_ZN9rocsparseL16sddmm_csx_kernelILi512ELi8EL20rocsparse_direction_0EdlldddEEv20rocsparse_operation_S2_16rocsparse_order_S3_T4_S4_S4_T3_NS_24const_host_device_scalarIT2_EEPKT5_lPKT6_lS8_PT7_PKS5_PKS4_21rocsparse_index_base_b
                                        ; -- End function
	.set _ZN9rocsparseL16sddmm_csx_kernelILi512ELi8EL20rocsparse_direction_0EdlldddEEv20rocsparse_operation_S2_16rocsparse_order_S3_T4_S4_S4_T3_NS_24const_host_device_scalarIT2_EEPKT5_lPKT6_lS8_PT7_PKS5_PKS4_21rocsparse_index_base_b.num_vgpr, 28
	.set _ZN9rocsparseL16sddmm_csx_kernelILi512ELi8EL20rocsparse_direction_0EdlldddEEv20rocsparse_operation_S2_16rocsparse_order_S3_T4_S4_S4_T3_NS_24const_host_device_scalarIT2_EEPKT5_lPKT6_lS8_PT7_PKS5_PKS4_21rocsparse_index_base_b.num_agpr, 0
	.set _ZN9rocsparseL16sddmm_csx_kernelILi512ELi8EL20rocsparse_direction_0EdlldddEEv20rocsparse_operation_S2_16rocsparse_order_S3_T4_S4_S4_T3_NS_24const_host_device_scalarIT2_EEPKT5_lPKT6_lS8_PT7_PKS5_PKS4_21rocsparse_index_base_b.numbered_sgpr, 36
	.set _ZN9rocsparseL16sddmm_csx_kernelILi512ELi8EL20rocsparse_direction_0EdlldddEEv20rocsparse_operation_S2_16rocsparse_order_S3_T4_S4_S4_T3_NS_24const_host_device_scalarIT2_EEPKT5_lPKT6_lS8_PT7_PKS5_PKS4_21rocsparse_index_base_b.num_named_barrier, 0
	.set _ZN9rocsparseL16sddmm_csx_kernelILi512ELi8EL20rocsparse_direction_0EdlldddEEv20rocsparse_operation_S2_16rocsparse_order_S3_T4_S4_S4_T3_NS_24const_host_device_scalarIT2_EEPKT5_lPKT6_lS8_PT7_PKS5_PKS4_21rocsparse_index_base_b.private_seg_size, 0
	.set _ZN9rocsparseL16sddmm_csx_kernelILi512ELi8EL20rocsparse_direction_0EdlldddEEv20rocsparse_operation_S2_16rocsparse_order_S3_T4_S4_S4_T3_NS_24const_host_device_scalarIT2_EEPKT5_lPKT6_lS8_PT7_PKS5_PKS4_21rocsparse_index_base_b.uses_vcc, 1
	.set _ZN9rocsparseL16sddmm_csx_kernelILi512ELi8EL20rocsparse_direction_0EdlldddEEv20rocsparse_operation_S2_16rocsparse_order_S3_T4_S4_S4_T3_NS_24const_host_device_scalarIT2_EEPKT5_lPKT6_lS8_PT7_PKS5_PKS4_21rocsparse_index_base_b.uses_flat_scratch, 0
	.set _ZN9rocsparseL16sddmm_csx_kernelILi512ELi8EL20rocsparse_direction_0EdlldddEEv20rocsparse_operation_S2_16rocsparse_order_S3_T4_S4_S4_T3_NS_24const_host_device_scalarIT2_EEPKT5_lPKT6_lS8_PT7_PKS5_PKS4_21rocsparse_index_base_b.has_dyn_sized_stack, 0
	.set _ZN9rocsparseL16sddmm_csx_kernelILi512ELi8EL20rocsparse_direction_0EdlldddEEv20rocsparse_operation_S2_16rocsparse_order_S3_T4_S4_S4_T3_NS_24const_host_device_scalarIT2_EEPKT5_lPKT6_lS8_PT7_PKS5_PKS4_21rocsparse_index_base_b.has_recursion, 0
	.set _ZN9rocsparseL16sddmm_csx_kernelILi512ELi8EL20rocsparse_direction_0EdlldddEEv20rocsparse_operation_S2_16rocsparse_order_S3_T4_S4_S4_T3_NS_24const_host_device_scalarIT2_EEPKT5_lPKT6_lS8_PT7_PKS5_PKS4_21rocsparse_index_base_b.has_indirect_call, 0
	.section	.AMDGPU.csdata,"",@progbits
; Kernel info:
; codeLenInByte = 1172
; TotalNumSgprs: 42
; NumVgprs: 28
; NumAgprs: 0
; TotalNumVgprs: 28
; ScratchSize: 0
; MemoryBound: 0
; FloatMode: 240
; IeeeMode: 1
; LDSByteSize: 4096 bytes/workgroup (compile time only)
; SGPRBlocks: 5
; VGPRBlocks: 3
; NumSGPRsForWavesPerEU: 42
; NumVGPRsForWavesPerEU: 28
; AccumOffset: 28
; Occupancy: 8
; WaveLimiterHint : 1
; COMPUTE_PGM_RSRC2:SCRATCH_EN: 0
; COMPUTE_PGM_RSRC2:USER_SGPR: 2
; COMPUTE_PGM_RSRC2:TRAP_HANDLER: 0
; COMPUTE_PGM_RSRC2:TGID_X_EN: 1
; COMPUTE_PGM_RSRC2:TGID_Y_EN: 0
; COMPUTE_PGM_RSRC2:TGID_Z_EN: 0
; COMPUTE_PGM_RSRC2:TIDIG_COMP_CNT: 0
; COMPUTE_PGM_RSRC3_GFX90A:ACCUM_OFFSET: 6
; COMPUTE_PGM_RSRC3_GFX90A:TG_SPLIT: 0
	.section	.text._ZN9rocsparseL16sddmm_csx_kernelILi512ELi4EL20rocsparse_direction_0EdlldddEEv20rocsparse_operation_S2_16rocsparse_order_S3_T4_S4_S4_T3_NS_24const_host_device_scalarIT2_EEPKT5_lPKT6_lS8_PT7_PKS5_PKS4_21rocsparse_index_base_b,"axG",@progbits,_ZN9rocsparseL16sddmm_csx_kernelILi512ELi4EL20rocsparse_direction_0EdlldddEEv20rocsparse_operation_S2_16rocsparse_order_S3_T4_S4_S4_T3_NS_24const_host_device_scalarIT2_EEPKT5_lPKT6_lS8_PT7_PKS5_PKS4_21rocsparse_index_base_b,comdat
	.globl	_ZN9rocsparseL16sddmm_csx_kernelILi512ELi4EL20rocsparse_direction_0EdlldddEEv20rocsparse_operation_S2_16rocsparse_order_S3_T4_S4_S4_T3_NS_24const_host_device_scalarIT2_EEPKT5_lPKT6_lS8_PT7_PKS5_PKS4_21rocsparse_index_base_b ; -- Begin function _ZN9rocsparseL16sddmm_csx_kernelILi512ELi4EL20rocsparse_direction_0EdlldddEEv20rocsparse_operation_S2_16rocsparse_order_S3_T4_S4_S4_T3_NS_24const_host_device_scalarIT2_EEPKT5_lPKT6_lS8_PT7_PKS5_PKS4_21rocsparse_index_base_b
	.p2align	8
	.type	_ZN9rocsparseL16sddmm_csx_kernelILi512ELi4EL20rocsparse_direction_0EdlldddEEv20rocsparse_operation_S2_16rocsparse_order_S3_T4_S4_S4_T3_NS_24const_host_device_scalarIT2_EEPKT5_lPKT6_lS8_PT7_PKS5_PKS4_21rocsparse_index_base_b,@function
_ZN9rocsparseL16sddmm_csx_kernelILi512ELi4EL20rocsparse_direction_0EdlldddEEv20rocsparse_operation_S2_16rocsparse_order_S3_T4_S4_S4_T3_NS_24const_host_device_scalarIT2_EEPKT5_lPKT6_lS8_PT7_PKS5_PKS4_21rocsparse_index_base_b: ; @_ZN9rocsparseL16sddmm_csx_kernelILi512ELi4EL20rocsparse_direction_0EdlldddEEv20rocsparse_operation_S2_16rocsparse_order_S3_T4_S4_S4_T3_NS_24const_host_device_scalarIT2_EEPKT5_lPKT6_lS8_PT7_PKS5_PKS4_21rocsparse_index_base_b
; %bb.0:
	s_load_dwordx2 s[16:17], s[0:1], 0x78
	s_load_dwordx2 s[6:7], s[0:1], 0x30
	s_load_dwordx4 s[12:15], s[0:1], 0x50
	s_waitcnt lgkmcnt(0)
	s_bitcmp1_b32 s17, 0
	s_cselect_b64 s[8:9], -1, 0
	s_xor_b64 s[4:5], s[8:9], -1
	s_and_b64 vcc, exec, s[8:9]
	v_mov_b64_e32 v[6:7], s[6:7]
	s_cbranch_vccnz .LBB192_2
; %bb.1:
	v_mov_b64_e32 v[2:3], s[6:7]
	flat_load_dwordx2 v[6:7], v[2:3]
.LBB192_2:
	s_andn2_b64 vcc, exec, s[4:5]
	v_mov_b64_e32 v[8:9], s[14:15]
	s_cbranch_vccnz .LBB192_4
; %bb.3:
	v_mov_b64_e32 v[2:3], s[14:15]
	flat_load_dwordx2 v[8:9], v[2:3]
.LBB192_4:
	s_waitcnt vmcnt(0) lgkmcnt(0)
	v_cmp_neq_f64_e32 vcc, 0, v[6:7]
	v_cmp_neq_f64_e64 s[4:5], 1.0, v[8:9]
	s_or_b64 s[4:5], vcc, s[4:5]
	s_and_saveexec_b64 s[6:7], s[4:5]
	s_cbranch_execz .LBB192_34
; %bb.5:
	s_load_dwordx2 s[4:5], s[0:1], 0x10
	v_lshrrev_b32_e32 v10, 2, v0
	v_lshl_or_b32 v2, s2, 7, v10
	v_mov_b32_e32 v3, 0
	s_waitcnt lgkmcnt(0)
	v_cmp_gt_i64_e32 vcc, s[4:5], v[2:3]
	s_and_b64 exec, exec, vcc
	s_cbranch_execz .LBB192_34
; %bb.6:
	s_load_dwordx4 s[4:7], s[0:1], 0x0
	s_load_dwordx2 s[14:15], s[0:1], 0x68
	s_load_dwordx2 s[2:3], s[0:1], 0x40
	s_waitcnt lgkmcnt(0)
	s_cmp_eq_u32 s6, 1
	s_cselect_b64 s[8:9], -1, 0
	s_cmpk_eq_i32 s4, 0x6f
	s_cselect_b64 s[10:11], -1, 0
	s_cmpk_lg_i32 s4, 0x6f
	s_cselect_b64 s[18:19], -1, 0
	s_cmp_lg_u32 s6, 1
	s_cbranch_scc0 .LBB192_10
; %bb.7:
	s_andn2_b64 vcc, exec, s[10:11]
	v_mov_b64_e32 v[12:13], v[2:3]
	s_cbranch_vccnz .LBB192_9
; %bb.8:
	v_mad_u64_u32 v[12:13], s[20:21], s2, v2, 0
	v_mov_b32_e32 v4, v13
	v_mad_u64_u32 v[4:5], s[20:21], s3, v2, v[4:5]
	v_mov_b32_e32 v13, v4
.LBB192_9:
	s_cbranch_execz .LBB192_11
	s_branch .LBB192_13
.LBB192_10:
                                        ; implicit-def: $vgpr12_vgpr13
.LBB192_11:
	s_andn2_b64 vcc, exec, s[18:19]
	v_mov_b64_e32 v[12:13], v[2:3]
	s_cbranch_vccnz .LBB192_13
; %bb.12:
	v_mad_u64_u32 v[12:13], s[18:19], s2, v2, 0
	v_mov_b32_e32 v4, v13
	v_mad_u64_u32 v[4:5], s[18:19], s3, v2, v[4:5]
	v_mov_b32_e32 v13, v4
.LBB192_13:
	v_lshl_add_u64 v[2:3], v[2:3], 3, s[14:15]
	global_load_dwordx4 v[2:5], v[2:3], off
	s_waitcnt vmcnt(0)
	v_cmp_lt_i64_e32 vcc, v[2:3], v[4:5]
	s_and_b64 exec, exec, vcc
	s_cbranch_execz .LBB192_34
; %bb.14:
	s_xor_b64 s[8:9], s[10:11], s[8:9]
	s_and_b64 s[8:9], s[8:9], exec
	s_cselect_b32 s9, 0, s3
	s_cselect_b32 s8, 1, s2
	s_cmp_lg_u32 s7, 1
	s_cselect_b64 s[18:19], -1, 0
	s_cmp_eq_u32 s7, 1
	s_cselect_b64 s[2:3], -1, 0
	s_cmpk_eq_i32 s5, 0x6f
	s_cselect_b64 s[6:7], -1, 0
	s_cmpk_lg_i32 s5, 0x6f
	s_cselect_b64 s[10:11], -1, 0
	s_xor_b64 s[2:3], s[6:7], s[2:3]
	s_and_b64 s[2:3], s[2:3], exec
	v_cndmask_b32_e64 v18, 0, 1, s[6:7]
	s_cselect_b32 s6, s12, 1
	v_and_b32_e32 v0, 3, v0
	v_lshlrev_b32_e32 v22, 5, v10
	v_mad_u64_u32 v[10:11], s[28:29], s6, v0, 0
	s_cselect_b32 s7, s13, 0
	v_mov_b32_e32 v14, v11
	s_load_dwordx2 s[24:25], s[0:1], 0x48
	s_load_dwordx2 s[20:21], s[0:1], 0x60
	;; [unrolled: 1-line block ×4, first 2 shown]
	v_mad_u64_u32 v[14:15], s[28:29], s7, v0, v[14:15]
	v_mov_b32_e32 v11, v14
	s_waitcnt lgkmcnt(0)
	v_lshl_add_u64 v[10:11], v[10:11], 3, s[24:25]
	s_lshl_b64 s[24:25], s[6:7], 5
	v_mad_u64_u32 v[14:15], s[6:7], s8, v0, 0
	s_load_dwordx2 s[14:15], s[0:1], 0x70
	v_mov_b32_e32 v16, v15
	v_subrev_co_u32_e32 v2, vcc, s16, v2
	v_mad_u64_u32 v[16:17], s[6:7], s9, v0, v[16:17]
	s_nop 0
	v_subbrev_co_u32_e32 v3, vcc, 0, v3, vcc
	v_mov_b32_e32 v15, v16
	v_lshlrev_b64 v[12:13], 3, v[12:13]
	v_mov_b32_e32 v1, 0
	v_subrev_co_u32_e32 v4, vcc, s16, v4
	v_lshl_add_u64 v[12:13], v[14:15], 3, v[12:13]
	v_cndmask_b32_e64 v14, 0, 1, s[10:11]
	v_cmp_gt_i64_e64 s[0:1], s[22:23], v[0:1]
	v_lshl_or_b32 v23, v0, 3, v22
	v_cmp_eq_u32_e64 s[2:3], 0, v0
	v_cmp_gt_u32_e64 s[4:5], 2, v0
	v_subbrev_co_u32_e32 v5, vcc, 0, v5, vcc
	v_lshl_add_u64 v[12:13], s[26:27], 0, v[12:13]
	s_lshl_b64 s[26:27], s[8:9], 5
	s_mov_b64 s[28:29], 0
	v_cmp_ne_u32_e64 s[6:7], 1, v14
	v_cmp_ne_u32_e64 s[8:9], 1, v18
	s_branch .LBB192_16
.LBB192_15:                             ;   in Loop: Header=BB192_16 Depth=1
	s_or_b64 exec, exec, s[10:11]
	v_lshl_add_u64 v[2:3], v[2:3], 0, 1
	v_cmp_ge_i64_e32 vcc, v[2:3], v[4:5]
	s_or_b64 s[28:29], vcc, s[28:29]
	s_andn2_b64 exec, exec, s[28:29]
	s_cbranch_execz .LBB192_34
.LBB192_16:                             ; =>This Loop Header: Depth=1
                                        ;     Child Loop BB192_26 Depth 2
	s_waitcnt lgkmcnt(0)
	v_lshl_add_u64 v[14:15], v[2:3], 3, s[14:15]
	global_load_dwordx2 v[14:15], v[14:15], off
	s_mov_b64 s[30:31], -1
	s_and_b64 vcc, exec, s[18:19]
                                        ; implicit-def: $vgpr16_vgpr17
	s_waitcnt vmcnt(0)
	v_subrev_co_u32_e64 v14, s[10:11], s16, v14
	s_nop 1
	v_subbrev_co_u32_e64 v15, s[10:11], 0, v15, s[10:11]
	s_cbranch_vccnz .LBB192_19
; %bb.17:                               ;   in Loop: Header=BB192_16 Depth=1
	s_andn2_b64 vcc, exec, s[30:31]
	s_cbranch_vccz .LBB192_22
.LBB192_18:                             ;   in Loop: Header=BB192_16 Depth=1
	v_mov_b64_e32 v[14:15], 0
	s_and_saveexec_b64 s[10:11], s[0:1]
	s_cbranch_execnz .LBB192_25
	s_branch .LBB192_28
.LBB192_19:                             ;   in Loop: Header=BB192_16 Depth=1
	s_and_b64 vcc, exec, s[6:7]
	v_mov_b64_e32 v[16:17], v[14:15]
	s_cbranch_vccnz .LBB192_21
; %bb.20:                               ;   in Loop: Header=BB192_16 Depth=1
	v_mul_lo_u32 v18, v15, s12
	v_mul_lo_u32 v19, v14, s13
	v_mad_u64_u32 v[16:17], s[10:11], v14, s12, 0
	v_add3_u32 v17, v17, v19, v18
.LBB192_21:                             ;   in Loop: Header=BB192_16 Depth=1
	s_cbranch_execnz .LBB192_18
.LBB192_22:                             ;   in Loop: Header=BB192_16 Depth=1
	s_and_b64 vcc, exec, s[8:9]
	s_cbranch_vccnz .LBB192_24
; %bb.23:                               ;   in Loop: Header=BB192_16 Depth=1
	v_mul_lo_u32 v16, v15, s12
	v_mul_lo_u32 v17, v14, s13
	v_mad_u64_u32 v[14:15], s[10:11], v14, s12, 0
	v_add3_u32 v15, v15, v17, v16
.LBB192_24:                             ;   in Loop: Header=BB192_16 Depth=1
	v_mov_b64_e32 v[16:17], v[14:15]
	v_mov_b64_e32 v[14:15], 0
	s_and_saveexec_b64 s[10:11], s[0:1]
	s_cbranch_execz .LBB192_28
.LBB192_25:                             ;   in Loop: Header=BB192_16 Depth=1
	v_lshl_add_u64 v[16:17], v[16:17], 3, v[10:11]
	v_mov_b64_e32 v[14:15], 0
	s_mov_b64 s[30:31], 0
	v_mov_b64_e32 v[18:19], v[12:13]
	v_mov_b64_e32 v[20:21], v[0:1]
.LBB192_26:                             ;   Parent Loop BB192_16 Depth=1
                                        ; =>  This Inner Loop Header: Depth=2
	global_load_dwordx2 v[24:25], v[18:19], off
	global_load_dwordx2 v[26:27], v[16:17], off
	v_lshl_add_u64 v[20:21], v[20:21], 0, 4
	v_cmp_le_i64_e32 vcc, s[22:23], v[20:21]
	v_lshl_add_u64 v[16:17], v[16:17], 0, s[24:25]
	v_lshl_add_u64 v[18:19], v[18:19], 0, s[26:27]
	s_or_b64 s[30:31], vcc, s[30:31]
	s_waitcnt vmcnt(0)
	v_fmac_f64_e32 v[14:15], v[24:25], v[26:27]
	s_andn2_b64 exec, exec, s[30:31]
	s_cbranch_execnz .LBB192_26
; %bb.27:                               ;   in Loop: Header=BB192_16 Depth=1
	s_or_b64 exec, exec, s[30:31]
.LBB192_28:                             ;   in Loop: Header=BB192_16 Depth=1
	s_or_b64 exec, exec, s[10:11]
	ds_write_b64 v23, v[14:15]
	s_waitcnt lgkmcnt(0)
	s_barrier
	s_and_saveexec_b64 s[10:11], s[4:5]
	s_cbranch_execz .LBB192_30
; %bb.29:                               ;   in Loop: Header=BB192_16 Depth=1
	ds_read2_b64 v[14:17], v23 offset1:2
	s_waitcnt lgkmcnt(0)
	v_add_f64 v[14:15], v[16:17], v[14:15]
	ds_write_b64 v23, v[14:15]
.LBB192_30:                             ;   in Loop: Header=BB192_16 Depth=1
	s_or_b64 exec, exec, s[10:11]
	s_waitcnt lgkmcnt(0)
	s_barrier
	s_and_saveexec_b64 s[10:11], s[2:3]
	s_cbranch_execz .LBB192_32
; %bb.31:                               ;   in Loop: Header=BB192_16 Depth=1
	ds_read2_b64 v[14:17], v23 offset1:1
	s_waitcnt lgkmcnt(0)
	v_add_f64 v[14:15], v[16:17], v[14:15]
	ds_write_b64 v23, v[14:15]
.LBB192_32:                             ;   in Loop: Header=BB192_16 Depth=1
	s_or_b64 exec, exec, s[10:11]
	s_waitcnt lgkmcnt(0)
	s_barrier
	s_and_saveexec_b64 s[10:11], s[2:3]
	s_cbranch_execz .LBB192_15
; %bb.33:                               ;   in Loop: Header=BB192_16 Depth=1
	v_lshl_add_u64 v[14:15], v[2:3], 3, s[20:21]
	global_load_dwordx2 v[16:17], v[14:15], off
	ds_read_b64 v[18:19], v22
	s_waitcnt lgkmcnt(0)
	v_mul_f64 v[18:19], v[6:7], v[18:19]
	s_waitcnt vmcnt(0)
	v_fmac_f64_e32 v[18:19], v[8:9], v[16:17]
	global_store_dwordx2 v[14:15], v[18:19], off
	s_branch .LBB192_15
.LBB192_34:
	s_endpgm
	.section	.rodata,"a",@progbits
	.p2align	6, 0x0
	.amdhsa_kernel _ZN9rocsparseL16sddmm_csx_kernelILi512ELi4EL20rocsparse_direction_0EdlldddEEv20rocsparse_operation_S2_16rocsparse_order_S3_T4_S4_S4_T3_NS_24const_host_device_scalarIT2_EEPKT5_lPKT6_lS8_PT7_PKS5_PKS4_21rocsparse_index_base_b
		.amdhsa_group_segment_fixed_size 4096
		.amdhsa_private_segment_fixed_size 0
		.amdhsa_kernarg_size 128
		.amdhsa_user_sgpr_count 2
		.amdhsa_user_sgpr_dispatch_ptr 0
		.amdhsa_user_sgpr_queue_ptr 0
		.amdhsa_user_sgpr_kernarg_segment_ptr 1
		.amdhsa_user_sgpr_dispatch_id 0
		.amdhsa_user_sgpr_kernarg_preload_length 0
		.amdhsa_user_sgpr_kernarg_preload_offset 0
		.amdhsa_user_sgpr_private_segment_size 0
		.amdhsa_uses_dynamic_stack 0
		.amdhsa_enable_private_segment 0
		.amdhsa_system_sgpr_workgroup_id_x 1
		.amdhsa_system_sgpr_workgroup_id_y 0
		.amdhsa_system_sgpr_workgroup_id_z 0
		.amdhsa_system_sgpr_workgroup_info 0
		.amdhsa_system_vgpr_workitem_id 0
		.amdhsa_next_free_vgpr 28
		.amdhsa_next_free_sgpr 32
		.amdhsa_accum_offset 28
		.amdhsa_reserve_vcc 1
		.amdhsa_float_round_mode_32 0
		.amdhsa_float_round_mode_16_64 0
		.amdhsa_float_denorm_mode_32 3
		.amdhsa_float_denorm_mode_16_64 3
		.amdhsa_dx10_clamp 1
		.amdhsa_ieee_mode 1
		.amdhsa_fp16_overflow 0
		.amdhsa_tg_split 0
		.amdhsa_exception_fp_ieee_invalid_op 0
		.amdhsa_exception_fp_denorm_src 0
		.amdhsa_exception_fp_ieee_div_zero 0
		.amdhsa_exception_fp_ieee_overflow 0
		.amdhsa_exception_fp_ieee_underflow 0
		.amdhsa_exception_fp_ieee_inexact 0
		.amdhsa_exception_int_div_zero 0
	.end_amdhsa_kernel
	.section	.text._ZN9rocsparseL16sddmm_csx_kernelILi512ELi4EL20rocsparse_direction_0EdlldddEEv20rocsparse_operation_S2_16rocsparse_order_S3_T4_S4_S4_T3_NS_24const_host_device_scalarIT2_EEPKT5_lPKT6_lS8_PT7_PKS5_PKS4_21rocsparse_index_base_b,"axG",@progbits,_ZN9rocsparseL16sddmm_csx_kernelILi512ELi4EL20rocsparse_direction_0EdlldddEEv20rocsparse_operation_S2_16rocsparse_order_S3_T4_S4_S4_T3_NS_24const_host_device_scalarIT2_EEPKT5_lPKT6_lS8_PT7_PKS5_PKS4_21rocsparse_index_base_b,comdat
.Lfunc_end192:
	.size	_ZN9rocsparseL16sddmm_csx_kernelILi512ELi4EL20rocsparse_direction_0EdlldddEEv20rocsparse_operation_S2_16rocsparse_order_S3_T4_S4_S4_T3_NS_24const_host_device_scalarIT2_EEPKT5_lPKT6_lS8_PT7_PKS5_PKS4_21rocsparse_index_base_b, .Lfunc_end192-_ZN9rocsparseL16sddmm_csx_kernelILi512ELi4EL20rocsparse_direction_0EdlldddEEv20rocsparse_operation_S2_16rocsparse_order_S3_T4_S4_S4_T3_NS_24const_host_device_scalarIT2_EEPKT5_lPKT6_lS8_PT7_PKS5_PKS4_21rocsparse_index_base_b
                                        ; -- End function
	.set _ZN9rocsparseL16sddmm_csx_kernelILi512ELi4EL20rocsparse_direction_0EdlldddEEv20rocsparse_operation_S2_16rocsparse_order_S3_T4_S4_S4_T3_NS_24const_host_device_scalarIT2_EEPKT5_lPKT6_lS8_PT7_PKS5_PKS4_21rocsparse_index_base_b.num_vgpr, 28
	.set _ZN9rocsparseL16sddmm_csx_kernelILi512ELi4EL20rocsparse_direction_0EdlldddEEv20rocsparse_operation_S2_16rocsparse_order_S3_T4_S4_S4_T3_NS_24const_host_device_scalarIT2_EEPKT5_lPKT6_lS8_PT7_PKS5_PKS4_21rocsparse_index_base_b.num_agpr, 0
	.set _ZN9rocsparseL16sddmm_csx_kernelILi512ELi4EL20rocsparse_direction_0EdlldddEEv20rocsparse_operation_S2_16rocsparse_order_S3_T4_S4_S4_T3_NS_24const_host_device_scalarIT2_EEPKT5_lPKT6_lS8_PT7_PKS5_PKS4_21rocsparse_index_base_b.numbered_sgpr, 32
	.set _ZN9rocsparseL16sddmm_csx_kernelILi512ELi4EL20rocsparse_direction_0EdlldddEEv20rocsparse_operation_S2_16rocsparse_order_S3_T4_S4_S4_T3_NS_24const_host_device_scalarIT2_EEPKT5_lPKT6_lS8_PT7_PKS5_PKS4_21rocsparse_index_base_b.num_named_barrier, 0
	.set _ZN9rocsparseL16sddmm_csx_kernelILi512ELi4EL20rocsparse_direction_0EdlldddEEv20rocsparse_operation_S2_16rocsparse_order_S3_T4_S4_S4_T3_NS_24const_host_device_scalarIT2_EEPKT5_lPKT6_lS8_PT7_PKS5_PKS4_21rocsparse_index_base_b.private_seg_size, 0
	.set _ZN9rocsparseL16sddmm_csx_kernelILi512ELi4EL20rocsparse_direction_0EdlldddEEv20rocsparse_operation_S2_16rocsparse_order_S3_T4_S4_S4_T3_NS_24const_host_device_scalarIT2_EEPKT5_lPKT6_lS8_PT7_PKS5_PKS4_21rocsparse_index_base_b.uses_vcc, 1
	.set _ZN9rocsparseL16sddmm_csx_kernelILi512ELi4EL20rocsparse_direction_0EdlldddEEv20rocsparse_operation_S2_16rocsparse_order_S3_T4_S4_S4_T3_NS_24const_host_device_scalarIT2_EEPKT5_lPKT6_lS8_PT7_PKS5_PKS4_21rocsparse_index_base_b.uses_flat_scratch, 0
	.set _ZN9rocsparseL16sddmm_csx_kernelILi512ELi4EL20rocsparse_direction_0EdlldddEEv20rocsparse_operation_S2_16rocsparse_order_S3_T4_S4_S4_T3_NS_24const_host_device_scalarIT2_EEPKT5_lPKT6_lS8_PT7_PKS5_PKS4_21rocsparse_index_base_b.has_dyn_sized_stack, 0
	.set _ZN9rocsparseL16sddmm_csx_kernelILi512ELi4EL20rocsparse_direction_0EdlldddEEv20rocsparse_operation_S2_16rocsparse_order_S3_T4_S4_S4_T3_NS_24const_host_device_scalarIT2_EEPKT5_lPKT6_lS8_PT7_PKS5_PKS4_21rocsparse_index_base_b.has_recursion, 0
	.set _ZN9rocsparseL16sddmm_csx_kernelILi512ELi4EL20rocsparse_direction_0EdlldddEEv20rocsparse_operation_S2_16rocsparse_order_S3_T4_S4_S4_T3_NS_24const_host_device_scalarIT2_EEPKT5_lPKT6_lS8_PT7_PKS5_PKS4_21rocsparse_index_base_b.has_indirect_call, 0
	.section	.AMDGPU.csdata,"",@progbits
; Kernel info:
; codeLenInByte = 1116
; TotalNumSgprs: 38
; NumVgprs: 28
; NumAgprs: 0
; TotalNumVgprs: 28
; ScratchSize: 0
; MemoryBound: 0
; FloatMode: 240
; IeeeMode: 1
; LDSByteSize: 4096 bytes/workgroup (compile time only)
; SGPRBlocks: 4
; VGPRBlocks: 3
; NumSGPRsForWavesPerEU: 38
; NumVGPRsForWavesPerEU: 28
; AccumOffset: 28
; Occupancy: 8
; WaveLimiterHint : 1
; COMPUTE_PGM_RSRC2:SCRATCH_EN: 0
; COMPUTE_PGM_RSRC2:USER_SGPR: 2
; COMPUTE_PGM_RSRC2:TRAP_HANDLER: 0
; COMPUTE_PGM_RSRC2:TGID_X_EN: 1
; COMPUTE_PGM_RSRC2:TGID_Y_EN: 0
; COMPUTE_PGM_RSRC2:TGID_Z_EN: 0
; COMPUTE_PGM_RSRC2:TIDIG_COMP_CNT: 0
; COMPUTE_PGM_RSRC3_GFX90A:ACCUM_OFFSET: 6
; COMPUTE_PGM_RSRC3_GFX90A:TG_SPLIT: 0
	.section	.text._ZN9rocsparseL16sddmm_csx_kernelILi512ELi2EL20rocsparse_direction_0EdlldddEEv20rocsparse_operation_S2_16rocsparse_order_S3_T4_S4_S4_T3_NS_24const_host_device_scalarIT2_EEPKT5_lPKT6_lS8_PT7_PKS5_PKS4_21rocsparse_index_base_b,"axG",@progbits,_ZN9rocsparseL16sddmm_csx_kernelILi512ELi2EL20rocsparse_direction_0EdlldddEEv20rocsparse_operation_S2_16rocsparse_order_S3_T4_S4_S4_T3_NS_24const_host_device_scalarIT2_EEPKT5_lPKT6_lS8_PT7_PKS5_PKS4_21rocsparse_index_base_b,comdat
	.globl	_ZN9rocsparseL16sddmm_csx_kernelILi512ELi2EL20rocsparse_direction_0EdlldddEEv20rocsparse_operation_S2_16rocsparse_order_S3_T4_S4_S4_T3_NS_24const_host_device_scalarIT2_EEPKT5_lPKT6_lS8_PT7_PKS5_PKS4_21rocsparse_index_base_b ; -- Begin function _ZN9rocsparseL16sddmm_csx_kernelILi512ELi2EL20rocsparse_direction_0EdlldddEEv20rocsparse_operation_S2_16rocsparse_order_S3_T4_S4_S4_T3_NS_24const_host_device_scalarIT2_EEPKT5_lPKT6_lS8_PT7_PKS5_PKS4_21rocsparse_index_base_b
	.p2align	8
	.type	_ZN9rocsparseL16sddmm_csx_kernelILi512ELi2EL20rocsparse_direction_0EdlldddEEv20rocsparse_operation_S2_16rocsparse_order_S3_T4_S4_S4_T3_NS_24const_host_device_scalarIT2_EEPKT5_lPKT6_lS8_PT7_PKS5_PKS4_21rocsparse_index_base_b,@function
_ZN9rocsparseL16sddmm_csx_kernelILi512ELi2EL20rocsparse_direction_0EdlldddEEv20rocsparse_operation_S2_16rocsparse_order_S3_T4_S4_S4_T3_NS_24const_host_device_scalarIT2_EEPKT5_lPKT6_lS8_PT7_PKS5_PKS4_21rocsparse_index_base_b: ; @_ZN9rocsparseL16sddmm_csx_kernelILi512ELi2EL20rocsparse_direction_0EdlldddEEv20rocsparse_operation_S2_16rocsparse_order_S3_T4_S4_S4_T3_NS_24const_host_device_scalarIT2_EEPKT5_lPKT6_lS8_PT7_PKS5_PKS4_21rocsparse_index_base_b
; %bb.0:
	s_load_dwordx2 s[10:11], s[0:1], 0x78
	s_load_dwordx2 s[6:7], s[0:1], 0x30
	s_load_dwordx4 s[12:15], s[0:1], 0x50
	s_waitcnt lgkmcnt(0)
	s_bitcmp1_b32 s11, 0
	s_cselect_b64 s[8:9], -1, 0
	s_xor_b64 s[4:5], s[8:9], -1
	s_and_b64 vcc, exec, s[8:9]
	v_mov_b64_e32 v[6:7], s[6:7]
	s_cbranch_vccnz .LBB193_2
; %bb.1:
	v_mov_b64_e32 v[2:3], s[6:7]
	flat_load_dwordx2 v[6:7], v[2:3]
.LBB193_2:
	s_andn2_b64 vcc, exec, s[4:5]
	v_mov_b64_e32 v[8:9], s[14:15]
	s_cbranch_vccnz .LBB193_4
; %bb.3:
	v_mov_b64_e32 v[2:3], s[14:15]
	flat_load_dwordx2 v[8:9], v[2:3]
.LBB193_4:
	s_waitcnt vmcnt(0) lgkmcnt(0)
	v_cmp_neq_f64_e32 vcc, 0, v[6:7]
	v_cmp_neq_f64_e64 s[4:5], 1.0, v[8:9]
	s_or_b64 s[4:5], vcc, s[4:5]
	s_and_saveexec_b64 s[6:7], s[4:5]
	s_cbranch_execz .LBB193_32
; %bb.5:
	s_load_dwordx2 s[4:5], s[0:1], 0x10
	v_lshrrev_b32_e32 v10, 1, v0
	v_lshl_or_b32 v2, s2, 8, v10
	v_mov_b32_e32 v3, 0
	s_waitcnt lgkmcnt(0)
	v_cmp_gt_i64_e32 vcc, s[4:5], v[2:3]
	s_and_b64 exec, exec, vcc
	s_cbranch_execz .LBB193_32
; %bb.6:
	s_load_dwordx4 s[4:7], s[0:1], 0x0
	s_load_dwordx2 s[14:15], s[0:1], 0x68
	s_load_dwordx2 s[2:3], s[0:1], 0x40
	s_waitcnt lgkmcnt(0)
	s_cmp_eq_u32 s6, 1
	s_cselect_b64 s[8:9], -1, 0
	s_cmpk_eq_i32 s4, 0x6f
	s_cselect_b64 s[16:17], -1, 0
	s_cmpk_lg_i32 s4, 0x6f
	s_cselect_b64 s[18:19], -1, 0
	s_cmp_lg_u32 s6, 1
	s_cbranch_scc0 .LBB193_10
; %bb.7:
	s_andn2_b64 vcc, exec, s[16:17]
	v_mov_b64_e32 v[12:13], v[2:3]
	s_cbranch_vccnz .LBB193_9
; %bb.8:
	v_mad_u64_u32 v[12:13], s[20:21], s2, v2, 0
	v_mov_b32_e32 v4, v13
	v_mad_u64_u32 v[4:5], s[20:21], s3, v2, v[4:5]
	v_mov_b32_e32 v13, v4
.LBB193_9:
	s_cbranch_execz .LBB193_11
	s_branch .LBB193_13
.LBB193_10:
                                        ; implicit-def: $vgpr12_vgpr13
.LBB193_11:
	s_andn2_b64 vcc, exec, s[18:19]
	v_mov_b64_e32 v[12:13], v[2:3]
	s_cbranch_vccnz .LBB193_13
; %bb.12:
	v_mad_u64_u32 v[12:13], s[18:19], s2, v2, 0
	v_mov_b32_e32 v4, v13
	v_mad_u64_u32 v[4:5], s[18:19], s3, v2, v[4:5]
	v_mov_b32_e32 v13, v4
.LBB193_13:
	v_lshl_add_u64 v[2:3], v[2:3], 3, s[14:15]
	global_load_dwordx4 v[2:5], v[2:3], off
	s_waitcnt vmcnt(0)
	v_cmp_lt_i64_e32 vcc, v[2:3], v[4:5]
	s_and_b64 exec, exec, vcc
	s_cbranch_execz .LBB193_32
; %bb.14:
	s_xor_b64 s[8:9], s[16:17], s[8:9]
	s_and_b64 s[8:9], s[8:9], exec
	s_cselect_b32 s9, 0, s3
	s_cselect_b32 s8, 1, s2
	s_cmp_lg_u32 s7, 1
	s_cselect_b64 s[16:17], -1, 0
	s_cmp_eq_u32 s7, 1
	s_cselect_b64 s[2:3], -1, 0
	s_cmpk_eq_i32 s5, 0x6f
	s_cselect_b64 s[6:7], -1, 0
	s_cmpk_lg_i32 s5, 0x6f
	s_load_dwordx2 s[22:23], s[0:1], 0x48
	s_load_dwordx2 s[18:19], s[0:1], 0x60
	;; [unrolled: 1-line block ×5, first 2 shown]
	s_cselect_b64 s[4:5], -1, 0
	s_xor_b64 s[2:3], s[6:7], s[2:3]
	s_and_b64 s[2:3], s[2:3], exec
	v_and_b32_e32 v0, 1, v0
	v_subrev_co_u32_e32 v2, vcc, s10, v2
	v_cndmask_b32_e64 v16, 0, 1, s[6:7]
	s_cselect_b32 s7, s13, 0
	s_cselect_b32 s6, s12, 1
	v_subbrev_co_u32_e32 v3, vcc, 0, v3, vcc
	v_mul_lo_u32 v15, s9, v0
	v_mul_lo_u32 v14, s8, v0
	v_lshlrev_b64 v[12:13], 3, v[12:13]
	v_mov_b32_e32 v1, 0
	v_lshlrev_b32_e32 v22, 4, v10
	v_subrev_co_u32_e32 v4, vcc, s10, v4
	v_mul_lo_u32 v11, s7, v0
	v_mul_lo_u32 v10, s6, v0
	v_lshl_add_u64 v[12:13], v[14:15], 3, v[12:13]
	v_cndmask_b32_e64 v14, 0, 1, s[4:5]
	s_waitcnt lgkmcnt(0)
	v_cmp_gt_i64_e64 s[0:1], s[20:21], v[0:1]
	v_lshl_or_b32 v23, v0, 3, v22
	v_cmp_eq_u32_e64 s[2:3], 0, v0
	v_subbrev_co_u32_e32 v5, vcc, 0, v5, vcc
	v_lshl_add_u64 v[10:11], v[10:11], 3, s[22:23]
	s_lshl_b64 s[22:23], s[6:7], 4
	v_lshl_add_u64 v[12:13], s[24:25], 0, v[12:13]
	s_lshl_b64 s[24:25], s[8:9], 4
	s_mov_b64 s[26:27], 0
	v_cmp_ne_u32_e64 s[4:5], 1, v14
	v_cmp_ne_u32_e64 s[6:7], 1, v16
	s_branch .LBB193_16
.LBB193_15:                             ;   in Loop: Header=BB193_16 Depth=1
	s_or_b64 exec, exec, s[8:9]
	v_lshl_add_u64 v[2:3], v[2:3], 0, 1
	v_cmp_ge_i64_e32 vcc, v[2:3], v[4:5]
	s_or_b64 s[26:27], vcc, s[26:27]
	s_andn2_b64 exec, exec, s[26:27]
	s_cbranch_execz .LBB193_32
.LBB193_16:                             ; =>This Loop Header: Depth=1
                                        ;     Child Loop BB193_26 Depth 2
	v_lshl_add_u64 v[14:15], v[2:3], 3, s[14:15]
	global_load_dwordx2 v[14:15], v[14:15], off
	s_mov_b64 s[28:29], -1
	s_and_b64 vcc, exec, s[16:17]
                                        ; implicit-def: $vgpr16_vgpr17
	s_waitcnt vmcnt(0)
	v_subrev_co_u32_e64 v14, s[8:9], s10, v14
	s_nop 1
	v_subbrev_co_u32_e64 v15, s[8:9], 0, v15, s[8:9]
	s_cbranch_vccnz .LBB193_19
; %bb.17:                               ;   in Loop: Header=BB193_16 Depth=1
	s_andn2_b64 vcc, exec, s[28:29]
	s_cbranch_vccz .LBB193_22
.LBB193_18:                             ;   in Loop: Header=BB193_16 Depth=1
	v_mov_b64_e32 v[14:15], 0
	s_and_saveexec_b64 s[8:9], s[0:1]
	s_cbranch_execnz .LBB193_25
	s_branch .LBB193_28
.LBB193_19:                             ;   in Loop: Header=BB193_16 Depth=1
	s_and_b64 vcc, exec, s[4:5]
	v_mov_b64_e32 v[16:17], v[14:15]
	s_cbranch_vccnz .LBB193_21
; %bb.20:                               ;   in Loop: Header=BB193_16 Depth=1
	v_mul_lo_u32 v18, v15, s12
	v_mul_lo_u32 v19, v14, s13
	v_mad_u64_u32 v[16:17], s[8:9], v14, s12, 0
	v_add3_u32 v17, v17, v19, v18
.LBB193_21:                             ;   in Loop: Header=BB193_16 Depth=1
	s_cbranch_execnz .LBB193_18
.LBB193_22:                             ;   in Loop: Header=BB193_16 Depth=1
	s_and_b64 vcc, exec, s[6:7]
	s_cbranch_vccnz .LBB193_24
; %bb.23:                               ;   in Loop: Header=BB193_16 Depth=1
	v_mul_lo_u32 v16, v15, s12
	v_mul_lo_u32 v17, v14, s13
	v_mad_u64_u32 v[14:15], s[8:9], v14, s12, 0
	v_add3_u32 v15, v15, v17, v16
.LBB193_24:                             ;   in Loop: Header=BB193_16 Depth=1
	v_mov_b64_e32 v[16:17], v[14:15]
	v_mov_b64_e32 v[14:15], 0
	s_and_saveexec_b64 s[8:9], s[0:1]
	s_cbranch_execz .LBB193_28
.LBB193_25:                             ;   in Loop: Header=BB193_16 Depth=1
	v_lshl_add_u64 v[16:17], v[16:17], 3, v[10:11]
	v_mov_b64_e32 v[14:15], 0
	s_mov_b64 s[28:29], 0
	v_mov_b64_e32 v[18:19], v[12:13]
	v_mov_b64_e32 v[20:21], v[0:1]
.LBB193_26:                             ;   Parent Loop BB193_16 Depth=1
                                        ; =>  This Inner Loop Header: Depth=2
	global_load_dwordx2 v[24:25], v[18:19], off
	global_load_dwordx2 v[26:27], v[16:17], off
	v_lshl_add_u64 v[20:21], v[20:21], 0, 2
	v_cmp_le_i64_e32 vcc, s[20:21], v[20:21]
	v_lshl_add_u64 v[16:17], v[16:17], 0, s[22:23]
	v_lshl_add_u64 v[18:19], v[18:19], 0, s[24:25]
	s_or_b64 s[28:29], vcc, s[28:29]
	s_waitcnt vmcnt(0)
	v_fmac_f64_e32 v[14:15], v[24:25], v[26:27]
	s_andn2_b64 exec, exec, s[28:29]
	s_cbranch_execnz .LBB193_26
; %bb.27:                               ;   in Loop: Header=BB193_16 Depth=1
	s_or_b64 exec, exec, s[28:29]
.LBB193_28:                             ;   in Loop: Header=BB193_16 Depth=1
	s_or_b64 exec, exec, s[8:9]
	ds_write_b64 v23, v[14:15]
	s_waitcnt lgkmcnt(0)
	s_barrier
	s_and_saveexec_b64 s[8:9], s[2:3]
	s_cbranch_execz .LBB193_30
; %bb.29:                               ;   in Loop: Header=BB193_16 Depth=1
	ds_read_b64 v[14:15], v22 offset:8
	ds_read_b64 v[16:17], v23
	s_waitcnt lgkmcnt(0)
	v_add_f64 v[14:15], v[14:15], v[16:17]
	ds_write_b64 v23, v[14:15]
.LBB193_30:                             ;   in Loop: Header=BB193_16 Depth=1
	s_or_b64 exec, exec, s[8:9]
	s_waitcnt lgkmcnt(0)
	s_barrier
	s_and_saveexec_b64 s[8:9], s[2:3]
	s_cbranch_execz .LBB193_15
; %bb.31:                               ;   in Loop: Header=BB193_16 Depth=1
	v_lshl_add_u64 v[14:15], v[2:3], 3, s[18:19]
	global_load_dwordx2 v[16:17], v[14:15], off
	ds_read_b64 v[18:19], v22
	s_waitcnt lgkmcnt(0)
	v_mul_f64 v[18:19], v[6:7], v[18:19]
	s_waitcnt vmcnt(0)
	v_fmac_f64_e32 v[18:19], v[8:9], v[16:17]
	global_store_dwordx2 v[14:15], v[18:19], off
	s_branch .LBB193_15
.LBB193_32:
	s_endpgm
	.section	.rodata,"a",@progbits
	.p2align	6, 0x0
	.amdhsa_kernel _ZN9rocsparseL16sddmm_csx_kernelILi512ELi2EL20rocsparse_direction_0EdlldddEEv20rocsparse_operation_S2_16rocsparse_order_S3_T4_S4_S4_T3_NS_24const_host_device_scalarIT2_EEPKT5_lPKT6_lS8_PT7_PKS5_PKS4_21rocsparse_index_base_b
		.amdhsa_group_segment_fixed_size 4096
		.amdhsa_private_segment_fixed_size 0
		.amdhsa_kernarg_size 128
		.amdhsa_user_sgpr_count 2
		.amdhsa_user_sgpr_dispatch_ptr 0
		.amdhsa_user_sgpr_queue_ptr 0
		.amdhsa_user_sgpr_kernarg_segment_ptr 1
		.amdhsa_user_sgpr_dispatch_id 0
		.amdhsa_user_sgpr_kernarg_preload_length 0
		.amdhsa_user_sgpr_kernarg_preload_offset 0
		.amdhsa_user_sgpr_private_segment_size 0
		.amdhsa_uses_dynamic_stack 0
		.amdhsa_enable_private_segment 0
		.amdhsa_system_sgpr_workgroup_id_x 1
		.amdhsa_system_sgpr_workgroup_id_y 0
		.amdhsa_system_sgpr_workgroup_id_z 0
		.amdhsa_system_sgpr_workgroup_info 0
		.amdhsa_system_vgpr_workitem_id 0
		.amdhsa_next_free_vgpr 28
		.amdhsa_next_free_sgpr 30
		.amdhsa_accum_offset 28
		.amdhsa_reserve_vcc 1
		.amdhsa_float_round_mode_32 0
		.amdhsa_float_round_mode_16_64 0
		.amdhsa_float_denorm_mode_32 3
		.amdhsa_float_denorm_mode_16_64 3
		.amdhsa_dx10_clamp 1
		.amdhsa_ieee_mode 1
		.amdhsa_fp16_overflow 0
		.amdhsa_tg_split 0
		.amdhsa_exception_fp_ieee_invalid_op 0
		.amdhsa_exception_fp_denorm_src 0
		.amdhsa_exception_fp_ieee_div_zero 0
		.amdhsa_exception_fp_ieee_overflow 0
		.amdhsa_exception_fp_ieee_underflow 0
		.amdhsa_exception_fp_ieee_inexact 0
		.amdhsa_exception_int_div_zero 0
	.end_amdhsa_kernel
	.section	.text._ZN9rocsparseL16sddmm_csx_kernelILi512ELi2EL20rocsparse_direction_0EdlldddEEv20rocsparse_operation_S2_16rocsparse_order_S3_T4_S4_S4_T3_NS_24const_host_device_scalarIT2_EEPKT5_lPKT6_lS8_PT7_PKS5_PKS4_21rocsparse_index_base_b,"axG",@progbits,_ZN9rocsparseL16sddmm_csx_kernelILi512ELi2EL20rocsparse_direction_0EdlldddEEv20rocsparse_operation_S2_16rocsparse_order_S3_T4_S4_S4_T3_NS_24const_host_device_scalarIT2_EEPKT5_lPKT6_lS8_PT7_PKS5_PKS4_21rocsparse_index_base_b,comdat
.Lfunc_end193:
	.size	_ZN9rocsparseL16sddmm_csx_kernelILi512ELi2EL20rocsparse_direction_0EdlldddEEv20rocsparse_operation_S2_16rocsparse_order_S3_T4_S4_S4_T3_NS_24const_host_device_scalarIT2_EEPKT5_lPKT6_lS8_PT7_PKS5_PKS4_21rocsparse_index_base_b, .Lfunc_end193-_ZN9rocsparseL16sddmm_csx_kernelILi512ELi2EL20rocsparse_direction_0EdlldddEEv20rocsparse_operation_S2_16rocsparse_order_S3_T4_S4_S4_T3_NS_24const_host_device_scalarIT2_EEPKT5_lPKT6_lS8_PT7_PKS5_PKS4_21rocsparse_index_base_b
                                        ; -- End function
	.set _ZN9rocsparseL16sddmm_csx_kernelILi512ELi2EL20rocsparse_direction_0EdlldddEEv20rocsparse_operation_S2_16rocsparse_order_S3_T4_S4_S4_T3_NS_24const_host_device_scalarIT2_EEPKT5_lPKT6_lS8_PT7_PKS5_PKS4_21rocsparse_index_base_b.num_vgpr, 28
	.set _ZN9rocsparseL16sddmm_csx_kernelILi512ELi2EL20rocsparse_direction_0EdlldddEEv20rocsparse_operation_S2_16rocsparse_order_S3_T4_S4_S4_T3_NS_24const_host_device_scalarIT2_EEPKT5_lPKT6_lS8_PT7_PKS5_PKS4_21rocsparse_index_base_b.num_agpr, 0
	.set _ZN9rocsparseL16sddmm_csx_kernelILi512ELi2EL20rocsparse_direction_0EdlldddEEv20rocsparse_operation_S2_16rocsparse_order_S3_T4_S4_S4_T3_NS_24const_host_device_scalarIT2_EEPKT5_lPKT6_lS8_PT7_PKS5_PKS4_21rocsparse_index_base_b.numbered_sgpr, 30
	.set _ZN9rocsparseL16sddmm_csx_kernelILi512ELi2EL20rocsparse_direction_0EdlldddEEv20rocsparse_operation_S2_16rocsparse_order_S3_T4_S4_S4_T3_NS_24const_host_device_scalarIT2_EEPKT5_lPKT6_lS8_PT7_PKS5_PKS4_21rocsparse_index_base_b.num_named_barrier, 0
	.set _ZN9rocsparseL16sddmm_csx_kernelILi512ELi2EL20rocsparse_direction_0EdlldddEEv20rocsparse_operation_S2_16rocsparse_order_S3_T4_S4_S4_T3_NS_24const_host_device_scalarIT2_EEPKT5_lPKT6_lS8_PT7_PKS5_PKS4_21rocsparse_index_base_b.private_seg_size, 0
	.set _ZN9rocsparseL16sddmm_csx_kernelILi512ELi2EL20rocsparse_direction_0EdlldddEEv20rocsparse_operation_S2_16rocsparse_order_S3_T4_S4_S4_T3_NS_24const_host_device_scalarIT2_EEPKT5_lPKT6_lS8_PT7_PKS5_PKS4_21rocsparse_index_base_b.uses_vcc, 1
	.set _ZN9rocsparseL16sddmm_csx_kernelILi512ELi2EL20rocsparse_direction_0EdlldddEEv20rocsparse_operation_S2_16rocsparse_order_S3_T4_S4_S4_T3_NS_24const_host_device_scalarIT2_EEPKT5_lPKT6_lS8_PT7_PKS5_PKS4_21rocsparse_index_base_b.uses_flat_scratch, 0
	.set _ZN9rocsparseL16sddmm_csx_kernelILi512ELi2EL20rocsparse_direction_0EdlldddEEv20rocsparse_operation_S2_16rocsparse_order_S3_T4_S4_S4_T3_NS_24const_host_device_scalarIT2_EEPKT5_lPKT6_lS8_PT7_PKS5_PKS4_21rocsparse_index_base_b.has_dyn_sized_stack, 0
	.set _ZN9rocsparseL16sddmm_csx_kernelILi512ELi2EL20rocsparse_direction_0EdlldddEEv20rocsparse_operation_S2_16rocsparse_order_S3_T4_S4_S4_T3_NS_24const_host_device_scalarIT2_EEPKT5_lPKT6_lS8_PT7_PKS5_PKS4_21rocsparse_index_base_b.has_recursion, 0
	.set _ZN9rocsparseL16sddmm_csx_kernelILi512ELi2EL20rocsparse_direction_0EdlldddEEv20rocsparse_operation_S2_16rocsparse_order_S3_T4_S4_S4_T3_NS_24const_host_device_scalarIT2_EEPKT5_lPKT6_lS8_PT7_PKS5_PKS4_21rocsparse_index_base_b.has_indirect_call, 0
	.section	.AMDGPU.csdata,"",@progbits
; Kernel info:
; codeLenInByte = 1044
; TotalNumSgprs: 36
; NumVgprs: 28
; NumAgprs: 0
; TotalNumVgprs: 28
; ScratchSize: 0
; MemoryBound: 0
; FloatMode: 240
; IeeeMode: 1
; LDSByteSize: 4096 bytes/workgroup (compile time only)
; SGPRBlocks: 4
; VGPRBlocks: 3
; NumSGPRsForWavesPerEU: 36
; NumVGPRsForWavesPerEU: 28
; AccumOffset: 28
; Occupancy: 8
; WaveLimiterHint : 1
; COMPUTE_PGM_RSRC2:SCRATCH_EN: 0
; COMPUTE_PGM_RSRC2:USER_SGPR: 2
; COMPUTE_PGM_RSRC2:TRAP_HANDLER: 0
; COMPUTE_PGM_RSRC2:TGID_X_EN: 1
; COMPUTE_PGM_RSRC2:TGID_Y_EN: 0
; COMPUTE_PGM_RSRC2:TGID_Z_EN: 0
; COMPUTE_PGM_RSRC2:TIDIG_COMP_CNT: 0
; COMPUTE_PGM_RSRC3_GFX90A:ACCUM_OFFSET: 6
; COMPUTE_PGM_RSRC3_GFX90A:TG_SPLIT: 0
	.section	.text._ZN9rocsparseL16sddmm_csx_kernelILi512ELi1EL20rocsparse_direction_0EdlldddEEv20rocsparse_operation_S2_16rocsparse_order_S3_T4_S4_S4_T3_NS_24const_host_device_scalarIT2_EEPKT5_lPKT6_lS8_PT7_PKS5_PKS4_21rocsparse_index_base_b,"axG",@progbits,_ZN9rocsparseL16sddmm_csx_kernelILi512ELi1EL20rocsparse_direction_0EdlldddEEv20rocsparse_operation_S2_16rocsparse_order_S3_T4_S4_S4_T3_NS_24const_host_device_scalarIT2_EEPKT5_lPKT6_lS8_PT7_PKS5_PKS4_21rocsparse_index_base_b,comdat
	.globl	_ZN9rocsparseL16sddmm_csx_kernelILi512ELi1EL20rocsparse_direction_0EdlldddEEv20rocsparse_operation_S2_16rocsparse_order_S3_T4_S4_S4_T3_NS_24const_host_device_scalarIT2_EEPKT5_lPKT6_lS8_PT7_PKS5_PKS4_21rocsparse_index_base_b ; -- Begin function _ZN9rocsparseL16sddmm_csx_kernelILi512ELi1EL20rocsparse_direction_0EdlldddEEv20rocsparse_operation_S2_16rocsparse_order_S3_T4_S4_S4_T3_NS_24const_host_device_scalarIT2_EEPKT5_lPKT6_lS8_PT7_PKS5_PKS4_21rocsparse_index_base_b
	.p2align	8
	.type	_ZN9rocsparseL16sddmm_csx_kernelILi512ELi1EL20rocsparse_direction_0EdlldddEEv20rocsparse_operation_S2_16rocsparse_order_S3_T4_S4_S4_T3_NS_24const_host_device_scalarIT2_EEPKT5_lPKT6_lS8_PT7_PKS5_PKS4_21rocsparse_index_base_b,@function
_ZN9rocsparseL16sddmm_csx_kernelILi512ELi1EL20rocsparse_direction_0EdlldddEEv20rocsparse_operation_S2_16rocsparse_order_S3_T4_S4_S4_T3_NS_24const_host_device_scalarIT2_EEPKT5_lPKT6_lS8_PT7_PKS5_PKS4_21rocsparse_index_base_b: ; @_ZN9rocsparseL16sddmm_csx_kernelILi512ELi1EL20rocsparse_direction_0EdlldddEEv20rocsparse_operation_S2_16rocsparse_order_S3_T4_S4_S4_T3_NS_24const_host_device_scalarIT2_EEPKT5_lPKT6_lS8_PT7_PKS5_PKS4_21rocsparse_index_base_b
; %bb.0:
	s_load_dwordx2 s[12:13], s[0:1], 0x78
	s_load_dwordx2 s[6:7], s[0:1], 0x30
	s_load_dwordx4 s[8:11], s[0:1], 0x50
	s_waitcnt lgkmcnt(0)
	s_bitcmp1_b32 s13, 0
	s_cselect_b64 s[14:15], -1, 0
	s_xor_b64 s[4:5], s[14:15], -1
	s_and_b64 vcc, exec, s[14:15]
	v_mov_b64_e32 v[6:7], s[6:7]
	s_cbranch_vccnz .LBB194_2
; %bb.1:
	v_mov_b64_e32 v[2:3], s[6:7]
	flat_load_dwordx2 v[6:7], v[2:3]
.LBB194_2:
	s_andn2_b64 vcc, exec, s[4:5]
	v_mov_b64_e32 v[8:9], s[10:11]
	s_cbranch_vccnz .LBB194_4
; %bb.3:
	v_mov_b64_e32 v[2:3], s[10:11]
	flat_load_dwordx2 v[8:9], v[2:3]
.LBB194_4:
	s_waitcnt vmcnt(0) lgkmcnt(0)
	v_cmp_neq_f64_e32 vcc, 0, v[6:7]
	v_cmp_neq_f64_e64 s[4:5], 1.0, v[8:9]
	s_or_b64 s[4:5], vcc, s[4:5]
	s_and_saveexec_b64 s[6:7], s[4:5]
	s_cbranch_execz .LBB194_28
; %bb.5:
	s_load_dwordx2 s[4:5], s[0:1], 0x10
	v_lshl_or_b32 v2, s2, 9, v0
	v_mov_b32_e32 v3, 0
	s_waitcnt lgkmcnt(0)
	v_cmp_gt_i64_e32 vcc, s[4:5], v[2:3]
	s_and_b64 exec, exec, vcc
	s_cbranch_execz .LBB194_28
; %bb.6:
	s_load_dwordx4 s[4:7], s[0:1], 0x0
	s_load_dwordx2 s[10:11], s[0:1], 0x68
	s_load_dwordx2 s[2:3], s[0:1], 0x40
	s_waitcnt lgkmcnt(0)
	s_cmp_eq_u32 s6, 1
	s_cselect_b64 s[20:21], -1, 0
	s_cmpk_eq_i32 s4, 0x6f
	s_cselect_b64 s[22:23], -1, 0
	s_cmpk_lg_i32 s4, 0x6f
	s_cselect_b64 s[14:15], -1, 0
	s_cmp_lg_u32 s6, 1
	s_cbranch_scc0 .LBB194_10
; %bb.7:
	s_andn2_b64 vcc, exec, s[22:23]
	v_mov_b64_e32 v[10:11], v[2:3]
	s_cbranch_vccnz .LBB194_9
; %bb.8:
	v_mad_u64_u32 v[10:11], s[16:17], s2, v2, 0
	v_mov_b32_e32 v4, v11
	v_mad_u64_u32 v[4:5], s[16:17], s3, v2, v[4:5]
	v_mov_b32_e32 v11, v4
.LBB194_9:
	s_cbranch_execz .LBB194_11
	s_branch .LBB194_13
.LBB194_10:
                                        ; implicit-def: $vgpr10_vgpr11
.LBB194_11:
	s_andn2_b64 vcc, exec, s[14:15]
	v_mov_b64_e32 v[10:11], v[2:3]
	s_cbranch_vccnz .LBB194_13
; %bb.12:
	v_mad_u64_u32 v[10:11], s[14:15], s2, v2, 0
	v_mov_b32_e32 v4, v11
	v_mad_u64_u32 v[4:5], s[14:15], s3, v2, v[4:5]
	v_mov_b32_e32 v11, v4
.LBB194_13:
	v_lshl_add_u64 v[2:3], v[2:3], 3, s[10:11]
	global_load_dwordx4 v[2:5], v[2:3], off
	s_waitcnt vmcnt(0)
	v_cmp_lt_i64_e32 vcc, v[2:3], v[4:5]
	s_and_b64 exec, exec, vcc
	s_cbranch_execz .LBB194_28
; %bb.14:
	s_load_dwordx2 s[24:25], s[0:1], 0x38
	s_load_dwordx2 s[10:11], s[0:1], 0x70
	;; [unrolled: 1-line block ×5, first 2 shown]
	s_xor_b64 s[0:1], s[22:23], s[20:21]
	s_and_b64 s[0:1], s[0:1], exec
	s_cselect_b32 s1, 0, s3
	s_cselect_b32 s0, 1, s2
	s_cmp_lg_u32 s7, 1
	s_cselect_b64 s[20:21], -1, 0
	s_cmp_eq_u32 s7, 1
	s_cselect_b64 s[2:3], -1, 0
	s_cmpk_eq_i32 s5, 0x6f
	s_cselect_b64 s[6:7], -1, 0
	s_cmpk_lg_i32 s5, 0x6f
	v_subrev_co_u32_e32 v2, vcc, s12, v2
	s_cselect_b64 s[4:5], -1, 0
	s_xor_b64 s[2:3], s[6:7], s[2:3]
	v_subbrev_co_u32_e32 v3, vcc, 0, v3, vcc
	s_and_b64 s[2:3], s[2:3], exec
	v_lshlrev_b32_e32 v16, 3, v0
	v_subrev_co_u32_e32 v0, vcc, s12, v4
	v_cndmask_b32_e64 v4, 0, 1, s[4:5]
	s_waitcnt lgkmcnt(0)
	v_cmp_gt_i64_e64 s[4:5], s[18:19], 0
	v_cndmask_b32_e64 v12, 0, 1, s[6:7]
	s_cselect_b32 s3, s9, 0
	s_cselect_b32 s2, s8, 1
	s_lshl_b64 s[26:27], s[0:1], 3
	v_cmp_ne_u32_e64 s[0:1], 1, v4
	v_cndmask_b32_e64 v4, 0, 1, s[4:5]
	v_lshl_add_u64 v[10:11], v[10:11], 3, s[24:25]
	s_mov_b64 s[22:23], 0
	v_subbrev_co_u32_e32 v1, vcc, 0, v5, vcc
	s_lshl_b64 s[24:25], s[2:3], 3
	v_cmp_ne_u32_e64 s[2:3], 1, v12
	v_cmp_ne_u32_e64 s[4:5], 1, v4
	s_branch .LBB194_17
.LBB194_15:                             ;   in Loop: Header=BB194_17 Depth=1
	v_mov_b64_e32 v[4:5], 0
.LBB194_16:                             ;   in Loop: Header=BB194_17 Depth=1
	ds_write_b64 v16, v[4:5]
	v_lshl_add_u64 v[4:5], v[2:3], 3, s[16:17]
	s_waitcnt lgkmcnt(0)
	s_barrier
	global_load_dwordx2 v[12:13], v[4:5], off
	ds_read_b64 v[14:15], v16
	v_lshl_add_u64 v[2:3], v[2:3], 0, 1
	v_cmp_ge_i64_e32 vcc, v[2:3], v[0:1]
	s_or_b64 s[22:23], vcc, s[22:23]
	s_waitcnt lgkmcnt(0)
	v_mul_f64 v[14:15], v[6:7], v[14:15]
	s_waitcnt vmcnt(0)
	v_fmac_f64_e32 v[14:15], v[8:9], v[12:13]
	global_store_dwordx2 v[4:5], v[14:15], off
	s_andn2_b64 exec, exec, s[22:23]
	s_cbranch_execz .LBB194_28
.LBB194_17:                             ; =>This Loop Header: Depth=1
                                        ;     Child Loop BB194_27 Depth 2
	v_lshl_add_u64 v[4:5], v[2:3], 3, s[10:11]
	global_load_dwordx2 v[4:5], v[4:5], off
	s_and_b64 vcc, exec, s[20:21]
	s_mov_b64 s[28:29], -1
                                        ; implicit-def: $vgpr12_vgpr13
	s_waitcnt vmcnt(0)
	v_subrev_co_u32_e64 v4, s[6:7], s12, v4
	s_nop 1
	v_subbrev_co_u32_e64 v5, s[6:7], 0, v5, s[6:7]
	s_cbranch_vccnz .LBB194_20
; %bb.18:                               ;   in Loop: Header=BB194_17 Depth=1
	s_andn2_b64 vcc, exec, s[28:29]
	s_cbranch_vccz .LBB194_23
.LBB194_19:                             ;   in Loop: Header=BB194_17 Depth=1
	s_and_b64 vcc, exec, s[4:5]
	s_cbranch_vccz .LBB194_26
	s_branch .LBB194_15
.LBB194_20:                             ;   in Loop: Header=BB194_17 Depth=1
	s_and_b64 vcc, exec, s[0:1]
	v_mov_b64_e32 v[12:13], v[4:5]
	s_cbranch_vccnz .LBB194_22
; %bb.21:                               ;   in Loop: Header=BB194_17 Depth=1
	v_mul_lo_u32 v14, v5, s8
	v_mul_lo_u32 v15, v4, s9
	v_mad_u64_u32 v[12:13], s[6:7], v4, s8, 0
	v_add3_u32 v13, v13, v15, v14
.LBB194_22:                             ;   in Loop: Header=BB194_17 Depth=1
	s_cbranch_execnz .LBB194_19
.LBB194_23:                             ;   in Loop: Header=BB194_17 Depth=1
	s_and_b64 vcc, exec, s[2:3]
	s_cbranch_vccnz .LBB194_25
; %bb.24:                               ;   in Loop: Header=BB194_17 Depth=1
	v_mul_lo_u32 v12, v5, s8
	v_mul_lo_u32 v13, v4, s9
	v_mad_u64_u32 v[4:5], s[6:7], v4, s8, 0
	v_add3_u32 v5, v5, v13, v12
.LBB194_25:                             ;   in Loop: Header=BB194_17 Depth=1
	v_mov_b64_e32 v[12:13], v[4:5]
	s_and_b64 vcc, exec, s[4:5]
	s_cbranch_vccnz .LBB194_15
.LBB194_26:                             ;   in Loop: Header=BB194_17 Depth=1
	v_lshl_add_u64 v[12:13], v[12:13], 3, s[14:15]
	v_mov_b64_e32 v[4:5], 0
	v_mov_b64_e32 v[14:15], v[10:11]
	s_mov_b64 s[6:7], s[18:19]
.LBB194_27:                             ;   Parent Loop BB194_17 Depth=1
                                        ; =>  This Inner Loop Header: Depth=2
	global_load_dwordx2 v[18:19], v[14:15], off
	global_load_dwordx2 v[20:21], v[12:13], off
	s_add_u32 s6, s6, -1
	s_addc_u32 s7, s7, -1
	v_lshl_add_u64 v[12:13], v[12:13], 0, s[24:25]
	v_lshl_add_u64 v[14:15], v[14:15], 0, s[26:27]
	s_cmp_eq_u64 s[6:7], 0
	s_waitcnt vmcnt(0)
	v_fmac_f64_e32 v[4:5], v[18:19], v[20:21]
	s_cbranch_scc0 .LBB194_27
	s_branch .LBB194_16
.LBB194_28:
	s_endpgm
	.section	.rodata,"a",@progbits
	.p2align	6, 0x0
	.amdhsa_kernel _ZN9rocsparseL16sddmm_csx_kernelILi512ELi1EL20rocsparse_direction_0EdlldddEEv20rocsparse_operation_S2_16rocsparse_order_S3_T4_S4_S4_T3_NS_24const_host_device_scalarIT2_EEPKT5_lPKT6_lS8_PT7_PKS5_PKS4_21rocsparse_index_base_b
		.amdhsa_group_segment_fixed_size 4096
		.amdhsa_private_segment_fixed_size 0
		.amdhsa_kernarg_size 128
		.amdhsa_user_sgpr_count 2
		.amdhsa_user_sgpr_dispatch_ptr 0
		.amdhsa_user_sgpr_queue_ptr 0
		.amdhsa_user_sgpr_kernarg_segment_ptr 1
		.amdhsa_user_sgpr_dispatch_id 0
		.amdhsa_user_sgpr_kernarg_preload_length 0
		.amdhsa_user_sgpr_kernarg_preload_offset 0
		.amdhsa_user_sgpr_private_segment_size 0
		.amdhsa_uses_dynamic_stack 0
		.amdhsa_enable_private_segment 0
		.amdhsa_system_sgpr_workgroup_id_x 1
		.amdhsa_system_sgpr_workgroup_id_y 0
		.amdhsa_system_sgpr_workgroup_id_z 0
		.amdhsa_system_sgpr_workgroup_info 0
		.amdhsa_system_vgpr_workitem_id 0
		.amdhsa_next_free_vgpr 22
		.amdhsa_next_free_sgpr 30
		.amdhsa_accum_offset 24
		.amdhsa_reserve_vcc 1
		.amdhsa_float_round_mode_32 0
		.amdhsa_float_round_mode_16_64 0
		.amdhsa_float_denorm_mode_32 3
		.amdhsa_float_denorm_mode_16_64 3
		.amdhsa_dx10_clamp 1
		.amdhsa_ieee_mode 1
		.amdhsa_fp16_overflow 0
		.amdhsa_tg_split 0
		.amdhsa_exception_fp_ieee_invalid_op 0
		.amdhsa_exception_fp_denorm_src 0
		.amdhsa_exception_fp_ieee_div_zero 0
		.amdhsa_exception_fp_ieee_overflow 0
		.amdhsa_exception_fp_ieee_underflow 0
		.amdhsa_exception_fp_ieee_inexact 0
		.amdhsa_exception_int_div_zero 0
	.end_amdhsa_kernel
	.section	.text._ZN9rocsparseL16sddmm_csx_kernelILi512ELi1EL20rocsparse_direction_0EdlldddEEv20rocsparse_operation_S2_16rocsparse_order_S3_T4_S4_S4_T3_NS_24const_host_device_scalarIT2_EEPKT5_lPKT6_lS8_PT7_PKS5_PKS4_21rocsparse_index_base_b,"axG",@progbits,_ZN9rocsparseL16sddmm_csx_kernelILi512ELi1EL20rocsparse_direction_0EdlldddEEv20rocsparse_operation_S2_16rocsparse_order_S3_T4_S4_S4_T3_NS_24const_host_device_scalarIT2_EEPKT5_lPKT6_lS8_PT7_PKS5_PKS4_21rocsparse_index_base_b,comdat
.Lfunc_end194:
	.size	_ZN9rocsparseL16sddmm_csx_kernelILi512ELi1EL20rocsparse_direction_0EdlldddEEv20rocsparse_operation_S2_16rocsparse_order_S3_T4_S4_S4_T3_NS_24const_host_device_scalarIT2_EEPKT5_lPKT6_lS8_PT7_PKS5_PKS4_21rocsparse_index_base_b, .Lfunc_end194-_ZN9rocsparseL16sddmm_csx_kernelILi512ELi1EL20rocsparse_direction_0EdlldddEEv20rocsparse_operation_S2_16rocsparse_order_S3_T4_S4_S4_T3_NS_24const_host_device_scalarIT2_EEPKT5_lPKT6_lS8_PT7_PKS5_PKS4_21rocsparse_index_base_b
                                        ; -- End function
	.set _ZN9rocsparseL16sddmm_csx_kernelILi512ELi1EL20rocsparse_direction_0EdlldddEEv20rocsparse_operation_S2_16rocsparse_order_S3_T4_S4_S4_T3_NS_24const_host_device_scalarIT2_EEPKT5_lPKT6_lS8_PT7_PKS5_PKS4_21rocsparse_index_base_b.num_vgpr, 22
	.set _ZN9rocsparseL16sddmm_csx_kernelILi512ELi1EL20rocsparse_direction_0EdlldddEEv20rocsparse_operation_S2_16rocsparse_order_S3_T4_S4_S4_T3_NS_24const_host_device_scalarIT2_EEPKT5_lPKT6_lS8_PT7_PKS5_PKS4_21rocsparse_index_base_b.num_agpr, 0
	.set _ZN9rocsparseL16sddmm_csx_kernelILi512ELi1EL20rocsparse_direction_0EdlldddEEv20rocsparse_operation_S2_16rocsparse_order_S3_T4_S4_S4_T3_NS_24const_host_device_scalarIT2_EEPKT5_lPKT6_lS8_PT7_PKS5_PKS4_21rocsparse_index_base_b.numbered_sgpr, 30
	.set _ZN9rocsparseL16sddmm_csx_kernelILi512ELi1EL20rocsparse_direction_0EdlldddEEv20rocsparse_operation_S2_16rocsparse_order_S3_T4_S4_S4_T3_NS_24const_host_device_scalarIT2_EEPKT5_lPKT6_lS8_PT7_PKS5_PKS4_21rocsparse_index_base_b.num_named_barrier, 0
	.set _ZN9rocsparseL16sddmm_csx_kernelILi512ELi1EL20rocsparse_direction_0EdlldddEEv20rocsparse_operation_S2_16rocsparse_order_S3_T4_S4_S4_T3_NS_24const_host_device_scalarIT2_EEPKT5_lPKT6_lS8_PT7_PKS5_PKS4_21rocsparse_index_base_b.private_seg_size, 0
	.set _ZN9rocsparseL16sddmm_csx_kernelILi512ELi1EL20rocsparse_direction_0EdlldddEEv20rocsparse_operation_S2_16rocsparse_order_S3_T4_S4_S4_T3_NS_24const_host_device_scalarIT2_EEPKT5_lPKT6_lS8_PT7_PKS5_PKS4_21rocsparse_index_base_b.uses_vcc, 1
	.set _ZN9rocsparseL16sddmm_csx_kernelILi512ELi1EL20rocsparse_direction_0EdlldddEEv20rocsparse_operation_S2_16rocsparse_order_S3_T4_S4_S4_T3_NS_24const_host_device_scalarIT2_EEPKT5_lPKT6_lS8_PT7_PKS5_PKS4_21rocsparse_index_base_b.uses_flat_scratch, 0
	.set _ZN9rocsparseL16sddmm_csx_kernelILi512ELi1EL20rocsparse_direction_0EdlldddEEv20rocsparse_operation_S2_16rocsparse_order_S3_T4_S4_S4_T3_NS_24const_host_device_scalarIT2_EEPKT5_lPKT6_lS8_PT7_PKS5_PKS4_21rocsparse_index_base_b.has_dyn_sized_stack, 0
	.set _ZN9rocsparseL16sddmm_csx_kernelILi512ELi1EL20rocsparse_direction_0EdlldddEEv20rocsparse_operation_S2_16rocsparse_order_S3_T4_S4_S4_T3_NS_24const_host_device_scalarIT2_EEPKT5_lPKT6_lS8_PT7_PKS5_PKS4_21rocsparse_index_base_b.has_recursion, 0
	.set _ZN9rocsparseL16sddmm_csx_kernelILi512ELi1EL20rocsparse_direction_0EdlldddEEv20rocsparse_operation_S2_16rocsparse_order_S3_T4_S4_S4_T3_NS_24const_host_device_scalarIT2_EEPKT5_lPKT6_lS8_PT7_PKS5_PKS4_21rocsparse_index_base_b.has_indirect_call, 0
	.section	.AMDGPU.csdata,"",@progbits
; Kernel info:
; codeLenInByte = 884
; TotalNumSgprs: 36
; NumVgprs: 22
; NumAgprs: 0
; TotalNumVgprs: 22
; ScratchSize: 0
; MemoryBound: 0
; FloatMode: 240
; IeeeMode: 1
; LDSByteSize: 4096 bytes/workgroup (compile time only)
; SGPRBlocks: 4
; VGPRBlocks: 2
; NumSGPRsForWavesPerEU: 36
; NumVGPRsForWavesPerEU: 22
; AccumOffset: 24
; Occupancy: 8
; WaveLimiterHint : 1
; COMPUTE_PGM_RSRC2:SCRATCH_EN: 0
; COMPUTE_PGM_RSRC2:USER_SGPR: 2
; COMPUTE_PGM_RSRC2:TRAP_HANDLER: 0
; COMPUTE_PGM_RSRC2:TGID_X_EN: 1
; COMPUTE_PGM_RSRC2:TGID_Y_EN: 0
; COMPUTE_PGM_RSRC2:TGID_Z_EN: 0
; COMPUTE_PGM_RSRC2:TIDIG_COMP_CNT: 0
; COMPUTE_PGM_RSRC3_GFX90A:ACCUM_OFFSET: 5
; COMPUTE_PGM_RSRC3_GFX90A:TG_SPLIT: 0
	.section	.text._ZN9rocsparseL16csr2dense_kernelILi16ELi32Ell21rocsparse_complex_numIfEEEviT2_S3_PKT3_PKT1_PKS3_PS4_l16rocsparse_order_,"axG",@progbits,_ZN9rocsparseL16csr2dense_kernelILi16ELi32Ell21rocsparse_complex_numIfEEEviT2_S3_PKT3_PKT1_PKS3_PS4_l16rocsparse_order_,comdat
	.globl	_ZN9rocsparseL16csr2dense_kernelILi16ELi32Ell21rocsparse_complex_numIfEEEviT2_S3_PKT3_PKT1_PKS3_PS4_l16rocsparse_order_ ; -- Begin function _ZN9rocsparseL16csr2dense_kernelILi16ELi32Ell21rocsparse_complex_numIfEEEviT2_S3_PKT3_PKT1_PKS3_PS4_l16rocsparse_order_
	.p2align	8
	.type	_ZN9rocsparseL16csr2dense_kernelILi16ELi32Ell21rocsparse_complex_numIfEEEviT2_S3_PKT3_PKT1_PKS3_PS4_l16rocsparse_order_,@function
_ZN9rocsparseL16csr2dense_kernelILi16ELi32Ell21rocsparse_complex_numIfEEEviT2_S3_PKT3_PKT1_PKS3_PS4_l16rocsparse_order_: ; @_ZN9rocsparseL16csr2dense_kernelILi16ELi32Ell21rocsparse_complex_numIfEEEviT2_S3_PKT3_PKT1_PKS3_PS4_l16rocsparse_order_
; %bb.0:
	s_load_dwordx2 s[4:5], s[0:1], 0x8
	v_lshrrev_b32_e32 v1, 5, v0
	v_lshl_or_b32 v8, s2, 4, v1
	v_mov_b32_e32 v1, 0
	v_mov_b32_e32 v9, v1
	s_waitcnt lgkmcnt(0)
	v_cmp_gt_i64_e32 vcc, s[4:5], v[8:9]
	s_and_saveexec_b64 s[2:3], vcc
	s_cbranch_execz .LBB195_8
; %bb.1:
	s_load_dwordx2 s[2:3], s[0:1], 0x20
	v_and_b32_e32 v0, 31, v0
	s_waitcnt lgkmcnt(0)
	v_lshl_add_u64 v[2:3], v[8:9], 3, s[2:3]
	global_load_dwordx4 v[2:5], v[2:3], off
	s_waitcnt vmcnt(0)
	v_sub_co_u32_e32 v4, vcc, v4, v2
	s_nop 1
	v_subb_co_u32_e32 v5, vcc, v5, v3, vcc
	v_cmp_gt_i64_e32 vcc, v[4:5], v[0:1]
	s_and_b64 exec, exec, vcc
	s_cbranch_execz .LBB195_8
; %bb.2:
	s_load_dword s12, s[0:1], 0x0
	s_load_dwordx4 s[8:11], s[0:1], 0x28
	s_load_dword s4, s[0:1], 0x40
	s_load_dwordx2 s[6:7], s[0:1], 0x18
	s_load_dwordx2 s[2:3], s[0:1], 0x38
	s_waitcnt lgkmcnt(0)
	s_ashr_i32 s13, s12, 31
	v_lshl_add_u64 v[6:7], v[8:9], 3, s[10:11]
	v_lshl_add_u64 v[2:3], v[2:3], 0, v[0:1]
	v_subrev_co_u32_e32 v2, vcc, s12, v2
	v_mad_u64_u32 v[10:11], s[0:1], s2, v8, 0
	v_mov_b32_e32 v12, v11
	v_mad_u64_u32 v[8:9], s[0:1], s3, v8, v[12:13]
	v_mov_b32_e32 v11, v8
	v_lshl_add_u64 v[8:9], v[10:11], 3, s[10:11]
	v_mov_b32_e32 v10, s13
	v_subb_co_u32_e32 v3, vcc, v3, v10, vcc
	s_cmp_lg_u32 s4, 1
	v_lshlrev_b64 v[10:11], 3, v[2:3]
	s_cselect_b64 s[4:5], -1, 0
	v_lshl_add_u64 v[2:3], s[8:9], 0, v[10:11]
	v_lshl_add_u64 v[10:11], s[6:7], 0, v[10:11]
	s_mov_b64 s[6:7], 0
	v_mov_b32_e32 v14, s13
	s_mov_b64 s[8:9], 0x100
	s_branch .LBB195_4
.LBB195_3:                              ;   in Loop: Header=BB195_4 Depth=1
	v_lshl_add_u64 v[0:1], v[0:1], 0, 32
	v_cmp_ge_i64_e32 vcc, v[0:1], v[4:5]
	v_lshl_add_u64 v[2:3], v[2:3], 0, s[8:9]
	s_or_b64 s[6:7], vcc, s[6:7]
	v_lshl_add_u64 v[10:11], v[10:11], 0, s[8:9]
	s_andn2_b64 exec, exec, s[6:7]
	s_cbranch_execz .LBB195_8
.LBB195_4:                              ; =>This Inner Loop Header: Depth=1
	s_barrier
	global_load_dwordx2 v[12:13], v[2:3], off
	s_mov_b64 s[10:11], -1
	s_and_b64 vcc, exec, s[4:5]
	s_waitcnt vmcnt(0)
	v_subrev_co_u32_e64 v12, s[0:1], s12, v12
	s_nop 1
	v_subb_co_u32_e64 v13, s[0:1], v13, v14, s[0:1]
	s_cbranch_vccz .LBB195_6
; %bb.5:                                ;   in Loop: Header=BB195_4 Depth=1
	global_load_dwordx2 v[16:17], v[10:11], off
	v_lshl_add_u64 v[18:19], v[12:13], 3, v[8:9]
	s_mov_b64 s[10:11], 0
	s_waitcnt vmcnt(0)
	global_store_dwordx2 v[18:19], v[16:17], off
.LBB195_6:                              ;   in Loop: Header=BB195_4 Depth=1
	s_andn2_b64 vcc, exec, s[10:11]
	s_cbranch_vccnz .LBB195_3
; %bb.7:                                ;   in Loop: Header=BB195_4 Depth=1
	global_load_dwordx2 v[16:17], v[10:11], off
	v_mul_lo_u32 v15, v13, s2
	v_mul_lo_u32 v18, v12, s3
	v_mad_u64_u32 v[12:13], s[0:1], v12, s2, 0
	v_add3_u32 v13, v13, v18, v15
	v_lshl_add_u64 v[12:13], v[12:13], 3, v[6:7]
	s_waitcnt vmcnt(0)
	global_store_dwordx2 v[12:13], v[16:17], off
	s_branch .LBB195_3
.LBB195_8:
	s_endpgm
	.section	.rodata,"a",@progbits
	.p2align	6, 0x0
	.amdhsa_kernel _ZN9rocsparseL16csr2dense_kernelILi16ELi32Ell21rocsparse_complex_numIfEEEviT2_S3_PKT3_PKT1_PKS3_PS4_l16rocsparse_order_
		.amdhsa_group_segment_fixed_size 0
		.amdhsa_private_segment_fixed_size 0
		.amdhsa_kernarg_size 68
		.amdhsa_user_sgpr_count 2
		.amdhsa_user_sgpr_dispatch_ptr 0
		.amdhsa_user_sgpr_queue_ptr 0
		.amdhsa_user_sgpr_kernarg_segment_ptr 1
		.amdhsa_user_sgpr_dispatch_id 0
		.amdhsa_user_sgpr_kernarg_preload_length 0
		.amdhsa_user_sgpr_kernarg_preload_offset 0
		.amdhsa_user_sgpr_private_segment_size 0
		.amdhsa_uses_dynamic_stack 0
		.amdhsa_enable_private_segment 0
		.amdhsa_system_sgpr_workgroup_id_x 1
		.amdhsa_system_sgpr_workgroup_id_y 0
		.amdhsa_system_sgpr_workgroup_id_z 0
		.amdhsa_system_sgpr_workgroup_info 0
		.amdhsa_system_vgpr_workitem_id 0
		.amdhsa_next_free_vgpr 20
		.amdhsa_next_free_sgpr 14
		.amdhsa_accum_offset 20
		.amdhsa_reserve_vcc 1
		.amdhsa_float_round_mode_32 0
		.amdhsa_float_round_mode_16_64 0
		.amdhsa_float_denorm_mode_32 3
		.amdhsa_float_denorm_mode_16_64 3
		.amdhsa_dx10_clamp 1
		.amdhsa_ieee_mode 1
		.amdhsa_fp16_overflow 0
		.amdhsa_tg_split 0
		.amdhsa_exception_fp_ieee_invalid_op 0
		.amdhsa_exception_fp_denorm_src 0
		.amdhsa_exception_fp_ieee_div_zero 0
		.amdhsa_exception_fp_ieee_overflow 0
		.amdhsa_exception_fp_ieee_underflow 0
		.amdhsa_exception_fp_ieee_inexact 0
		.amdhsa_exception_int_div_zero 0
	.end_amdhsa_kernel
	.section	.text._ZN9rocsparseL16csr2dense_kernelILi16ELi32Ell21rocsparse_complex_numIfEEEviT2_S3_PKT3_PKT1_PKS3_PS4_l16rocsparse_order_,"axG",@progbits,_ZN9rocsparseL16csr2dense_kernelILi16ELi32Ell21rocsparse_complex_numIfEEEviT2_S3_PKT3_PKT1_PKS3_PS4_l16rocsparse_order_,comdat
.Lfunc_end195:
	.size	_ZN9rocsparseL16csr2dense_kernelILi16ELi32Ell21rocsparse_complex_numIfEEEviT2_S3_PKT3_PKT1_PKS3_PS4_l16rocsparse_order_, .Lfunc_end195-_ZN9rocsparseL16csr2dense_kernelILi16ELi32Ell21rocsparse_complex_numIfEEEviT2_S3_PKT3_PKT1_PKS3_PS4_l16rocsparse_order_
                                        ; -- End function
	.set _ZN9rocsparseL16csr2dense_kernelILi16ELi32Ell21rocsparse_complex_numIfEEEviT2_S3_PKT3_PKT1_PKS3_PS4_l16rocsparse_order_.num_vgpr, 20
	.set _ZN9rocsparseL16csr2dense_kernelILi16ELi32Ell21rocsparse_complex_numIfEEEviT2_S3_PKT3_PKT1_PKS3_PS4_l16rocsparse_order_.num_agpr, 0
	.set _ZN9rocsparseL16csr2dense_kernelILi16ELi32Ell21rocsparse_complex_numIfEEEviT2_S3_PKT3_PKT1_PKS3_PS4_l16rocsparse_order_.numbered_sgpr, 14
	.set _ZN9rocsparseL16csr2dense_kernelILi16ELi32Ell21rocsparse_complex_numIfEEEviT2_S3_PKT3_PKT1_PKS3_PS4_l16rocsparse_order_.num_named_barrier, 0
	.set _ZN9rocsparseL16csr2dense_kernelILi16ELi32Ell21rocsparse_complex_numIfEEEviT2_S3_PKT3_PKT1_PKS3_PS4_l16rocsparse_order_.private_seg_size, 0
	.set _ZN9rocsparseL16csr2dense_kernelILi16ELi32Ell21rocsparse_complex_numIfEEEviT2_S3_PKT3_PKT1_PKS3_PS4_l16rocsparse_order_.uses_vcc, 1
	.set _ZN9rocsparseL16csr2dense_kernelILi16ELi32Ell21rocsparse_complex_numIfEEEviT2_S3_PKT3_PKT1_PKS3_PS4_l16rocsparse_order_.uses_flat_scratch, 0
	.set _ZN9rocsparseL16csr2dense_kernelILi16ELi32Ell21rocsparse_complex_numIfEEEviT2_S3_PKT3_PKT1_PKS3_PS4_l16rocsparse_order_.has_dyn_sized_stack, 0
	.set _ZN9rocsparseL16csr2dense_kernelILi16ELi32Ell21rocsparse_complex_numIfEEEviT2_S3_PKT3_PKT1_PKS3_PS4_l16rocsparse_order_.has_recursion, 0
	.set _ZN9rocsparseL16csr2dense_kernelILi16ELi32Ell21rocsparse_complex_numIfEEEviT2_S3_PKT3_PKT1_PKS3_PS4_l16rocsparse_order_.has_indirect_call, 0
	.section	.AMDGPU.csdata,"",@progbits
; Kernel info:
; codeLenInByte = 460
; TotalNumSgprs: 20
; NumVgprs: 20
; NumAgprs: 0
; TotalNumVgprs: 20
; ScratchSize: 0
; MemoryBound: 0
; FloatMode: 240
; IeeeMode: 1
; LDSByteSize: 0 bytes/workgroup (compile time only)
; SGPRBlocks: 2
; VGPRBlocks: 2
; NumSGPRsForWavesPerEU: 20
; NumVGPRsForWavesPerEU: 20
; AccumOffset: 20
; Occupancy: 8
; WaveLimiterHint : 1
; COMPUTE_PGM_RSRC2:SCRATCH_EN: 0
; COMPUTE_PGM_RSRC2:USER_SGPR: 2
; COMPUTE_PGM_RSRC2:TRAP_HANDLER: 0
; COMPUTE_PGM_RSRC2:TGID_X_EN: 1
; COMPUTE_PGM_RSRC2:TGID_Y_EN: 0
; COMPUTE_PGM_RSRC2:TGID_Z_EN: 0
; COMPUTE_PGM_RSRC2:TIDIG_COMP_CNT: 0
; COMPUTE_PGM_RSRC3_GFX90A:ACCUM_OFFSET: 4
; COMPUTE_PGM_RSRC3_GFX90A:TG_SPLIT: 0
	.section	.text._ZN9rocsparseL16csr2dense_kernelILi16ELi64Ell21rocsparse_complex_numIfEEEviT2_S3_PKT3_PKT1_PKS3_PS4_l16rocsparse_order_,"axG",@progbits,_ZN9rocsparseL16csr2dense_kernelILi16ELi64Ell21rocsparse_complex_numIfEEEviT2_S3_PKT3_PKT1_PKS3_PS4_l16rocsparse_order_,comdat
	.globl	_ZN9rocsparseL16csr2dense_kernelILi16ELi64Ell21rocsparse_complex_numIfEEEviT2_S3_PKT3_PKT1_PKS3_PS4_l16rocsparse_order_ ; -- Begin function _ZN9rocsparseL16csr2dense_kernelILi16ELi64Ell21rocsparse_complex_numIfEEEviT2_S3_PKT3_PKT1_PKS3_PS4_l16rocsparse_order_
	.p2align	8
	.type	_ZN9rocsparseL16csr2dense_kernelILi16ELi64Ell21rocsparse_complex_numIfEEEviT2_S3_PKT3_PKT1_PKS3_PS4_l16rocsparse_order_,@function
_ZN9rocsparseL16csr2dense_kernelILi16ELi64Ell21rocsparse_complex_numIfEEEviT2_S3_PKT3_PKT1_PKS3_PS4_l16rocsparse_order_: ; @_ZN9rocsparseL16csr2dense_kernelILi16ELi64Ell21rocsparse_complex_numIfEEEviT2_S3_PKT3_PKT1_PKS3_PS4_l16rocsparse_order_
; %bb.0:
	s_load_dwordx2 s[4:5], s[0:1], 0x8
	v_lshrrev_b32_e32 v1, 6, v0
	v_lshl_or_b32 v8, s2, 4, v1
	v_mov_b32_e32 v1, 0
	v_mov_b32_e32 v9, v1
	s_waitcnt lgkmcnt(0)
	v_cmp_gt_i64_e32 vcc, s[4:5], v[8:9]
	s_and_saveexec_b64 s[2:3], vcc
	s_cbranch_execz .LBB196_8
; %bb.1:
	s_load_dwordx2 s[2:3], s[0:1], 0x20
	v_and_b32_e32 v0, 63, v0
	s_waitcnt lgkmcnt(0)
	v_lshl_add_u64 v[2:3], v[8:9], 3, s[2:3]
	global_load_dwordx4 v[2:5], v[2:3], off
	s_waitcnt vmcnt(0)
	v_sub_co_u32_e32 v4, vcc, v4, v2
	s_nop 1
	v_subb_co_u32_e32 v5, vcc, v5, v3, vcc
	v_cmp_gt_i64_e32 vcc, v[4:5], v[0:1]
	s_and_b64 exec, exec, vcc
	s_cbranch_execz .LBB196_8
; %bb.2:
	s_load_dword s12, s[0:1], 0x0
	s_load_dwordx4 s[8:11], s[0:1], 0x28
	s_load_dword s4, s[0:1], 0x40
	s_load_dwordx2 s[6:7], s[0:1], 0x18
	s_load_dwordx2 s[2:3], s[0:1], 0x38
	s_waitcnt lgkmcnt(0)
	s_ashr_i32 s13, s12, 31
	v_lshl_add_u64 v[6:7], v[8:9], 3, s[10:11]
	v_lshl_add_u64 v[2:3], v[2:3], 0, v[0:1]
	v_subrev_co_u32_e32 v2, vcc, s12, v2
	v_mad_u64_u32 v[10:11], s[0:1], s2, v8, 0
	v_mov_b32_e32 v12, v11
	v_mad_u64_u32 v[8:9], s[0:1], s3, v8, v[12:13]
	v_mov_b32_e32 v11, v8
	v_lshl_add_u64 v[8:9], v[10:11], 3, s[10:11]
	v_mov_b32_e32 v10, s13
	v_subb_co_u32_e32 v3, vcc, v3, v10, vcc
	s_cmp_lg_u32 s4, 1
	v_lshlrev_b64 v[10:11], 3, v[2:3]
	s_cselect_b64 s[4:5], -1, 0
	v_lshl_add_u64 v[2:3], s[8:9], 0, v[10:11]
	v_lshl_add_u64 v[10:11], s[6:7], 0, v[10:11]
	s_mov_b64 s[6:7], 0
	v_mov_b32_e32 v14, s13
	s_mov_b64 s[8:9], 0x200
	s_branch .LBB196_4
.LBB196_3:                              ;   in Loop: Header=BB196_4 Depth=1
	v_lshl_add_u64 v[0:1], v[0:1], 0, 64
	v_cmp_ge_i64_e32 vcc, v[0:1], v[4:5]
	v_lshl_add_u64 v[2:3], v[2:3], 0, s[8:9]
	s_or_b64 s[6:7], vcc, s[6:7]
	v_lshl_add_u64 v[10:11], v[10:11], 0, s[8:9]
	s_andn2_b64 exec, exec, s[6:7]
	s_cbranch_execz .LBB196_8
.LBB196_4:                              ; =>This Inner Loop Header: Depth=1
	s_barrier
	global_load_dwordx2 v[12:13], v[2:3], off
	s_mov_b64 s[10:11], -1
	s_and_b64 vcc, exec, s[4:5]
	s_waitcnt vmcnt(0)
	v_subrev_co_u32_e64 v12, s[0:1], s12, v12
	s_nop 1
	v_subb_co_u32_e64 v13, s[0:1], v13, v14, s[0:1]
	s_cbranch_vccz .LBB196_6
; %bb.5:                                ;   in Loop: Header=BB196_4 Depth=1
	global_load_dwordx2 v[16:17], v[10:11], off
	v_lshl_add_u64 v[18:19], v[12:13], 3, v[8:9]
	s_mov_b64 s[10:11], 0
	s_waitcnt vmcnt(0)
	global_store_dwordx2 v[18:19], v[16:17], off
.LBB196_6:                              ;   in Loop: Header=BB196_4 Depth=1
	s_andn2_b64 vcc, exec, s[10:11]
	s_cbranch_vccnz .LBB196_3
; %bb.7:                                ;   in Loop: Header=BB196_4 Depth=1
	global_load_dwordx2 v[16:17], v[10:11], off
	v_mul_lo_u32 v15, v13, s2
	v_mul_lo_u32 v18, v12, s3
	v_mad_u64_u32 v[12:13], s[0:1], v12, s2, 0
	v_add3_u32 v13, v13, v18, v15
	v_lshl_add_u64 v[12:13], v[12:13], 3, v[6:7]
	s_waitcnt vmcnt(0)
	global_store_dwordx2 v[12:13], v[16:17], off
	s_branch .LBB196_3
.LBB196_8:
	s_endpgm
	.section	.rodata,"a",@progbits
	.p2align	6, 0x0
	.amdhsa_kernel _ZN9rocsparseL16csr2dense_kernelILi16ELi64Ell21rocsparse_complex_numIfEEEviT2_S3_PKT3_PKT1_PKS3_PS4_l16rocsparse_order_
		.amdhsa_group_segment_fixed_size 0
		.amdhsa_private_segment_fixed_size 0
		.amdhsa_kernarg_size 68
		.amdhsa_user_sgpr_count 2
		.amdhsa_user_sgpr_dispatch_ptr 0
		.amdhsa_user_sgpr_queue_ptr 0
		.amdhsa_user_sgpr_kernarg_segment_ptr 1
		.amdhsa_user_sgpr_dispatch_id 0
		.amdhsa_user_sgpr_kernarg_preload_length 0
		.amdhsa_user_sgpr_kernarg_preload_offset 0
		.amdhsa_user_sgpr_private_segment_size 0
		.amdhsa_uses_dynamic_stack 0
		.amdhsa_enable_private_segment 0
		.amdhsa_system_sgpr_workgroup_id_x 1
		.amdhsa_system_sgpr_workgroup_id_y 0
		.amdhsa_system_sgpr_workgroup_id_z 0
		.amdhsa_system_sgpr_workgroup_info 0
		.amdhsa_system_vgpr_workitem_id 0
		.amdhsa_next_free_vgpr 20
		.amdhsa_next_free_sgpr 14
		.amdhsa_accum_offset 20
		.amdhsa_reserve_vcc 1
		.amdhsa_float_round_mode_32 0
		.amdhsa_float_round_mode_16_64 0
		.amdhsa_float_denorm_mode_32 3
		.amdhsa_float_denorm_mode_16_64 3
		.amdhsa_dx10_clamp 1
		.amdhsa_ieee_mode 1
		.amdhsa_fp16_overflow 0
		.amdhsa_tg_split 0
		.amdhsa_exception_fp_ieee_invalid_op 0
		.amdhsa_exception_fp_denorm_src 0
		.amdhsa_exception_fp_ieee_div_zero 0
		.amdhsa_exception_fp_ieee_overflow 0
		.amdhsa_exception_fp_ieee_underflow 0
		.amdhsa_exception_fp_ieee_inexact 0
		.amdhsa_exception_int_div_zero 0
	.end_amdhsa_kernel
	.section	.text._ZN9rocsparseL16csr2dense_kernelILi16ELi64Ell21rocsparse_complex_numIfEEEviT2_S3_PKT3_PKT1_PKS3_PS4_l16rocsparse_order_,"axG",@progbits,_ZN9rocsparseL16csr2dense_kernelILi16ELi64Ell21rocsparse_complex_numIfEEEviT2_S3_PKT3_PKT1_PKS3_PS4_l16rocsparse_order_,comdat
.Lfunc_end196:
	.size	_ZN9rocsparseL16csr2dense_kernelILi16ELi64Ell21rocsparse_complex_numIfEEEviT2_S3_PKT3_PKT1_PKS3_PS4_l16rocsparse_order_, .Lfunc_end196-_ZN9rocsparseL16csr2dense_kernelILi16ELi64Ell21rocsparse_complex_numIfEEEviT2_S3_PKT3_PKT1_PKS3_PS4_l16rocsparse_order_
                                        ; -- End function
	.set _ZN9rocsparseL16csr2dense_kernelILi16ELi64Ell21rocsparse_complex_numIfEEEviT2_S3_PKT3_PKT1_PKS3_PS4_l16rocsparse_order_.num_vgpr, 20
	.set _ZN9rocsparseL16csr2dense_kernelILi16ELi64Ell21rocsparse_complex_numIfEEEviT2_S3_PKT3_PKT1_PKS3_PS4_l16rocsparse_order_.num_agpr, 0
	.set _ZN9rocsparseL16csr2dense_kernelILi16ELi64Ell21rocsparse_complex_numIfEEEviT2_S3_PKT3_PKT1_PKS3_PS4_l16rocsparse_order_.numbered_sgpr, 14
	.set _ZN9rocsparseL16csr2dense_kernelILi16ELi64Ell21rocsparse_complex_numIfEEEviT2_S3_PKT3_PKT1_PKS3_PS4_l16rocsparse_order_.num_named_barrier, 0
	.set _ZN9rocsparseL16csr2dense_kernelILi16ELi64Ell21rocsparse_complex_numIfEEEviT2_S3_PKT3_PKT1_PKS3_PS4_l16rocsparse_order_.private_seg_size, 0
	.set _ZN9rocsparseL16csr2dense_kernelILi16ELi64Ell21rocsparse_complex_numIfEEEviT2_S3_PKT3_PKT1_PKS3_PS4_l16rocsparse_order_.uses_vcc, 1
	.set _ZN9rocsparseL16csr2dense_kernelILi16ELi64Ell21rocsparse_complex_numIfEEEviT2_S3_PKT3_PKT1_PKS3_PS4_l16rocsparse_order_.uses_flat_scratch, 0
	.set _ZN9rocsparseL16csr2dense_kernelILi16ELi64Ell21rocsparse_complex_numIfEEEviT2_S3_PKT3_PKT1_PKS3_PS4_l16rocsparse_order_.has_dyn_sized_stack, 0
	.set _ZN9rocsparseL16csr2dense_kernelILi16ELi64Ell21rocsparse_complex_numIfEEEviT2_S3_PKT3_PKT1_PKS3_PS4_l16rocsparse_order_.has_recursion, 0
	.set _ZN9rocsparseL16csr2dense_kernelILi16ELi64Ell21rocsparse_complex_numIfEEEviT2_S3_PKT3_PKT1_PKS3_PS4_l16rocsparse_order_.has_indirect_call, 0
	.section	.AMDGPU.csdata,"",@progbits
; Kernel info:
; codeLenInByte = 460
; TotalNumSgprs: 20
; NumVgprs: 20
; NumAgprs: 0
; TotalNumVgprs: 20
; ScratchSize: 0
; MemoryBound: 0
; FloatMode: 240
; IeeeMode: 1
; LDSByteSize: 0 bytes/workgroup (compile time only)
; SGPRBlocks: 2
; VGPRBlocks: 2
; NumSGPRsForWavesPerEU: 20
; NumVGPRsForWavesPerEU: 20
; AccumOffset: 20
; Occupancy: 8
; WaveLimiterHint : 1
; COMPUTE_PGM_RSRC2:SCRATCH_EN: 0
; COMPUTE_PGM_RSRC2:USER_SGPR: 2
; COMPUTE_PGM_RSRC2:TRAP_HANDLER: 0
; COMPUTE_PGM_RSRC2:TGID_X_EN: 1
; COMPUTE_PGM_RSRC2:TGID_Y_EN: 0
; COMPUTE_PGM_RSRC2:TGID_Z_EN: 0
; COMPUTE_PGM_RSRC2:TIDIG_COMP_CNT: 0
; COMPUTE_PGM_RSRC3_GFX90A:ACCUM_OFFSET: 4
; COMPUTE_PGM_RSRC3_GFX90A:TG_SPLIT: 0
	.section	.text._ZN9rocsparseL16csc2dense_kernelILi16ELi32Ell21rocsparse_complex_numIfEEEviT2_S3_PKT3_PKT1_PKS3_PS4_l16rocsparse_order_,"axG",@progbits,_ZN9rocsparseL16csc2dense_kernelILi16ELi32Ell21rocsparse_complex_numIfEEEviT2_S3_PKT3_PKT1_PKS3_PS4_l16rocsparse_order_,comdat
	.globl	_ZN9rocsparseL16csc2dense_kernelILi16ELi32Ell21rocsparse_complex_numIfEEEviT2_S3_PKT3_PKT1_PKS3_PS4_l16rocsparse_order_ ; -- Begin function _ZN9rocsparseL16csc2dense_kernelILi16ELi32Ell21rocsparse_complex_numIfEEEviT2_S3_PKT3_PKT1_PKS3_PS4_l16rocsparse_order_
	.p2align	8
	.type	_ZN9rocsparseL16csc2dense_kernelILi16ELi32Ell21rocsparse_complex_numIfEEEviT2_S3_PKT3_PKT1_PKS3_PS4_l16rocsparse_order_,@function
_ZN9rocsparseL16csc2dense_kernelILi16ELi32Ell21rocsparse_complex_numIfEEEviT2_S3_PKT3_PKT1_PKS3_PS4_l16rocsparse_order_: ; @_ZN9rocsparseL16csc2dense_kernelILi16ELi32Ell21rocsparse_complex_numIfEEEviT2_S3_PKT3_PKT1_PKS3_PS4_l16rocsparse_order_
; %bb.0:
	s_load_dwordx2 s[4:5], s[0:1], 0x10
	v_lshrrev_b32_e32 v1, 5, v0
	v_lshl_or_b32 v8, s2, 4, v1
	v_mov_b32_e32 v1, 0
	v_mov_b32_e32 v9, v1
	s_waitcnt lgkmcnt(0)
	v_cmp_gt_i64_e32 vcc, s[4:5], v[8:9]
	s_and_saveexec_b64 s[2:3], vcc
	s_cbranch_execz .LBB197_8
; %bb.1:
	s_load_dwordx2 s[2:3], s[0:1], 0x20
	v_and_b32_e32 v0, 31, v0
	s_waitcnt lgkmcnt(0)
	v_lshl_add_u64 v[2:3], v[8:9], 3, s[2:3]
	global_load_dwordx4 v[2:5], v[2:3], off
	s_waitcnt vmcnt(0)
	v_sub_co_u32_e32 v4, vcc, v4, v2
	s_nop 1
	v_subb_co_u32_e32 v5, vcc, v5, v3, vcc
	v_cmp_gt_i64_e32 vcc, v[4:5], v[0:1]
	s_and_b64 exec, exec, vcc
	s_cbranch_execz .LBB197_8
; %bb.2:
	s_load_dword s12, s[0:1], 0x0
	s_load_dwordx4 s[8:11], s[0:1], 0x28
	s_load_dword s4, s[0:1], 0x40
	s_load_dwordx2 s[6:7], s[0:1], 0x18
	s_load_dwordx2 s[2:3], s[0:1], 0x38
	s_waitcnt lgkmcnt(0)
	s_ashr_i32 s13, s12, 31
	v_lshl_add_u64 v[6:7], v[8:9], 3, s[10:11]
	v_lshl_add_u64 v[2:3], v[2:3], 0, v[0:1]
	v_subrev_co_u32_e32 v2, vcc, s12, v2
	v_mad_u64_u32 v[10:11], s[0:1], s2, v8, 0
	v_mov_b32_e32 v12, v11
	v_mad_u64_u32 v[8:9], s[0:1], s3, v8, v[12:13]
	v_mov_b32_e32 v11, v8
	v_lshl_add_u64 v[8:9], v[10:11], 3, s[10:11]
	v_mov_b32_e32 v10, s13
	v_subb_co_u32_e32 v3, vcc, v3, v10, vcc
	s_cmp_lg_u32 s4, 1
	v_lshlrev_b64 v[10:11], 3, v[2:3]
	s_cselect_b64 s[4:5], -1, 0
	v_lshl_add_u64 v[2:3], s[8:9], 0, v[10:11]
	v_lshl_add_u64 v[10:11], s[6:7], 0, v[10:11]
	s_mov_b64 s[6:7], 0
	v_mov_b32_e32 v14, s13
	s_mov_b64 s[8:9], 0x100
	s_branch .LBB197_4
.LBB197_3:                              ;   in Loop: Header=BB197_4 Depth=1
	v_lshl_add_u64 v[0:1], v[0:1], 0, 32
	v_cmp_ge_i64_e32 vcc, v[0:1], v[4:5]
	v_lshl_add_u64 v[2:3], v[2:3], 0, s[8:9]
	s_or_b64 s[6:7], vcc, s[6:7]
	v_lshl_add_u64 v[10:11], v[10:11], 0, s[8:9]
	s_andn2_b64 exec, exec, s[6:7]
	s_cbranch_execz .LBB197_8
.LBB197_4:                              ; =>This Inner Loop Header: Depth=1
	global_load_dwordx2 v[12:13], v[2:3], off
	s_mov_b64 s[10:11], -1
	s_and_b64 vcc, exec, s[4:5]
	s_waitcnt vmcnt(0)
	v_subrev_co_u32_e64 v12, s[0:1], s12, v12
	s_nop 1
	v_subb_co_u32_e64 v13, s[0:1], v13, v14, s[0:1]
	s_cbranch_vccz .LBB197_6
; %bb.5:                                ;   in Loop: Header=BB197_4 Depth=1
	global_load_dwordx2 v[16:17], v[10:11], off
	v_mul_lo_u32 v15, v13, s2
	v_mul_lo_u32 v20, v12, s3
	v_mad_u64_u32 v[18:19], s[0:1], v12, s2, 0
	v_add3_u32 v19, v19, v20, v15
	v_lshl_add_u64 v[18:19], v[18:19], 3, v[6:7]
	s_mov_b64 s[10:11], 0
	s_waitcnt vmcnt(0)
	global_store_dwordx2 v[18:19], v[16:17], off
.LBB197_6:                              ;   in Loop: Header=BB197_4 Depth=1
	s_andn2_b64 vcc, exec, s[10:11]
	s_cbranch_vccnz .LBB197_3
; %bb.7:                                ;   in Loop: Header=BB197_4 Depth=1
	global_load_dwordx2 v[16:17], v[10:11], off
	v_lshl_add_u64 v[12:13], v[12:13], 3, v[8:9]
	s_waitcnt vmcnt(0)
	global_store_dwordx2 v[12:13], v[16:17], off
	s_branch .LBB197_3
.LBB197_8:
	s_endpgm
	.section	.rodata,"a",@progbits
	.p2align	6, 0x0
	.amdhsa_kernel _ZN9rocsparseL16csc2dense_kernelILi16ELi32Ell21rocsparse_complex_numIfEEEviT2_S3_PKT3_PKT1_PKS3_PS4_l16rocsparse_order_
		.amdhsa_group_segment_fixed_size 0
		.amdhsa_private_segment_fixed_size 0
		.amdhsa_kernarg_size 68
		.amdhsa_user_sgpr_count 2
		.amdhsa_user_sgpr_dispatch_ptr 0
		.amdhsa_user_sgpr_queue_ptr 0
		.amdhsa_user_sgpr_kernarg_segment_ptr 1
		.amdhsa_user_sgpr_dispatch_id 0
		.amdhsa_user_sgpr_kernarg_preload_length 0
		.amdhsa_user_sgpr_kernarg_preload_offset 0
		.amdhsa_user_sgpr_private_segment_size 0
		.amdhsa_uses_dynamic_stack 0
		.amdhsa_enable_private_segment 0
		.amdhsa_system_sgpr_workgroup_id_x 1
		.amdhsa_system_sgpr_workgroup_id_y 0
		.amdhsa_system_sgpr_workgroup_id_z 0
		.amdhsa_system_sgpr_workgroup_info 0
		.amdhsa_system_vgpr_workitem_id 0
		.amdhsa_next_free_vgpr 21
		.amdhsa_next_free_sgpr 14
		.amdhsa_accum_offset 24
		.amdhsa_reserve_vcc 1
		.amdhsa_float_round_mode_32 0
		.amdhsa_float_round_mode_16_64 0
		.amdhsa_float_denorm_mode_32 3
		.amdhsa_float_denorm_mode_16_64 3
		.amdhsa_dx10_clamp 1
		.amdhsa_ieee_mode 1
		.amdhsa_fp16_overflow 0
		.amdhsa_tg_split 0
		.amdhsa_exception_fp_ieee_invalid_op 0
		.amdhsa_exception_fp_denorm_src 0
		.amdhsa_exception_fp_ieee_div_zero 0
		.amdhsa_exception_fp_ieee_overflow 0
		.amdhsa_exception_fp_ieee_underflow 0
		.amdhsa_exception_fp_ieee_inexact 0
		.amdhsa_exception_int_div_zero 0
	.end_amdhsa_kernel
	.section	.text._ZN9rocsparseL16csc2dense_kernelILi16ELi32Ell21rocsparse_complex_numIfEEEviT2_S3_PKT3_PKT1_PKS3_PS4_l16rocsparse_order_,"axG",@progbits,_ZN9rocsparseL16csc2dense_kernelILi16ELi32Ell21rocsparse_complex_numIfEEEviT2_S3_PKT3_PKT1_PKS3_PS4_l16rocsparse_order_,comdat
.Lfunc_end197:
	.size	_ZN9rocsparseL16csc2dense_kernelILi16ELi32Ell21rocsparse_complex_numIfEEEviT2_S3_PKT3_PKT1_PKS3_PS4_l16rocsparse_order_, .Lfunc_end197-_ZN9rocsparseL16csc2dense_kernelILi16ELi32Ell21rocsparse_complex_numIfEEEviT2_S3_PKT3_PKT1_PKS3_PS4_l16rocsparse_order_
                                        ; -- End function
	.set _ZN9rocsparseL16csc2dense_kernelILi16ELi32Ell21rocsparse_complex_numIfEEEviT2_S3_PKT3_PKT1_PKS3_PS4_l16rocsparse_order_.num_vgpr, 21
	.set _ZN9rocsparseL16csc2dense_kernelILi16ELi32Ell21rocsparse_complex_numIfEEEviT2_S3_PKT3_PKT1_PKS3_PS4_l16rocsparse_order_.num_agpr, 0
	.set _ZN9rocsparseL16csc2dense_kernelILi16ELi32Ell21rocsparse_complex_numIfEEEviT2_S3_PKT3_PKT1_PKS3_PS4_l16rocsparse_order_.numbered_sgpr, 14
	.set _ZN9rocsparseL16csc2dense_kernelILi16ELi32Ell21rocsparse_complex_numIfEEEviT2_S3_PKT3_PKT1_PKS3_PS4_l16rocsparse_order_.num_named_barrier, 0
	.set _ZN9rocsparseL16csc2dense_kernelILi16ELi32Ell21rocsparse_complex_numIfEEEviT2_S3_PKT3_PKT1_PKS3_PS4_l16rocsparse_order_.private_seg_size, 0
	.set _ZN9rocsparseL16csc2dense_kernelILi16ELi32Ell21rocsparse_complex_numIfEEEviT2_S3_PKT3_PKT1_PKS3_PS4_l16rocsparse_order_.uses_vcc, 1
	.set _ZN9rocsparseL16csc2dense_kernelILi16ELi32Ell21rocsparse_complex_numIfEEEviT2_S3_PKT3_PKT1_PKS3_PS4_l16rocsparse_order_.uses_flat_scratch, 0
	.set _ZN9rocsparseL16csc2dense_kernelILi16ELi32Ell21rocsparse_complex_numIfEEEviT2_S3_PKT3_PKT1_PKS3_PS4_l16rocsparse_order_.has_dyn_sized_stack, 0
	.set _ZN9rocsparseL16csc2dense_kernelILi16ELi32Ell21rocsparse_complex_numIfEEEviT2_S3_PKT3_PKT1_PKS3_PS4_l16rocsparse_order_.has_recursion, 0
	.set _ZN9rocsparseL16csc2dense_kernelILi16ELi32Ell21rocsparse_complex_numIfEEEviT2_S3_PKT3_PKT1_PKS3_PS4_l16rocsparse_order_.has_indirect_call, 0
	.section	.AMDGPU.csdata,"",@progbits
; Kernel info:
; codeLenInByte = 456
; TotalNumSgprs: 20
; NumVgprs: 21
; NumAgprs: 0
; TotalNumVgprs: 21
; ScratchSize: 0
; MemoryBound: 0
; FloatMode: 240
; IeeeMode: 1
; LDSByteSize: 0 bytes/workgroup (compile time only)
; SGPRBlocks: 2
; VGPRBlocks: 2
; NumSGPRsForWavesPerEU: 20
; NumVGPRsForWavesPerEU: 21
; AccumOffset: 24
; Occupancy: 8
; WaveLimiterHint : 1
; COMPUTE_PGM_RSRC2:SCRATCH_EN: 0
; COMPUTE_PGM_RSRC2:USER_SGPR: 2
; COMPUTE_PGM_RSRC2:TRAP_HANDLER: 0
; COMPUTE_PGM_RSRC2:TGID_X_EN: 1
; COMPUTE_PGM_RSRC2:TGID_Y_EN: 0
; COMPUTE_PGM_RSRC2:TGID_Z_EN: 0
; COMPUTE_PGM_RSRC2:TIDIG_COMP_CNT: 0
; COMPUTE_PGM_RSRC3_GFX90A:ACCUM_OFFSET: 5
; COMPUTE_PGM_RSRC3_GFX90A:TG_SPLIT: 0
	.section	.text._ZN9rocsparseL16csc2dense_kernelILi16ELi64Ell21rocsparse_complex_numIfEEEviT2_S3_PKT3_PKT1_PKS3_PS4_l16rocsparse_order_,"axG",@progbits,_ZN9rocsparseL16csc2dense_kernelILi16ELi64Ell21rocsparse_complex_numIfEEEviT2_S3_PKT3_PKT1_PKS3_PS4_l16rocsparse_order_,comdat
	.globl	_ZN9rocsparseL16csc2dense_kernelILi16ELi64Ell21rocsparse_complex_numIfEEEviT2_S3_PKT3_PKT1_PKS3_PS4_l16rocsparse_order_ ; -- Begin function _ZN9rocsparseL16csc2dense_kernelILi16ELi64Ell21rocsparse_complex_numIfEEEviT2_S3_PKT3_PKT1_PKS3_PS4_l16rocsparse_order_
	.p2align	8
	.type	_ZN9rocsparseL16csc2dense_kernelILi16ELi64Ell21rocsparse_complex_numIfEEEviT2_S3_PKT3_PKT1_PKS3_PS4_l16rocsparse_order_,@function
_ZN9rocsparseL16csc2dense_kernelILi16ELi64Ell21rocsparse_complex_numIfEEEviT2_S3_PKT3_PKT1_PKS3_PS4_l16rocsparse_order_: ; @_ZN9rocsparseL16csc2dense_kernelILi16ELi64Ell21rocsparse_complex_numIfEEEviT2_S3_PKT3_PKT1_PKS3_PS4_l16rocsparse_order_
; %bb.0:
	s_load_dwordx2 s[4:5], s[0:1], 0x10
	v_lshrrev_b32_e32 v1, 6, v0
	v_lshl_or_b32 v8, s2, 4, v1
	v_mov_b32_e32 v1, 0
	v_mov_b32_e32 v9, v1
	s_waitcnt lgkmcnt(0)
	v_cmp_gt_i64_e32 vcc, s[4:5], v[8:9]
	s_and_saveexec_b64 s[2:3], vcc
	s_cbranch_execz .LBB198_8
; %bb.1:
	s_load_dwordx2 s[2:3], s[0:1], 0x20
	v_and_b32_e32 v0, 63, v0
	s_waitcnt lgkmcnt(0)
	v_lshl_add_u64 v[2:3], v[8:9], 3, s[2:3]
	global_load_dwordx4 v[2:5], v[2:3], off
	s_waitcnt vmcnt(0)
	v_sub_co_u32_e32 v4, vcc, v4, v2
	s_nop 1
	v_subb_co_u32_e32 v5, vcc, v5, v3, vcc
	v_cmp_gt_i64_e32 vcc, v[4:5], v[0:1]
	s_and_b64 exec, exec, vcc
	s_cbranch_execz .LBB198_8
; %bb.2:
	s_load_dword s12, s[0:1], 0x0
	s_load_dwordx4 s[8:11], s[0:1], 0x28
	s_load_dword s4, s[0:1], 0x40
	s_load_dwordx2 s[6:7], s[0:1], 0x18
	s_load_dwordx2 s[2:3], s[0:1], 0x38
	s_waitcnt lgkmcnt(0)
	s_ashr_i32 s13, s12, 31
	v_lshl_add_u64 v[6:7], v[8:9], 3, s[10:11]
	v_lshl_add_u64 v[2:3], v[2:3], 0, v[0:1]
	v_subrev_co_u32_e32 v2, vcc, s12, v2
	v_mad_u64_u32 v[10:11], s[0:1], s2, v8, 0
	v_mov_b32_e32 v12, v11
	v_mad_u64_u32 v[8:9], s[0:1], s3, v8, v[12:13]
	v_mov_b32_e32 v11, v8
	v_lshl_add_u64 v[8:9], v[10:11], 3, s[10:11]
	v_mov_b32_e32 v10, s13
	v_subb_co_u32_e32 v3, vcc, v3, v10, vcc
	s_cmp_lg_u32 s4, 1
	v_lshlrev_b64 v[10:11], 3, v[2:3]
	s_cselect_b64 s[4:5], -1, 0
	v_lshl_add_u64 v[2:3], s[8:9], 0, v[10:11]
	v_lshl_add_u64 v[10:11], s[6:7], 0, v[10:11]
	s_mov_b64 s[6:7], 0
	v_mov_b32_e32 v14, s13
	s_mov_b64 s[8:9], 0x200
	s_branch .LBB198_4
.LBB198_3:                              ;   in Loop: Header=BB198_4 Depth=1
	v_lshl_add_u64 v[0:1], v[0:1], 0, 64
	v_cmp_ge_i64_e32 vcc, v[0:1], v[4:5]
	v_lshl_add_u64 v[2:3], v[2:3], 0, s[8:9]
	s_or_b64 s[6:7], vcc, s[6:7]
	v_lshl_add_u64 v[10:11], v[10:11], 0, s[8:9]
	s_andn2_b64 exec, exec, s[6:7]
	s_cbranch_execz .LBB198_8
.LBB198_4:                              ; =>This Inner Loop Header: Depth=1
	global_load_dwordx2 v[12:13], v[2:3], off
	s_mov_b64 s[10:11], -1
	s_and_b64 vcc, exec, s[4:5]
	s_waitcnt vmcnt(0)
	v_subrev_co_u32_e64 v12, s[0:1], s12, v12
	s_nop 1
	v_subb_co_u32_e64 v13, s[0:1], v13, v14, s[0:1]
	s_cbranch_vccz .LBB198_6
; %bb.5:                                ;   in Loop: Header=BB198_4 Depth=1
	global_load_dwordx2 v[16:17], v[10:11], off
	v_mul_lo_u32 v15, v13, s2
	v_mul_lo_u32 v20, v12, s3
	v_mad_u64_u32 v[18:19], s[0:1], v12, s2, 0
	v_add3_u32 v19, v19, v20, v15
	v_lshl_add_u64 v[18:19], v[18:19], 3, v[6:7]
	s_mov_b64 s[10:11], 0
	s_waitcnt vmcnt(0)
	global_store_dwordx2 v[18:19], v[16:17], off
.LBB198_6:                              ;   in Loop: Header=BB198_4 Depth=1
	s_andn2_b64 vcc, exec, s[10:11]
	s_cbranch_vccnz .LBB198_3
; %bb.7:                                ;   in Loop: Header=BB198_4 Depth=1
	global_load_dwordx2 v[16:17], v[10:11], off
	v_lshl_add_u64 v[12:13], v[12:13], 3, v[8:9]
	s_waitcnt vmcnt(0)
	global_store_dwordx2 v[12:13], v[16:17], off
	s_branch .LBB198_3
.LBB198_8:
	s_endpgm
	.section	.rodata,"a",@progbits
	.p2align	6, 0x0
	.amdhsa_kernel _ZN9rocsparseL16csc2dense_kernelILi16ELi64Ell21rocsparse_complex_numIfEEEviT2_S3_PKT3_PKT1_PKS3_PS4_l16rocsparse_order_
		.amdhsa_group_segment_fixed_size 0
		.amdhsa_private_segment_fixed_size 0
		.amdhsa_kernarg_size 68
		.amdhsa_user_sgpr_count 2
		.amdhsa_user_sgpr_dispatch_ptr 0
		.amdhsa_user_sgpr_queue_ptr 0
		.amdhsa_user_sgpr_kernarg_segment_ptr 1
		.amdhsa_user_sgpr_dispatch_id 0
		.amdhsa_user_sgpr_kernarg_preload_length 0
		.amdhsa_user_sgpr_kernarg_preload_offset 0
		.amdhsa_user_sgpr_private_segment_size 0
		.amdhsa_uses_dynamic_stack 0
		.amdhsa_enable_private_segment 0
		.amdhsa_system_sgpr_workgroup_id_x 1
		.amdhsa_system_sgpr_workgroup_id_y 0
		.amdhsa_system_sgpr_workgroup_id_z 0
		.amdhsa_system_sgpr_workgroup_info 0
		.amdhsa_system_vgpr_workitem_id 0
		.amdhsa_next_free_vgpr 21
		.amdhsa_next_free_sgpr 14
		.amdhsa_accum_offset 24
		.amdhsa_reserve_vcc 1
		.amdhsa_float_round_mode_32 0
		.amdhsa_float_round_mode_16_64 0
		.amdhsa_float_denorm_mode_32 3
		.amdhsa_float_denorm_mode_16_64 3
		.amdhsa_dx10_clamp 1
		.amdhsa_ieee_mode 1
		.amdhsa_fp16_overflow 0
		.amdhsa_tg_split 0
		.amdhsa_exception_fp_ieee_invalid_op 0
		.amdhsa_exception_fp_denorm_src 0
		.amdhsa_exception_fp_ieee_div_zero 0
		.amdhsa_exception_fp_ieee_overflow 0
		.amdhsa_exception_fp_ieee_underflow 0
		.amdhsa_exception_fp_ieee_inexact 0
		.amdhsa_exception_int_div_zero 0
	.end_amdhsa_kernel
	.section	.text._ZN9rocsparseL16csc2dense_kernelILi16ELi64Ell21rocsparse_complex_numIfEEEviT2_S3_PKT3_PKT1_PKS3_PS4_l16rocsparse_order_,"axG",@progbits,_ZN9rocsparseL16csc2dense_kernelILi16ELi64Ell21rocsparse_complex_numIfEEEviT2_S3_PKT3_PKT1_PKS3_PS4_l16rocsparse_order_,comdat
.Lfunc_end198:
	.size	_ZN9rocsparseL16csc2dense_kernelILi16ELi64Ell21rocsparse_complex_numIfEEEviT2_S3_PKT3_PKT1_PKS3_PS4_l16rocsparse_order_, .Lfunc_end198-_ZN9rocsparseL16csc2dense_kernelILi16ELi64Ell21rocsparse_complex_numIfEEEviT2_S3_PKT3_PKT1_PKS3_PS4_l16rocsparse_order_
                                        ; -- End function
	.set _ZN9rocsparseL16csc2dense_kernelILi16ELi64Ell21rocsparse_complex_numIfEEEviT2_S3_PKT3_PKT1_PKS3_PS4_l16rocsparse_order_.num_vgpr, 21
	.set _ZN9rocsparseL16csc2dense_kernelILi16ELi64Ell21rocsparse_complex_numIfEEEviT2_S3_PKT3_PKT1_PKS3_PS4_l16rocsparse_order_.num_agpr, 0
	.set _ZN9rocsparseL16csc2dense_kernelILi16ELi64Ell21rocsparse_complex_numIfEEEviT2_S3_PKT3_PKT1_PKS3_PS4_l16rocsparse_order_.numbered_sgpr, 14
	.set _ZN9rocsparseL16csc2dense_kernelILi16ELi64Ell21rocsparse_complex_numIfEEEviT2_S3_PKT3_PKT1_PKS3_PS4_l16rocsparse_order_.num_named_barrier, 0
	.set _ZN9rocsparseL16csc2dense_kernelILi16ELi64Ell21rocsparse_complex_numIfEEEviT2_S3_PKT3_PKT1_PKS3_PS4_l16rocsparse_order_.private_seg_size, 0
	.set _ZN9rocsparseL16csc2dense_kernelILi16ELi64Ell21rocsparse_complex_numIfEEEviT2_S3_PKT3_PKT1_PKS3_PS4_l16rocsparse_order_.uses_vcc, 1
	.set _ZN9rocsparseL16csc2dense_kernelILi16ELi64Ell21rocsparse_complex_numIfEEEviT2_S3_PKT3_PKT1_PKS3_PS4_l16rocsparse_order_.uses_flat_scratch, 0
	.set _ZN9rocsparseL16csc2dense_kernelILi16ELi64Ell21rocsparse_complex_numIfEEEviT2_S3_PKT3_PKT1_PKS3_PS4_l16rocsparse_order_.has_dyn_sized_stack, 0
	.set _ZN9rocsparseL16csc2dense_kernelILi16ELi64Ell21rocsparse_complex_numIfEEEviT2_S3_PKT3_PKT1_PKS3_PS4_l16rocsparse_order_.has_recursion, 0
	.set _ZN9rocsparseL16csc2dense_kernelILi16ELi64Ell21rocsparse_complex_numIfEEEviT2_S3_PKT3_PKT1_PKS3_PS4_l16rocsparse_order_.has_indirect_call, 0
	.section	.AMDGPU.csdata,"",@progbits
; Kernel info:
; codeLenInByte = 456
; TotalNumSgprs: 20
; NumVgprs: 21
; NumAgprs: 0
; TotalNumVgprs: 21
; ScratchSize: 0
; MemoryBound: 0
; FloatMode: 240
; IeeeMode: 1
; LDSByteSize: 0 bytes/workgroup (compile time only)
; SGPRBlocks: 2
; VGPRBlocks: 2
; NumSGPRsForWavesPerEU: 20
; NumVGPRsForWavesPerEU: 21
; AccumOffset: 24
; Occupancy: 8
; WaveLimiterHint : 1
; COMPUTE_PGM_RSRC2:SCRATCH_EN: 0
; COMPUTE_PGM_RSRC2:USER_SGPR: 2
; COMPUTE_PGM_RSRC2:TRAP_HANDLER: 0
; COMPUTE_PGM_RSRC2:TGID_X_EN: 1
; COMPUTE_PGM_RSRC2:TGID_Y_EN: 0
; COMPUTE_PGM_RSRC2:TGID_Z_EN: 0
; COMPUTE_PGM_RSRC2:TIDIG_COMP_CNT: 0
; COMPUTE_PGM_RSRC3_GFX90A:ACCUM_OFFSET: 5
; COMPUTE_PGM_RSRC3_GFX90A:TG_SPLIT: 0
	.section	.text._ZN9rocsparseL23sddmm_csx_sample_kernelILi512ELi64EL20rocsparse_direction_1E21rocsparse_complex_numIfEllS3_EEvT4_S4_T3_PKT5_S4_PS6_PKS5_PKS4_21rocsparse_index_base_,"axG",@progbits,_ZN9rocsparseL23sddmm_csx_sample_kernelILi512ELi64EL20rocsparse_direction_1E21rocsparse_complex_numIfEllS3_EEvT4_S4_T3_PKT5_S4_PS6_PKS5_PKS4_21rocsparse_index_base_,comdat
	.globl	_ZN9rocsparseL23sddmm_csx_sample_kernelILi512ELi64EL20rocsparse_direction_1E21rocsparse_complex_numIfEllS3_EEvT4_S4_T3_PKT5_S4_PS6_PKS5_PKS4_21rocsparse_index_base_ ; -- Begin function _ZN9rocsparseL23sddmm_csx_sample_kernelILi512ELi64EL20rocsparse_direction_1E21rocsparse_complex_numIfEllS3_EEvT4_S4_T3_PKT5_S4_PS6_PKS5_PKS4_21rocsparse_index_base_
	.p2align	8
	.type	_ZN9rocsparseL23sddmm_csx_sample_kernelILi512ELi64EL20rocsparse_direction_1E21rocsparse_complex_numIfEllS3_EEvT4_S4_T3_PKT5_S4_PS6_PKS5_PKS4_21rocsparse_index_base_,@function
_ZN9rocsparseL23sddmm_csx_sample_kernelILi512ELi64EL20rocsparse_direction_1E21rocsparse_complex_numIfEllS3_EEvT4_S4_T3_PKT5_S4_PS6_PKS5_PKS4_21rocsparse_index_base_: ; @_ZN9rocsparseL23sddmm_csx_sample_kernelILi512ELi64EL20rocsparse_direction_1E21rocsparse_complex_numIfEllS3_EEvT4_S4_T3_PKT5_S4_PS6_PKS5_PKS4_21rocsparse_index_base_
; %bb.0:
	s_load_dwordx2 s[4:5], s[0:1], 0x8
	v_lshrrev_b32_e32 v1, 6, v0
	v_lshl_or_b32 v4, s2, 3, v1
	v_mov_b32_e32 v5, 0
	s_waitcnt lgkmcnt(0)
	v_cmp_gt_i64_e32 vcc, s[4:5], v[4:5]
	s_and_saveexec_b64 s[2:3], vcc
	s_cbranch_execz .LBB199_4
; %bb.1:
	s_load_dwordx2 s[2:3], s[0:1], 0x30
	s_load_dword s4, s[0:1], 0x40
	v_add_u32_e32 v2, 1, v4
	v_mov_b32_e32 v3, v5
	v_and_b32_e32 v0, 63, v0
	s_waitcnt lgkmcnt(0)
	v_lshl_add_u64 v[6:7], v[4:5], 3, s[2:3]
	v_lshl_add_u64 v[2:3], v[2:3], 3, s[2:3]
	global_load_dwordx2 v[6:7], v[6:7], off
	v_subrev_co_u32_e32 v0, vcc, s4, v0
	global_load_dwordx2 v[2:3], v[2:3], off
	s_nop 0
	v_subb_co_u32_e64 v1, s[2:3], 0, 0, vcc
	s_waitcnt vmcnt(1)
	v_lshl_add_u64 v[0:1], v[0:1], 0, v[6:7]
	s_waitcnt vmcnt(0)
	v_subrev_co_u32_e32 v2, vcc, s4, v2
	s_nop 1
	v_subbrev_co_u32_e32 v3, vcc, 0, v3, vcc
	v_cmp_lt_i64_e32 vcc, v[0:1], v[2:3]
	s_and_b64 exec, exec, vcc
	s_cbranch_execz .LBB199_4
; %bb.2:
	s_load_dwordx4 s[8:11], s[0:1], 0x18
	s_load_dwordx2 s[2:3], s[0:1], 0x28
	s_load_dwordx2 s[6:7], s[0:1], 0x38
	s_waitcnt lgkmcnt(0)
	v_mad_u64_u32 v[6:7], s[0:1], s10, v4, 0
	v_mov_b32_e32 v8, v7
	v_mad_u64_u32 v[4:5], s[0:1], s11, v4, v[8:9]
	v_mov_b32_e32 v7, v4
	v_lshlrev_b64 v[8:9], 3, v[0:1]
	v_lshl_add_u64 v[4:5], v[6:7], 3, s[8:9]
	v_lshl_add_u64 v[6:7], s[2:3], 0, v[8:9]
	;; [unrolled: 1-line block ×3, first 2 shown]
	s_mov_b64 s[0:1], 0
	s_mov_b64 s[2:3], 0x200
.LBB199_3:                              ; =>This Inner Loop Header: Depth=1
	global_load_dwordx2 v[10:11], v[8:9], off
	v_lshl_add_u64 v[0:1], v[0:1], 0, 64
	v_lshl_add_u64 v[8:9], v[8:9], 0, s[2:3]
	s_waitcnt vmcnt(0)
	v_subrev_co_u32_e32 v10, vcc, s4, v10
	s_nop 1
	v_subbrev_co_u32_e32 v11, vcc, 0, v11, vcc
	v_lshl_add_u64 v[10:11], v[10:11], 3, v[4:5]
	global_load_dwordx2 v[10:11], v[10:11], off
	v_cmp_ge_i64_e32 vcc, v[0:1], v[2:3]
	s_or_b64 s[0:1], vcc, s[0:1]
	s_waitcnt vmcnt(0)
	global_store_dwordx2 v[6:7], v[10:11], off
	v_lshl_add_u64 v[6:7], v[6:7], 0, s[2:3]
	s_andn2_b64 exec, exec, s[0:1]
	s_cbranch_execnz .LBB199_3
.LBB199_4:
	s_endpgm
	.section	.rodata,"a",@progbits
	.p2align	6, 0x0
	.amdhsa_kernel _ZN9rocsparseL23sddmm_csx_sample_kernelILi512ELi64EL20rocsparse_direction_1E21rocsparse_complex_numIfEllS3_EEvT4_S4_T3_PKT5_S4_PS6_PKS5_PKS4_21rocsparse_index_base_
		.amdhsa_group_segment_fixed_size 0
		.amdhsa_private_segment_fixed_size 0
		.amdhsa_kernarg_size 68
		.amdhsa_user_sgpr_count 2
		.amdhsa_user_sgpr_dispatch_ptr 0
		.amdhsa_user_sgpr_queue_ptr 0
		.amdhsa_user_sgpr_kernarg_segment_ptr 1
		.amdhsa_user_sgpr_dispatch_id 0
		.amdhsa_user_sgpr_kernarg_preload_length 0
		.amdhsa_user_sgpr_kernarg_preload_offset 0
		.amdhsa_user_sgpr_private_segment_size 0
		.amdhsa_uses_dynamic_stack 0
		.amdhsa_enable_private_segment 0
		.amdhsa_system_sgpr_workgroup_id_x 1
		.amdhsa_system_sgpr_workgroup_id_y 0
		.amdhsa_system_sgpr_workgroup_id_z 0
		.amdhsa_system_sgpr_workgroup_info 0
		.amdhsa_system_vgpr_workitem_id 0
		.amdhsa_next_free_vgpr 12
		.amdhsa_next_free_sgpr 12
		.amdhsa_accum_offset 12
		.amdhsa_reserve_vcc 1
		.amdhsa_float_round_mode_32 0
		.amdhsa_float_round_mode_16_64 0
		.amdhsa_float_denorm_mode_32 3
		.amdhsa_float_denorm_mode_16_64 3
		.amdhsa_dx10_clamp 1
		.amdhsa_ieee_mode 1
		.amdhsa_fp16_overflow 0
		.amdhsa_tg_split 0
		.amdhsa_exception_fp_ieee_invalid_op 0
		.amdhsa_exception_fp_denorm_src 0
		.amdhsa_exception_fp_ieee_div_zero 0
		.amdhsa_exception_fp_ieee_overflow 0
		.amdhsa_exception_fp_ieee_underflow 0
		.amdhsa_exception_fp_ieee_inexact 0
		.amdhsa_exception_int_div_zero 0
	.end_amdhsa_kernel
	.section	.text._ZN9rocsparseL23sddmm_csx_sample_kernelILi512ELi64EL20rocsparse_direction_1E21rocsparse_complex_numIfEllS3_EEvT4_S4_T3_PKT5_S4_PS6_PKS5_PKS4_21rocsparse_index_base_,"axG",@progbits,_ZN9rocsparseL23sddmm_csx_sample_kernelILi512ELi64EL20rocsparse_direction_1E21rocsparse_complex_numIfEllS3_EEvT4_S4_T3_PKT5_S4_PS6_PKS5_PKS4_21rocsparse_index_base_,comdat
.Lfunc_end199:
	.size	_ZN9rocsparseL23sddmm_csx_sample_kernelILi512ELi64EL20rocsparse_direction_1E21rocsparse_complex_numIfEllS3_EEvT4_S4_T3_PKT5_S4_PS6_PKS5_PKS4_21rocsparse_index_base_, .Lfunc_end199-_ZN9rocsparseL23sddmm_csx_sample_kernelILi512ELi64EL20rocsparse_direction_1E21rocsparse_complex_numIfEllS3_EEvT4_S4_T3_PKT5_S4_PS6_PKS5_PKS4_21rocsparse_index_base_
                                        ; -- End function
	.set _ZN9rocsparseL23sddmm_csx_sample_kernelILi512ELi64EL20rocsparse_direction_1E21rocsparse_complex_numIfEllS3_EEvT4_S4_T3_PKT5_S4_PS6_PKS5_PKS4_21rocsparse_index_base_.num_vgpr, 12
	.set _ZN9rocsparseL23sddmm_csx_sample_kernelILi512ELi64EL20rocsparse_direction_1E21rocsparse_complex_numIfEllS3_EEvT4_S4_T3_PKT5_S4_PS6_PKS5_PKS4_21rocsparse_index_base_.num_agpr, 0
	.set _ZN9rocsparseL23sddmm_csx_sample_kernelILi512ELi64EL20rocsparse_direction_1E21rocsparse_complex_numIfEllS3_EEvT4_S4_T3_PKT5_S4_PS6_PKS5_PKS4_21rocsparse_index_base_.numbered_sgpr, 12
	.set _ZN9rocsparseL23sddmm_csx_sample_kernelILi512ELi64EL20rocsparse_direction_1E21rocsparse_complex_numIfEllS3_EEvT4_S4_T3_PKT5_S4_PS6_PKS5_PKS4_21rocsparse_index_base_.num_named_barrier, 0
	.set _ZN9rocsparseL23sddmm_csx_sample_kernelILi512ELi64EL20rocsparse_direction_1E21rocsparse_complex_numIfEllS3_EEvT4_S4_T3_PKT5_S4_PS6_PKS5_PKS4_21rocsparse_index_base_.private_seg_size, 0
	.set _ZN9rocsparseL23sddmm_csx_sample_kernelILi512ELi64EL20rocsparse_direction_1E21rocsparse_complex_numIfEllS3_EEvT4_S4_T3_PKT5_S4_PS6_PKS5_PKS4_21rocsparse_index_base_.uses_vcc, 1
	.set _ZN9rocsparseL23sddmm_csx_sample_kernelILi512ELi64EL20rocsparse_direction_1E21rocsparse_complex_numIfEllS3_EEvT4_S4_T3_PKT5_S4_PS6_PKS5_PKS4_21rocsparse_index_base_.uses_flat_scratch, 0
	.set _ZN9rocsparseL23sddmm_csx_sample_kernelILi512ELi64EL20rocsparse_direction_1E21rocsparse_complex_numIfEllS3_EEvT4_S4_T3_PKT5_S4_PS6_PKS5_PKS4_21rocsparse_index_base_.has_dyn_sized_stack, 0
	.set _ZN9rocsparseL23sddmm_csx_sample_kernelILi512ELi64EL20rocsparse_direction_1E21rocsparse_complex_numIfEllS3_EEvT4_S4_T3_PKT5_S4_PS6_PKS5_PKS4_21rocsparse_index_base_.has_recursion, 0
	.set _ZN9rocsparseL23sddmm_csx_sample_kernelILi512ELi64EL20rocsparse_direction_1E21rocsparse_complex_numIfEllS3_EEvT4_S4_T3_PKT5_S4_PS6_PKS5_PKS4_21rocsparse_index_base_.has_indirect_call, 0
	.section	.AMDGPU.csdata,"",@progbits
; Kernel info:
; codeLenInByte = 352
; TotalNumSgprs: 18
; NumVgprs: 12
; NumAgprs: 0
; TotalNumVgprs: 12
; ScratchSize: 0
; MemoryBound: 0
; FloatMode: 240
; IeeeMode: 1
; LDSByteSize: 0 bytes/workgroup (compile time only)
; SGPRBlocks: 2
; VGPRBlocks: 1
; NumSGPRsForWavesPerEU: 18
; NumVGPRsForWavesPerEU: 12
; AccumOffset: 12
; Occupancy: 8
; WaveLimiterHint : 1
; COMPUTE_PGM_RSRC2:SCRATCH_EN: 0
; COMPUTE_PGM_RSRC2:USER_SGPR: 2
; COMPUTE_PGM_RSRC2:TRAP_HANDLER: 0
; COMPUTE_PGM_RSRC2:TGID_X_EN: 1
; COMPUTE_PGM_RSRC2:TGID_Y_EN: 0
; COMPUTE_PGM_RSRC2:TGID_Z_EN: 0
; COMPUTE_PGM_RSRC2:TIDIG_COMP_CNT: 0
; COMPUTE_PGM_RSRC3_GFX90A:ACCUM_OFFSET: 2
; COMPUTE_PGM_RSRC3_GFX90A:TG_SPLIT: 0
	.section	.text._ZN9rocsparseL23sddmm_csx_sample_kernelILi512ELi32EL20rocsparse_direction_1E21rocsparse_complex_numIfEllS3_EEvT4_S4_T3_PKT5_S4_PS6_PKS5_PKS4_21rocsparse_index_base_,"axG",@progbits,_ZN9rocsparseL23sddmm_csx_sample_kernelILi512ELi32EL20rocsparse_direction_1E21rocsparse_complex_numIfEllS3_EEvT4_S4_T3_PKT5_S4_PS6_PKS5_PKS4_21rocsparse_index_base_,comdat
	.globl	_ZN9rocsparseL23sddmm_csx_sample_kernelILi512ELi32EL20rocsparse_direction_1E21rocsparse_complex_numIfEllS3_EEvT4_S4_T3_PKT5_S4_PS6_PKS5_PKS4_21rocsparse_index_base_ ; -- Begin function _ZN9rocsparseL23sddmm_csx_sample_kernelILi512ELi32EL20rocsparse_direction_1E21rocsparse_complex_numIfEllS3_EEvT4_S4_T3_PKT5_S4_PS6_PKS5_PKS4_21rocsparse_index_base_
	.p2align	8
	.type	_ZN9rocsparseL23sddmm_csx_sample_kernelILi512ELi32EL20rocsparse_direction_1E21rocsparse_complex_numIfEllS3_EEvT4_S4_T3_PKT5_S4_PS6_PKS5_PKS4_21rocsparse_index_base_,@function
_ZN9rocsparseL23sddmm_csx_sample_kernelILi512ELi32EL20rocsparse_direction_1E21rocsparse_complex_numIfEllS3_EEvT4_S4_T3_PKT5_S4_PS6_PKS5_PKS4_21rocsparse_index_base_: ; @_ZN9rocsparseL23sddmm_csx_sample_kernelILi512ELi32EL20rocsparse_direction_1E21rocsparse_complex_numIfEllS3_EEvT4_S4_T3_PKT5_S4_PS6_PKS5_PKS4_21rocsparse_index_base_
; %bb.0:
	s_load_dwordx2 s[4:5], s[0:1], 0x8
	v_lshrrev_b32_e32 v1, 5, v0
	v_lshl_or_b32 v4, s2, 4, v1
	v_mov_b32_e32 v5, 0
	s_waitcnt lgkmcnt(0)
	v_cmp_gt_i64_e32 vcc, s[4:5], v[4:5]
	s_and_saveexec_b64 s[2:3], vcc
	s_cbranch_execz .LBB200_4
; %bb.1:
	s_load_dwordx2 s[2:3], s[0:1], 0x30
	s_load_dword s4, s[0:1], 0x40
	v_add_u32_e32 v2, 1, v4
	v_mov_b32_e32 v3, v5
	v_and_b32_e32 v0, 31, v0
	s_waitcnt lgkmcnt(0)
	v_lshl_add_u64 v[6:7], v[4:5], 3, s[2:3]
	v_lshl_add_u64 v[2:3], v[2:3], 3, s[2:3]
	global_load_dwordx2 v[6:7], v[6:7], off
	v_subrev_co_u32_e32 v0, vcc, s4, v0
	global_load_dwordx2 v[2:3], v[2:3], off
	s_nop 0
	v_subb_co_u32_e64 v1, s[2:3], 0, 0, vcc
	s_waitcnt vmcnt(1)
	v_lshl_add_u64 v[0:1], v[0:1], 0, v[6:7]
	s_waitcnt vmcnt(0)
	v_subrev_co_u32_e32 v2, vcc, s4, v2
	s_nop 1
	v_subbrev_co_u32_e32 v3, vcc, 0, v3, vcc
	v_cmp_lt_i64_e32 vcc, v[0:1], v[2:3]
	s_and_b64 exec, exec, vcc
	s_cbranch_execz .LBB200_4
; %bb.2:
	s_load_dwordx4 s[8:11], s[0:1], 0x18
	s_load_dwordx2 s[2:3], s[0:1], 0x28
	s_load_dwordx2 s[6:7], s[0:1], 0x38
	s_waitcnt lgkmcnt(0)
	v_mad_u64_u32 v[6:7], s[0:1], s10, v4, 0
	v_mov_b32_e32 v8, v7
	v_mad_u64_u32 v[4:5], s[0:1], s11, v4, v[8:9]
	v_mov_b32_e32 v7, v4
	v_lshlrev_b64 v[8:9], 3, v[0:1]
	v_lshl_add_u64 v[4:5], v[6:7], 3, s[8:9]
	v_lshl_add_u64 v[6:7], s[2:3], 0, v[8:9]
	;; [unrolled: 1-line block ×3, first 2 shown]
	s_mov_b64 s[0:1], 0
	s_mov_b64 s[2:3], 0x100
.LBB200_3:                              ; =>This Inner Loop Header: Depth=1
	global_load_dwordx2 v[10:11], v[8:9], off
	v_lshl_add_u64 v[0:1], v[0:1], 0, 32
	v_lshl_add_u64 v[8:9], v[8:9], 0, s[2:3]
	s_waitcnt vmcnt(0)
	v_subrev_co_u32_e32 v10, vcc, s4, v10
	s_nop 1
	v_subbrev_co_u32_e32 v11, vcc, 0, v11, vcc
	v_lshl_add_u64 v[10:11], v[10:11], 3, v[4:5]
	global_load_dwordx2 v[10:11], v[10:11], off
	v_cmp_ge_i64_e32 vcc, v[0:1], v[2:3]
	s_or_b64 s[0:1], vcc, s[0:1]
	s_waitcnt vmcnt(0)
	global_store_dwordx2 v[6:7], v[10:11], off
	v_lshl_add_u64 v[6:7], v[6:7], 0, s[2:3]
	s_andn2_b64 exec, exec, s[0:1]
	s_cbranch_execnz .LBB200_3
.LBB200_4:
	s_endpgm
	.section	.rodata,"a",@progbits
	.p2align	6, 0x0
	.amdhsa_kernel _ZN9rocsparseL23sddmm_csx_sample_kernelILi512ELi32EL20rocsparse_direction_1E21rocsparse_complex_numIfEllS3_EEvT4_S4_T3_PKT5_S4_PS6_PKS5_PKS4_21rocsparse_index_base_
		.amdhsa_group_segment_fixed_size 0
		.amdhsa_private_segment_fixed_size 0
		.amdhsa_kernarg_size 68
		.amdhsa_user_sgpr_count 2
		.amdhsa_user_sgpr_dispatch_ptr 0
		.amdhsa_user_sgpr_queue_ptr 0
		.amdhsa_user_sgpr_kernarg_segment_ptr 1
		.amdhsa_user_sgpr_dispatch_id 0
		.amdhsa_user_sgpr_kernarg_preload_length 0
		.amdhsa_user_sgpr_kernarg_preload_offset 0
		.amdhsa_user_sgpr_private_segment_size 0
		.amdhsa_uses_dynamic_stack 0
		.amdhsa_enable_private_segment 0
		.amdhsa_system_sgpr_workgroup_id_x 1
		.amdhsa_system_sgpr_workgroup_id_y 0
		.amdhsa_system_sgpr_workgroup_id_z 0
		.amdhsa_system_sgpr_workgroup_info 0
		.amdhsa_system_vgpr_workitem_id 0
		.amdhsa_next_free_vgpr 12
		.amdhsa_next_free_sgpr 12
		.amdhsa_accum_offset 12
		.amdhsa_reserve_vcc 1
		.amdhsa_float_round_mode_32 0
		.amdhsa_float_round_mode_16_64 0
		.amdhsa_float_denorm_mode_32 3
		.amdhsa_float_denorm_mode_16_64 3
		.amdhsa_dx10_clamp 1
		.amdhsa_ieee_mode 1
		.amdhsa_fp16_overflow 0
		.amdhsa_tg_split 0
		.amdhsa_exception_fp_ieee_invalid_op 0
		.amdhsa_exception_fp_denorm_src 0
		.amdhsa_exception_fp_ieee_div_zero 0
		.amdhsa_exception_fp_ieee_overflow 0
		.amdhsa_exception_fp_ieee_underflow 0
		.amdhsa_exception_fp_ieee_inexact 0
		.amdhsa_exception_int_div_zero 0
	.end_amdhsa_kernel
	.section	.text._ZN9rocsparseL23sddmm_csx_sample_kernelILi512ELi32EL20rocsparse_direction_1E21rocsparse_complex_numIfEllS3_EEvT4_S4_T3_PKT5_S4_PS6_PKS5_PKS4_21rocsparse_index_base_,"axG",@progbits,_ZN9rocsparseL23sddmm_csx_sample_kernelILi512ELi32EL20rocsparse_direction_1E21rocsparse_complex_numIfEllS3_EEvT4_S4_T3_PKT5_S4_PS6_PKS5_PKS4_21rocsparse_index_base_,comdat
.Lfunc_end200:
	.size	_ZN9rocsparseL23sddmm_csx_sample_kernelILi512ELi32EL20rocsparse_direction_1E21rocsparse_complex_numIfEllS3_EEvT4_S4_T3_PKT5_S4_PS6_PKS5_PKS4_21rocsparse_index_base_, .Lfunc_end200-_ZN9rocsparseL23sddmm_csx_sample_kernelILi512ELi32EL20rocsparse_direction_1E21rocsparse_complex_numIfEllS3_EEvT4_S4_T3_PKT5_S4_PS6_PKS5_PKS4_21rocsparse_index_base_
                                        ; -- End function
	.set _ZN9rocsparseL23sddmm_csx_sample_kernelILi512ELi32EL20rocsparse_direction_1E21rocsparse_complex_numIfEllS3_EEvT4_S4_T3_PKT5_S4_PS6_PKS5_PKS4_21rocsparse_index_base_.num_vgpr, 12
	.set _ZN9rocsparseL23sddmm_csx_sample_kernelILi512ELi32EL20rocsparse_direction_1E21rocsparse_complex_numIfEllS3_EEvT4_S4_T3_PKT5_S4_PS6_PKS5_PKS4_21rocsparse_index_base_.num_agpr, 0
	.set _ZN9rocsparseL23sddmm_csx_sample_kernelILi512ELi32EL20rocsparse_direction_1E21rocsparse_complex_numIfEllS3_EEvT4_S4_T3_PKT5_S4_PS6_PKS5_PKS4_21rocsparse_index_base_.numbered_sgpr, 12
	.set _ZN9rocsparseL23sddmm_csx_sample_kernelILi512ELi32EL20rocsparse_direction_1E21rocsparse_complex_numIfEllS3_EEvT4_S4_T3_PKT5_S4_PS6_PKS5_PKS4_21rocsparse_index_base_.num_named_barrier, 0
	.set _ZN9rocsparseL23sddmm_csx_sample_kernelILi512ELi32EL20rocsparse_direction_1E21rocsparse_complex_numIfEllS3_EEvT4_S4_T3_PKT5_S4_PS6_PKS5_PKS4_21rocsparse_index_base_.private_seg_size, 0
	.set _ZN9rocsparseL23sddmm_csx_sample_kernelILi512ELi32EL20rocsparse_direction_1E21rocsparse_complex_numIfEllS3_EEvT4_S4_T3_PKT5_S4_PS6_PKS5_PKS4_21rocsparse_index_base_.uses_vcc, 1
	.set _ZN9rocsparseL23sddmm_csx_sample_kernelILi512ELi32EL20rocsparse_direction_1E21rocsparse_complex_numIfEllS3_EEvT4_S4_T3_PKT5_S4_PS6_PKS5_PKS4_21rocsparse_index_base_.uses_flat_scratch, 0
	.set _ZN9rocsparseL23sddmm_csx_sample_kernelILi512ELi32EL20rocsparse_direction_1E21rocsparse_complex_numIfEllS3_EEvT4_S4_T3_PKT5_S4_PS6_PKS5_PKS4_21rocsparse_index_base_.has_dyn_sized_stack, 0
	.set _ZN9rocsparseL23sddmm_csx_sample_kernelILi512ELi32EL20rocsparse_direction_1E21rocsparse_complex_numIfEllS3_EEvT4_S4_T3_PKT5_S4_PS6_PKS5_PKS4_21rocsparse_index_base_.has_recursion, 0
	.set _ZN9rocsparseL23sddmm_csx_sample_kernelILi512ELi32EL20rocsparse_direction_1E21rocsparse_complex_numIfEllS3_EEvT4_S4_T3_PKT5_S4_PS6_PKS5_PKS4_21rocsparse_index_base_.has_indirect_call, 0
	.section	.AMDGPU.csdata,"",@progbits
; Kernel info:
; codeLenInByte = 352
; TotalNumSgprs: 18
; NumVgprs: 12
; NumAgprs: 0
; TotalNumVgprs: 12
; ScratchSize: 0
; MemoryBound: 0
; FloatMode: 240
; IeeeMode: 1
; LDSByteSize: 0 bytes/workgroup (compile time only)
; SGPRBlocks: 2
; VGPRBlocks: 1
; NumSGPRsForWavesPerEU: 18
; NumVGPRsForWavesPerEU: 12
; AccumOffset: 12
; Occupancy: 8
; WaveLimiterHint : 1
; COMPUTE_PGM_RSRC2:SCRATCH_EN: 0
; COMPUTE_PGM_RSRC2:USER_SGPR: 2
; COMPUTE_PGM_RSRC2:TRAP_HANDLER: 0
; COMPUTE_PGM_RSRC2:TGID_X_EN: 1
; COMPUTE_PGM_RSRC2:TGID_Y_EN: 0
; COMPUTE_PGM_RSRC2:TGID_Z_EN: 0
; COMPUTE_PGM_RSRC2:TIDIG_COMP_CNT: 0
; COMPUTE_PGM_RSRC3_GFX90A:ACCUM_OFFSET: 2
; COMPUTE_PGM_RSRC3_GFX90A:TG_SPLIT: 0
	.section	.text._ZN9rocsparseL23sddmm_csx_sample_kernelILi512ELi16EL20rocsparse_direction_1E21rocsparse_complex_numIfEllS3_EEvT4_S4_T3_PKT5_S4_PS6_PKS5_PKS4_21rocsparse_index_base_,"axG",@progbits,_ZN9rocsparseL23sddmm_csx_sample_kernelILi512ELi16EL20rocsparse_direction_1E21rocsparse_complex_numIfEllS3_EEvT4_S4_T3_PKT5_S4_PS6_PKS5_PKS4_21rocsparse_index_base_,comdat
	.globl	_ZN9rocsparseL23sddmm_csx_sample_kernelILi512ELi16EL20rocsparse_direction_1E21rocsparse_complex_numIfEllS3_EEvT4_S4_T3_PKT5_S4_PS6_PKS5_PKS4_21rocsparse_index_base_ ; -- Begin function _ZN9rocsparseL23sddmm_csx_sample_kernelILi512ELi16EL20rocsparse_direction_1E21rocsparse_complex_numIfEllS3_EEvT4_S4_T3_PKT5_S4_PS6_PKS5_PKS4_21rocsparse_index_base_
	.p2align	8
	.type	_ZN9rocsparseL23sddmm_csx_sample_kernelILi512ELi16EL20rocsparse_direction_1E21rocsparse_complex_numIfEllS3_EEvT4_S4_T3_PKT5_S4_PS6_PKS5_PKS4_21rocsparse_index_base_,@function
_ZN9rocsparseL23sddmm_csx_sample_kernelILi512ELi16EL20rocsparse_direction_1E21rocsparse_complex_numIfEllS3_EEvT4_S4_T3_PKT5_S4_PS6_PKS5_PKS4_21rocsparse_index_base_: ; @_ZN9rocsparseL23sddmm_csx_sample_kernelILi512ELi16EL20rocsparse_direction_1E21rocsparse_complex_numIfEllS3_EEvT4_S4_T3_PKT5_S4_PS6_PKS5_PKS4_21rocsparse_index_base_
; %bb.0:
	s_load_dwordx2 s[4:5], s[0:1], 0x8
	v_lshrrev_b32_e32 v1, 4, v0
	v_lshl_or_b32 v4, s2, 5, v1
	v_mov_b32_e32 v5, 0
	s_waitcnt lgkmcnt(0)
	v_cmp_gt_i64_e32 vcc, s[4:5], v[4:5]
	s_and_saveexec_b64 s[2:3], vcc
	s_cbranch_execz .LBB201_4
; %bb.1:
	s_load_dwordx2 s[2:3], s[0:1], 0x30
	s_load_dword s4, s[0:1], 0x40
	v_add_u32_e32 v2, 1, v4
	v_mov_b32_e32 v3, v5
	v_and_b32_e32 v0, 15, v0
	s_waitcnt lgkmcnt(0)
	v_lshl_add_u64 v[6:7], v[4:5], 3, s[2:3]
	v_lshl_add_u64 v[2:3], v[2:3], 3, s[2:3]
	global_load_dwordx2 v[6:7], v[6:7], off
	v_subrev_co_u32_e32 v0, vcc, s4, v0
	global_load_dwordx2 v[2:3], v[2:3], off
	s_nop 0
	v_subb_co_u32_e64 v1, s[2:3], 0, 0, vcc
	s_waitcnt vmcnt(1)
	v_lshl_add_u64 v[0:1], v[0:1], 0, v[6:7]
	s_waitcnt vmcnt(0)
	v_subrev_co_u32_e32 v2, vcc, s4, v2
	s_nop 1
	v_subbrev_co_u32_e32 v3, vcc, 0, v3, vcc
	v_cmp_lt_i64_e32 vcc, v[0:1], v[2:3]
	s_and_b64 exec, exec, vcc
	s_cbranch_execz .LBB201_4
; %bb.2:
	s_load_dwordx4 s[8:11], s[0:1], 0x18
	s_load_dwordx2 s[2:3], s[0:1], 0x28
	s_load_dwordx2 s[6:7], s[0:1], 0x38
	s_waitcnt lgkmcnt(0)
	v_mad_u64_u32 v[6:7], s[0:1], s10, v4, 0
	v_mov_b32_e32 v8, v7
	v_mad_u64_u32 v[4:5], s[0:1], s11, v4, v[8:9]
	v_mov_b32_e32 v7, v4
	v_lshlrev_b64 v[8:9], 3, v[0:1]
	v_lshl_add_u64 v[4:5], v[6:7], 3, s[8:9]
	v_lshl_add_u64 v[6:7], s[2:3], 0, v[8:9]
	;; [unrolled: 1-line block ×3, first 2 shown]
	s_mov_b64 s[0:1], 0
	s_mov_b64 s[2:3], 0x80
.LBB201_3:                              ; =>This Inner Loop Header: Depth=1
	global_load_dwordx2 v[10:11], v[8:9], off
	v_lshl_add_u64 v[0:1], v[0:1], 0, 16
	v_lshl_add_u64 v[8:9], v[8:9], 0, s[2:3]
	s_waitcnt vmcnt(0)
	v_subrev_co_u32_e32 v10, vcc, s4, v10
	s_nop 1
	v_subbrev_co_u32_e32 v11, vcc, 0, v11, vcc
	v_lshl_add_u64 v[10:11], v[10:11], 3, v[4:5]
	global_load_dwordx2 v[10:11], v[10:11], off
	v_cmp_ge_i64_e32 vcc, v[0:1], v[2:3]
	s_or_b64 s[0:1], vcc, s[0:1]
	s_waitcnt vmcnt(0)
	global_store_dwordx2 v[6:7], v[10:11], off
	v_lshl_add_u64 v[6:7], v[6:7], 0, s[2:3]
	s_andn2_b64 exec, exec, s[0:1]
	s_cbranch_execnz .LBB201_3
.LBB201_4:
	s_endpgm
	.section	.rodata,"a",@progbits
	.p2align	6, 0x0
	.amdhsa_kernel _ZN9rocsparseL23sddmm_csx_sample_kernelILi512ELi16EL20rocsparse_direction_1E21rocsparse_complex_numIfEllS3_EEvT4_S4_T3_PKT5_S4_PS6_PKS5_PKS4_21rocsparse_index_base_
		.amdhsa_group_segment_fixed_size 0
		.amdhsa_private_segment_fixed_size 0
		.amdhsa_kernarg_size 68
		.amdhsa_user_sgpr_count 2
		.amdhsa_user_sgpr_dispatch_ptr 0
		.amdhsa_user_sgpr_queue_ptr 0
		.amdhsa_user_sgpr_kernarg_segment_ptr 1
		.amdhsa_user_sgpr_dispatch_id 0
		.amdhsa_user_sgpr_kernarg_preload_length 0
		.amdhsa_user_sgpr_kernarg_preload_offset 0
		.amdhsa_user_sgpr_private_segment_size 0
		.amdhsa_uses_dynamic_stack 0
		.amdhsa_enable_private_segment 0
		.amdhsa_system_sgpr_workgroup_id_x 1
		.amdhsa_system_sgpr_workgroup_id_y 0
		.amdhsa_system_sgpr_workgroup_id_z 0
		.amdhsa_system_sgpr_workgroup_info 0
		.amdhsa_system_vgpr_workitem_id 0
		.amdhsa_next_free_vgpr 12
		.amdhsa_next_free_sgpr 12
		.amdhsa_accum_offset 12
		.amdhsa_reserve_vcc 1
		.amdhsa_float_round_mode_32 0
		.amdhsa_float_round_mode_16_64 0
		.amdhsa_float_denorm_mode_32 3
		.amdhsa_float_denorm_mode_16_64 3
		.amdhsa_dx10_clamp 1
		.amdhsa_ieee_mode 1
		.amdhsa_fp16_overflow 0
		.amdhsa_tg_split 0
		.amdhsa_exception_fp_ieee_invalid_op 0
		.amdhsa_exception_fp_denorm_src 0
		.amdhsa_exception_fp_ieee_div_zero 0
		.amdhsa_exception_fp_ieee_overflow 0
		.amdhsa_exception_fp_ieee_underflow 0
		.amdhsa_exception_fp_ieee_inexact 0
		.amdhsa_exception_int_div_zero 0
	.end_amdhsa_kernel
	.section	.text._ZN9rocsparseL23sddmm_csx_sample_kernelILi512ELi16EL20rocsparse_direction_1E21rocsparse_complex_numIfEllS3_EEvT4_S4_T3_PKT5_S4_PS6_PKS5_PKS4_21rocsparse_index_base_,"axG",@progbits,_ZN9rocsparseL23sddmm_csx_sample_kernelILi512ELi16EL20rocsparse_direction_1E21rocsparse_complex_numIfEllS3_EEvT4_S4_T3_PKT5_S4_PS6_PKS5_PKS4_21rocsparse_index_base_,comdat
.Lfunc_end201:
	.size	_ZN9rocsparseL23sddmm_csx_sample_kernelILi512ELi16EL20rocsparse_direction_1E21rocsparse_complex_numIfEllS3_EEvT4_S4_T3_PKT5_S4_PS6_PKS5_PKS4_21rocsparse_index_base_, .Lfunc_end201-_ZN9rocsparseL23sddmm_csx_sample_kernelILi512ELi16EL20rocsparse_direction_1E21rocsparse_complex_numIfEllS3_EEvT4_S4_T3_PKT5_S4_PS6_PKS5_PKS4_21rocsparse_index_base_
                                        ; -- End function
	.set _ZN9rocsparseL23sddmm_csx_sample_kernelILi512ELi16EL20rocsparse_direction_1E21rocsparse_complex_numIfEllS3_EEvT4_S4_T3_PKT5_S4_PS6_PKS5_PKS4_21rocsparse_index_base_.num_vgpr, 12
	.set _ZN9rocsparseL23sddmm_csx_sample_kernelILi512ELi16EL20rocsparse_direction_1E21rocsparse_complex_numIfEllS3_EEvT4_S4_T3_PKT5_S4_PS6_PKS5_PKS4_21rocsparse_index_base_.num_agpr, 0
	.set _ZN9rocsparseL23sddmm_csx_sample_kernelILi512ELi16EL20rocsparse_direction_1E21rocsparse_complex_numIfEllS3_EEvT4_S4_T3_PKT5_S4_PS6_PKS5_PKS4_21rocsparse_index_base_.numbered_sgpr, 12
	.set _ZN9rocsparseL23sddmm_csx_sample_kernelILi512ELi16EL20rocsparse_direction_1E21rocsparse_complex_numIfEllS3_EEvT4_S4_T3_PKT5_S4_PS6_PKS5_PKS4_21rocsparse_index_base_.num_named_barrier, 0
	.set _ZN9rocsparseL23sddmm_csx_sample_kernelILi512ELi16EL20rocsparse_direction_1E21rocsparse_complex_numIfEllS3_EEvT4_S4_T3_PKT5_S4_PS6_PKS5_PKS4_21rocsparse_index_base_.private_seg_size, 0
	.set _ZN9rocsparseL23sddmm_csx_sample_kernelILi512ELi16EL20rocsparse_direction_1E21rocsparse_complex_numIfEllS3_EEvT4_S4_T3_PKT5_S4_PS6_PKS5_PKS4_21rocsparse_index_base_.uses_vcc, 1
	.set _ZN9rocsparseL23sddmm_csx_sample_kernelILi512ELi16EL20rocsparse_direction_1E21rocsparse_complex_numIfEllS3_EEvT4_S4_T3_PKT5_S4_PS6_PKS5_PKS4_21rocsparse_index_base_.uses_flat_scratch, 0
	.set _ZN9rocsparseL23sddmm_csx_sample_kernelILi512ELi16EL20rocsparse_direction_1E21rocsparse_complex_numIfEllS3_EEvT4_S4_T3_PKT5_S4_PS6_PKS5_PKS4_21rocsparse_index_base_.has_dyn_sized_stack, 0
	.set _ZN9rocsparseL23sddmm_csx_sample_kernelILi512ELi16EL20rocsparse_direction_1E21rocsparse_complex_numIfEllS3_EEvT4_S4_T3_PKT5_S4_PS6_PKS5_PKS4_21rocsparse_index_base_.has_recursion, 0
	.set _ZN9rocsparseL23sddmm_csx_sample_kernelILi512ELi16EL20rocsparse_direction_1E21rocsparse_complex_numIfEllS3_EEvT4_S4_T3_PKT5_S4_PS6_PKS5_PKS4_21rocsparse_index_base_.has_indirect_call, 0
	.section	.AMDGPU.csdata,"",@progbits
; Kernel info:
; codeLenInByte = 352
; TotalNumSgprs: 18
; NumVgprs: 12
; NumAgprs: 0
; TotalNumVgprs: 12
; ScratchSize: 0
; MemoryBound: 0
; FloatMode: 240
; IeeeMode: 1
; LDSByteSize: 0 bytes/workgroup (compile time only)
; SGPRBlocks: 2
; VGPRBlocks: 1
; NumSGPRsForWavesPerEU: 18
; NumVGPRsForWavesPerEU: 12
; AccumOffset: 12
; Occupancy: 8
; WaveLimiterHint : 1
; COMPUTE_PGM_RSRC2:SCRATCH_EN: 0
; COMPUTE_PGM_RSRC2:USER_SGPR: 2
; COMPUTE_PGM_RSRC2:TRAP_HANDLER: 0
; COMPUTE_PGM_RSRC2:TGID_X_EN: 1
; COMPUTE_PGM_RSRC2:TGID_Y_EN: 0
; COMPUTE_PGM_RSRC2:TGID_Z_EN: 0
; COMPUTE_PGM_RSRC2:TIDIG_COMP_CNT: 0
; COMPUTE_PGM_RSRC3_GFX90A:ACCUM_OFFSET: 2
; COMPUTE_PGM_RSRC3_GFX90A:TG_SPLIT: 0
	.section	.text._ZN9rocsparseL23sddmm_csx_sample_kernelILi512ELi8EL20rocsparse_direction_1E21rocsparse_complex_numIfEllS3_EEvT4_S4_T3_PKT5_S4_PS6_PKS5_PKS4_21rocsparse_index_base_,"axG",@progbits,_ZN9rocsparseL23sddmm_csx_sample_kernelILi512ELi8EL20rocsparse_direction_1E21rocsparse_complex_numIfEllS3_EEvT4_S4_T3_PKT5_S4_PS6_PKS5_PKS4_21rocsparse_index_base_,comdat
	.globl	_ZN9rocsparseL23sddmm_csx_sample_kernelILi512ELi8EL20rocsparse_direction_1E21rocsparse_complex_numIfEllS3_EEvT4_S4_T3_PKT5_S4_PS6_PKS5_PKS4_21rocsparse_index_base_ ; -- Begin function _ZN9rocsparseL23sddmm_csx_sample_kernelILi512ELi8EL20rocsparse_direction_1E21rocsparse_complex_numIfEllS3_EEvT4_S4_T3_PKT5_S4_PS6_PKS5_PKS4_21rocsparse_index_base_
	.p2align	8
	.type	_ZN9rocsparseL23sddmm_csx_sample_kernelILi512ELi8EL20rocsparse_direction_1E21rocsparse_complex_numIfEllS3_EEvT4_S4_T3_PKT5_S4_PS6_PKS5_PKS4_21rocsparse_index_base_,@function
_ZN9rocsparseL23sddmm_csx_sample_kernelILi512ELi8EL20rocsparse_direction_1E21rocsparse_complex_numIfEllS3_EEvT4_S4_T3_PKT5_S4_PS6_PKS5_PKS4_21rocsparse_index_base_: ; @_ZN9rocsparseL23sddmm_csx_sample_kernelILi512ELi8EL20rocsparse_direction_1E21rocsparse_complex_numIfEllS3_EEvT4_S4_T3_PKT5_S4_PS6_PKS5_PKS4_21rocsparse_index_base_
; %bb.0:
	s_load_dwordx2 s[4:5], s[0:1], 0x8
	v_lshrrev_b32_e32 v1, 3, v0
	v_lshl_or_b32 v4, s2, 6, v1
	v_mov_b32_e32 v5, 0
	s_waitcnt lgkmcnt(0)
	v_cmp_gt_i64_e32 vcc, s[4:5], v[4:5]
	s_and_saveexec_b64 s[2:3], vcc
	s_cbranch_execz .LBB202_4
; %bb.1:
	s_load_dwordx2 s[4:5], s[0:1], 0x30
	s_load_dword s2, s[0:1], 0x40
	v_add_u32_e32 v2, 1, v4
	v_mov_b32_e32 v3, v5
	v_and_b32_e32 v0, 7, v0
	s_waitcnt lgkmcnt(0)
	v_lshl_add_u64 v[6:7], v[4:5], 3, s[4:5]
	v_lshl_add_u64 v[2:3], v[2:3], 3, s[4:5]
	global_load_dwordx2 v[6:7], v[6:7], off
	v_subrev_co_u32_e32 v0, vcc, s2, v0
	global_load_dwordx2 v[2:3], v[2:3], off
	s_nop 0
	v_subb_co_u32_e64 v1, s[4:5], 0, 0, vcc
	s_waitcnt vmcnt(1)
	v_lshl_add_u64 v[0:1], v[0:1], 0, v[6:7]
	s_waitcnt vmcnt(0)
	v_subrev_co_u32_e32 v2, vcc, s2, v2
	s_nop 1
	v_subbrev_co_u32_e32 v3, vcc, 0, v3, vcc
	v_cmp_lt_i64_e32 vcc, v[0:1], v[2:3]
	s_and_b64 exec, exec, vcc
	s_cbranch_execz .LBB202_4
; %bb.2:
	s_load_dwordx4 s[4:7], s[0:1], 0x18
	s_load_dwordx2 s[8:9], s[0:1], 0x28
	s_load_dwordx2 s[10:11], s[0:1], 0x38
	s_waitcnt lgkmcnt(0)
	v_mad_u64_u32 v[6:7], s[0:1], s6, v4, 0
	v_mov_b32_e32 v8, v7
	v_mad_u64_u32 v[4:5], s[0:1], s7, v4, v[8:9]
	v_mov_b32_e32 v7, v4
	v_lshlrev_b64 v[8:9], 3, v[0:1]
	v_lshl_add_u64 v[4:5], v[6:7], 3, s[4:5]
	v_lshl_add_u64 v[6:7], s[8:9], 0, v[8:9]
	;; [unrolled: 1-line block ×3, first 2 shown]
	s_mov_b64 s[0:1], 0
.LBB202_3:                              ; =>This Inner Loop Header: Depth=1
	global_load_dwordx2 v[10:11], v[8:9], off
	v_lshl_add_u64 v[0:1], v[0:1], 0, 8
	v_lshl_add_u64 v[8:9], v[8:9], 0, 64
	s_waitcnt vmcnt(0)
	v_subrev_co_u32_e32 v10, vcc, s2, v10
	s_nop 1
	v_subbrev_co_u32_e32 v11, vcc, 0, v11, vcc
	v_lshl_add_u64 v[10:11], v[10:11], 3, v[4:5]
	global_load_dwordx2 v[10:11], v[10:11], off
	v_cmp_ge_i64_e32 vcc, v[0:1], v[2:3]
	s_or_b64 s[0:1], vcc, s[0:1]
	s_waitcnt vmcnt(0)
	global_store_dwordx2 v[6:7], v[10:11], off
	v_lshl_add_u64 v[6:7], v[6:7], 0, 64
	s_andn2_b64 exec, exec, s[0:1]
	s_cbranch_execnz .LBB202_3
.LBB202_4:
	s_endpgm
	.section	.rodata,"a",@progbits
	.p2align	6, 0x0
	.amdhsa_kernel _ZN9rocsparseL23sddmm_csx_sample_kernelILi512ELi8EL20rocsparse_direction_1E21rocsparse_complex_numIfEllS3_EEvT4_S4_T3_PKT5_S4_PS6_PKS5_PKS4_21rocsparse_index_base_
		.amdhsa_group_segment_fixed_size 0
		.amdhsa_private_segment_fixed_size 0
		.amdhsa_kernarg_size 68
		.amdhsa_user_sgpr_count 2
		.amdhsa_user_sgpr_dispatch_ptr 0
		.amdhsa_user_sgpr_queue_ptr 0
		.amdhsa_user_sgpr_kernarg_segment_ptr 1
		.amdhsa_user_sgpr_dispatch_id 0
		.amdhsa_user_sgpr_kernarg_preload_length 0
		.amdhsa_user_sgpr_kernarg_preload_offset 0
		.amdhsa_user_sgpr_private_segment_size 0
		.amdhsa_uses_dynamic_stack 0
		.amdhsa_enable_private_segment 0
		.amdhsa_system_sgpr_workgroup_id_x 1
		.amdhsa_system_sgpr_workgroup_id_y 0
		.amdhsa_system_sgpr_workgroup_id_z 0
		.amdhsa_system_sgpr_workgroup_info 0
		.amdhsa_system_vgpr_workitem_id 0
		.amdhsa_next_free_vgpr 12
		.amdhsa_next_free_sgpr 12
		.amdhsa_accum_offset 12
		.amdhsa_reserve_vcc 1
		.amdhsa_float_round_mode_32 0
		.amdhsa_float_round_mode_16_64 0
		.amdhsa_float_denorm_mode_32 3
		.amdhsa_float_denorm_mode_16_64 3
		.amdhsa_dx10_clamp 1
		.amdhsa_ieee_mode 1
		.amdhsa_fp16_overflow 0
		.amdhsa_tg_split 0
		.amdhsa_exception_fp_ieee_invalid_op 0
		.amdhsa_exception_fp_denorm_src 0
		.amdhsa_exception_fp_ieee_div_zero 0
		.amdhsa_exception_fp_ieee_overflow 0
		.amdhsa_exception_fp_ieee_underflow 0
		.amdhsa_exception_fp_ieee_inexact 0
		.amdhsa_exception_int_div_zero 0
	.end_amdhsa_kernel
	.section	.text._ZN9rocsparseL23sddmm_csx_sample_kernelILi512ELi8EL20rocsparse_direction_1E21rocsparse_complex_numIfEllS3_EEvT4_S4_T3_PKT5_S4_PS6_PKS5_PKS4_21rocsparse_index_base_,"axG",@progbits,_ZN9rocsparseL23sddmm_csx_sample_kernelILi512ELi8EL20rocsparse_direction_1E21rocsparse_complex_numIfEllS3_EEvT4_S4_T3_PKT5_S4_PS6_PKS5_PKS4_21rocsparse_index_base_,comdat
.Lfunc_end202:
	.size	_ZN9rocsparseL23sddmm_csx_sample_kernelILi512ELi8EL20rocsparse_direction_1E21rocsparse_complex_numIfEllS3_EEvT4_S4_T3_PKT5_S4_PS6_PKS5_PKS4_21rocsparse_index_base_, .Lfunc_end202-_ZN9rocsparseL23sddmm_csx_sample_kernelILi512ELi8EL20rocsparse_direction_1E21rocsparse_complex_numIfEllS3_EEvT4_S4_T3_PKT5_S4_PS6_PKS5_PKS4_21rocsparse_index_base_
                                        ; -- End function
	.set _ZN9rocsparseL23sddmm_csx_sample_kernelILi512ELi8EL20rocsparse_direction_1E21rocsparse_complex_numIfEllS3_EEvT4_S4_T3_PKT5_S4_PS6_PKS5_PKS4_21rocsparse_index_base_.num_vgpr, 12
	.set _ZN9rocsparseL23sddmm_csx_sample_kernelILi512ELi8EL20rocsparse_direction_1E21rocsparse_complex_numIfEllS3_EEvT4_S4_T3_PKT5_S4_PS6_PKS5_PKS4_21rocsparse_index_base_.num_agpr, 0
	.set _ZN9rocsparseL23sddmm_csx_sample_kernelILi512ELi8EL20rocsparse_direction_1E21rocsparse_complex_numIfEllS3_EEvT4_S4_T3_PKT5_S4_PS6_PKS5_PKS4_21rocsparse_index_base_.numbered_sgpr, 12
	.set _ZN9rocsparseL23sddmm_csx_sample_kernelILi512ELi8EL20rocsparse_direction_1E21rocsparse_complex_numIfEllS3_EEvT4_S4_T3_PKT5_S4_PS6_PKS5_PKS4_21rocsparse_index_base_.num_named_barrier, 0
	.set _ZN9rocsparseL23sddmm_csx_sample_kernelILi512ELi8EL20rocsparse_direction_1E21rocsparse_complex_numIfEllS3_EEvT4_S4_T3_PKT5_S4_PS6_PKS5_PKS4_21rocsparse_index_base_.private_seg_size, 0
	.set _ZN9rocsparseL23sddmm_csx_sample_kernelILi512ELi8EL20rocsparse_direction_1E21rocsparse_complex_numIfEllS3_EEvT4_S4_T3_PKT5_S4_PS6_PKS5_PKS4_21rocsparse_index_base_.uses_vcc, 1
	.set _ZN9rocsparseL23sddmm_csx_sample_kernelILi512ELi8EL20rocsparse_direction_1E21rocsparse_complex_numIfEllS3_EEvT4_S4_T3_PKT5_S4_PS6_PKS5_PKS4_21rocsparse_index_base_.uses_flat_scratch, 0
	.set _ZN9rocsparseL23sddmm_csx_sample_kernelILi512ELi8EL20rocsparse_direction_1E21rocsparse_complex_numIfEllS3_EEvT4_S4_T3_PKT5_S4_PS6_PKS5_PKS4_21rocsparse_index_base_.has_dyn_sized_stack, 0
	.set _ZN9rocsparseL23sddmm_csx_sample_kernelILi512ELi8EL20rocsparse_direction_1E21rocsparse_complex_numIfEllS3_EEvT4_S4_T3_PKT5_S4_PS6_PKS5_PKS4_21rocsparse_index_base_.has_recursion, 0
	.set _ZN9rocsparseL23sddmm_csx_sample_kernelILi512ELi8EL20rocsparse_direction_1E21rocsparse_complex_numIfEllS3_EEvT4_S4_T3_PKT5_S4_PS6_PKS5_PKS4_21rocsparse_index_base_.has_indirect_call, 0
	.section	.AMDGPU.csdata,"",@progbits
; Kernel info:
; codeLenInByte = 344
; TotalNumSgprs: 18
; NumVgprs: 12
; NumAgprs: 0
; TotalNumVgprs: 12
; ScratchSize: 0
; MemoryBound: 0
; FloatMode: 240
; IeeeMode: 1
; LDSByteSize: 0 bytes/workgroup (compile time only)
; SGPRBlocks: 2
; VGPRBlocks: 1
; NumSGPRsForWavesPerEU: 18
; NumVGPRsForWavesPerEU: 12
; AccumOffset: 12
; Occupancy: 8
; WaveLimiterHint : 1
; COMPUTE_PGM_RSRC2:SCRATCH_EN: 0
; COMPUTE_PGM_RSRC2:USER_SGPR: 2
; COMPUTE_PGM_RSRC2:TRAP_HANDLER: 0
; COMPUTE_PGM_RSRC2:TGID_X_EN: 1
; COMPUTE_PGM_RSRC2:TGID_Y_EN: 0
; COMPUTE_PGM_RSRC2:TGID_Z_EN: 0
; COMPUTE_PGM_RSRC2:TIDIG_COMP_CNT: 0
; COMPUTE_PGM_RSRC3_GFX90A:ACCUM_OFFSET: 2
; COMPUTE_PGM_RSRC3_GFX90A:TG_SPLIT: 0
	.section	.text._ZN9rocsparseL23sddmm_csx_sample_kernelILi512ELi4EL20rocsparse_direction_1E21rocsparse_complex_numIfEllS3_EEvT4_S4_T3_PKT5_S4_PS6_PKS5_PKS4_21rocsparse_index_base_,"axG",@progbits,_ZN9rocsparseL23sddmm_csx_sample_kernelILi512ELi4EL20rocsparse_direction_1E21rocsparse_complex_numIfEllS3_EEvT4_S4_T3_PKT5_S4_PS6_PKS5_PKS4_21rocsparse_index_base_,comdat
	.globl	_ZN9rocsparseL23sddmm_csx_sample_kernelILi512ELi4EL20rocsparse_direction_1E21rocsparse_complex_numIfEllS3_EEvT4_S4_T3_PKT5_S4_PS6_PKS5_PKS4_21rocsparse_index_base_ ; -- Begin function _ZN9rocsparseL23sddmm_csx_sample_kernelILi512ELi4EL20rocsparse_direction_1E21rocsparse_complex_numIfEllS3_EEvT4_S4_T3_PKT5_S4_PS6_PKS5_PKS4_21rocsparse_index_base_
	.p2align	8
	.type	_ZN9rocsparseL23sddmm_csx_sample_kernelILi512ELi4EL20rocsparse_direction_1E21rocsparse_complex_numIfEllS3_EEvT4_S4_T3_PKT5_S4_PS6_PKS5_PKS4_21rocsparse_index_base_,@function
_ZN9rocsparseL23sddmm_csx_sample_kernelILi512ELi4EL20rocsparse_direction_1E21rocsparse_complex_numIfEllS3_EEvT4_S4_T3_PKT5_S4_PS6_PKS5_PKS4_21rocsparse_index_base_: ; @_ZN9rocsparseL23sddmm_csx_sample_kernelILi512ELi4EL20rocsparse_direction_1E21rocsparse_complex_numIfEllS3_EEvT4_S4_T3_PKT5_S4_PS6_PKS5_PKS4_21rocsparse_index_base_
; %bb.0:
	s_load_dwordx2 s[4:5], s[0:1], 0x8
	v_lshrrev_b32_e32 v1, 2, v0
	v_lshl_or_b32 v4, s2, 7, v1
	v_mov_b32_e32 v5, 0
	s_waitcnt lgkmcnt(0)
	v_cmp_gt_i64_e32 vcc, s[4:5], v[4:5]
	s_and_saveexec_b64 s[2:3], vcc
	s_cbranch_execz .LBB203_4
; %bb.1:
	s_load_dwordx2 s[4:5], s[0:1], 0x30
	s_load_dword s2, s[0:1], 0x40
	v_add_u32_e32 v2, 1, v4
	v_mov_b32_e32 v3, v5
	v_and_b32_e32 v0, 3, v0
	s_waitcnt lgkmcnt(0)
	v_lshl_add_u64 v[6:7], v[4:5], 3, s[4:5]
	v_lshl_add_u64 v[2:3], v[2:3], 3, s[4:5]
	global_load_dwordx2 v[6:7], v[6:7], off
	v_subrev_co_u32_e32 v0, vcc, s2, v0
	global_load_dwordx2 v[2:3], v[2:3], off
	s_nop 0
	v_subb_co_u32_e64 v1, s[4:5], 0, 0, vcc
	s_waitcnt vmcnt(1)
	v_lshl_add_u64 v[0:1], v[0:1], 0, v[6:7]
	s_waitcnt vmcnt(0)
	v_subrev_co_u32_e32 v2, vcc, s2, v2
	s_nop 1
	v_subbrev_co_u32_e32 v3, vcc, 0, v3, vcc
	v_cmp_lt_i64_e32 vcc, v[0:1], v[2:3]
	s_and_b64 exec, exec, vcc
	s_cbranch_execz .LBB203_4
; %bb.2:
	s_load_dwordx4 s[4:7], s[0:1], 0x18
	s_load_dwordx2 s[8:9], s[0:1], 0x28
	s_load_dwordx2 s[10:11], s[0:1], 0x38
	s_waitcnt lgkmcnt(0)
	v_mad_u64_u32 v[6:7], s[0:1], s6, v4, 0
	v_mov_b32_e32 v8, v7
	v_mad_u64_u32 v[4:5], s[0:1], s7, v4, v[8:9]
	v_mov_b32_e32 v7, v4
	v_lshlrev_b64 v[8:9], 3, v[0:1]
	v_lshl_add_u64 v[4:5], v[6:7], 3, s[4:5]
	v_lshl_add_u64 v[6:7], s[8:9], 0, v[8:9]
	;; [unrolled: 1-line block ×3, first 2 shown]
	s_mov_b64 s[0:1], 0
.LBB203_3:                              ; =>This Inner Loop Header: Depth=1
	global_load_dwordx2 v[10:11], v[8:9], off
	v_lshl_add_u64 v[0:1], v[0:1], 0, 4
	v_lshl_add_u64 v[8:9], v[8:9], 0, 32
	s_waitcnt vmcnt(0)
	v_subrev_co_u32_e32 v10, vcc, s2, v10
	s_nop 1
	v_subbrev_co_u32_e32 v11, vcc, 0, v11, vcc
	v_lshl_add_u64 v[10:11], v[10:11], 3, v[4:5]
	global_load_dwordx2 v[10:11], v[10:11], off
	v_cmp_ge_i64_e32 vcc, v[0:1], v[2:3]
	s_or_b64 s[0:1], vcc, s[0:1]
	s_waitcnt vmcnt(0)
	global_store_dwordx2 v[6:7], v[10:11], off
	v_lshl_add_u64 v[6:7], v[6:7], 0, 32
	s_andn2_b64 exec, exec, s[0:1]
	s_cbranch_execnz .LBB203_3
.LBB203_4:
	s_endpgm
	.section	.rodata,"a",@progbits
	.p2align	6, 0x0
	.amdhsa_kernel _ZN9rocsparseL23sddmm_csx_sample_kernelILi512ELi4EL20rocsparse_direction_1E21rocsparse_complex_numIfEllS3_EEvT4_S4_T3_PKT5_S4_PS6_PKS5_PKS4_21rocsparse_index_base_
		.amdhsa_group_segment_fixed_size 0
		.amdhsa_private_segment_fixed_size 0
		.amdhsa_kernarg_size 68
		.amdhsa_user_sgpr_count 2
		.amdhsa_user_sgpr_dispatch_ptr 0
		.amdhsa_user_sgpr_queue_ptr 0
		.amdhsa_user_sgpr_kernarg_segment_ptr 1
		.amdhsa_user_sgpr_dispatch_id 0
		.amdhsa_user_sgpr_kernarg_preload_length 0
		.amdhsa_user_sgpr_kernarg_preload_offset 0
		.amdhsa_user_sgpr_private_segment_size 0
		.amdhsa_uses_dynamic_stack 0
		.amdhsa_enable_private_segment 0
		.amdhsa_system_sgpr_workgroup_id_x 1
		.amdhsa_system_sgpr_workgroup_id_y 0
		.amdhsa_system_sgpr_workgroup_id_z 0
		.amdhsa_system_sgpr_workgroup_info 0
		.amdhsa_system_vgpr_workitem_id 0
		.amdhsa_next_free_vgpr 12
		.amdhsa_next_free_sgpr 12
		.amdhsa_accum_offset 12
		.amdhsa_reserve_vcc 1
		.amdhsa_float_round_mode_32 0
		.amdhsa_float_round_mode_16_64 0
		.amdhsa_float_denorm_mode_32 3
		.amdhsa_float_denorm_mode_16_64 3
		.amdhsa_dx10_clamp 1
		.amdhsa_ieee_mode 1
		.amdhsa_fp16_overflow 0
		.amdhsa_tg_split 0
		.amdhsa_exception_fp_ieee_invalid_op 0
		.amdhsa_exception_fp_denorm_src 0
		.amdhsa_exception_fp_ieee_div_zero 0
		.amdhsa_exception_fp_ieee_overflow 0
		.amdhsa_exception_fp_ieee_underflow 0
		.amdhsa_exception_fp_ieee_inexact 0
		.amdhsa_exception_int_div_zero 0
	.end_amdhsa_kernel
	.section	.text._ZN9rocsparseL23sddmm_csx_sample_kernelILi512ELi4EL20rocsparse_direction_1E21rocsparse_complex_numIfEllS3_EEvT4_S4_T3_PKT5_S4_PS6_PKS5_PKS4_21rocsparse_index_base_,"axG",@progbits,_ZN9rocsparseL23sddmm_csx_sample_kernelILi512ELi4EL20rocsparse_direction_1E21rocsparse_complex_numIfEllS3_EEvT4_S4_T3_PKT5_S4_PS6_PKS5_PKS4_21rocsparse_index_base_,comdat
.Lfunc_end203:
	.size	_ZN9rocsparseL23sddmm_csx_sample_kernelILi512ELi4EL20rocsparse_direction_1E21rocsparse_complex_numIfEllS3_EEvT4_S4_T3_PKT5_S4_PS6_PKS5_PKS4_21rocsparse_index_base_, .Lfunc_end203-_ZN9rocsparseL23sddmm_csx_sample_kernelILi512ELi4EL20rocsparse_direction_1E21rocsparse_complex_numIfEllS3_EEvT4_S4_T3_PKT5_S4_PS6_PKS5_PKS4_21rocsparse_index_base_
                                        ; -- End function
	.set _ZN9rocsparseL23sddmm_csx_sample_kernelILi512ELi4EL20rocsparse_direction_1E21rocsparse_complex_numIfEllS3_EEvT4_S4_T3_PKT5_S4_PS6_PKS5_PKS4_21rocsparse_index_base_.num_vgpr, 12
	.set _ZN9rocsparseL23sddmm_csx_sample_kernelILi512ELi4EL20rocsparse_direction_1E21rocsparse_complex_numIfEllS3_EEvT4_S4_T3_PKT5_S4_PS6_PKS5_PKS4_21rocsparse_index_base_.num_agpr, 0
	.set _ZN9rocsparseL23sddmm_csx_sample_kernelILi512ELi4EL20rocsparse_direction_1E21rocsparse_complex_numIfEllS3_EEvT4_S4_T3_PKT5_S4_PS6_PKS5_PKS4_21rocsparse_index_base_.numbered_sgpr, 12
	.set _ZN9rocsparseL23sddmm_csx_sample_kernelILi512ELi4EL20rocsparse_direction_1E21rocsparse_complex_numIfEllS3_EEvT4_S4_T3_PKT5_S4_PS6_PKS5_PKS4_21rocsparse_index_base_.num_named_barrier, 0
	.set _ZN9rocsparseL23sddmm_csx_sample_kernelILi512ELi4EL20rocsparse_direction_1E21rocsparse_complex_numIfEllS3_EEvT4_S4_T3_PKT5_S4_PS6_PKS5_PKS4_21rocsparse_index_base_.private_seg_size, 0
	.set _ZN9rocsparseL23sddmm_csx_sample_kernelILi512ELi4EL20rocsparse_direction_1E21rocsparse_complex_numIfEllS3_EEvT4_S4_T3_PKT5_S4_PS6_PKS5_PKS4_21rocsparse_index_base_.uses_vcc, 1
	.set _ZN9rocsparseL23sddmm_csx_sample_kernelILi512ELi4EL20rocsparse_direction_1E21rocsparse_complex_numIfEllS3_EEvT4_S4_T3_PKT5_S4_PS6_PKS5_PKS4_21rocsparse_index_base_.uses_flat_scratch, 0
	.set _ZN9rocsparseL23sddmm_csx_sample_kernelILi512ELi4EL20rocsparse_direction_1E21rocsparse_complex_numIfEllS3_EEvT4_S4_T3_PKT5_S4_PS6_PKS5_PKS4_21rocsparse_index_base_.has_dyn_sized_stack, 0
	.set _ZN9rocsparseL23sddmm_csx_sample_kernelILi512ELi4EL20rocsparse_direction_1E21rocsparse_complex_numIfEllS3_EEvT4_S4_T3_PKT5_S4_PS6_PKS5_PKS4_21rocsparse_index_base_.has_recursion, 0
	.set _ZN9rocsparseL23sddmm_csx_sample_kernelILi512ELi4EL20rocsparse_direction_1E21rocsparse_complex_numIfEllS3_EEvT4_S4_T3_PKT5_S4_PS6_PKS5_PKS4_21rocsparse_index_base_.has_indirect_call, 0
	.section	.AMDGPU.csdata,"",@progbits
; Kernel info:
; codeLenInByte = 344
; TotalNumSgprs: 18
; NumVgprs: 12
; NumAgprs: 0
; TotalNumVgprs: 12
; ScratchSize: 0
; MemoryBound: 0
; FloatMode: 240
; IeeeMode: 1
; LDSByteSize: 0 bytes/workgroup (compile time only)
; SGPRBlocks: 2
; VGPRBlocks: 1
; NumSGPRsForWavesPerEU: 18
; NumVGPRsForWavesPerEU: 12
; AccumOffset: 12
; Occupancy: 8
; WaveLimiterHint : 1
; COMPUTE_PGM_RSRC2:SCRATCH_EN: 0
; COMPUTE_PGM_RSRC2:USER_SGPR: 2
; COMPUTE_PGM_RSRC2:TRAP_HANDLER: 0
; COMPUTE_PGM_RSRC2:TGID_X_EN: 1
; COMPUTE_PGM_RSRC2:TGID_Y_EN: 0
; COMPUTE_PGM_RSRC2:TGID_Z_EN: 0
; COMPUTE_PGM_RSRC2:TIDIG_COMP_CNT: 0
; COMPUTE_PGM_RSRC3_GFX90A:ACCUM_OFFSET: 2
; COMPUTE_PGM_RSRC3_GFX90A:TG_SPLIT: 0
	.section	.text._ZN9rocsparseL23sddmm_csx_sample_kernelILi512ELi2EL20rocsparse_direction_1E21rocsparse_complex_numIfEllS3_EEvT4_S4_T3_PKT5_S4_PS6_PKS5_PKS4_21rocsparse_index_base_,"axG",@progbits,_ZN9rocsparseL23sddmm_csx_sample_kernelILi512ELi2EL20rocsparse_direction_1E21rocsparse_complex_numIfEllS3_EEvT4_S4_T3_PKT5_S4_PS6_PKS5_PKS4_21rocsparse_index_base_,comdat
	.globl	_ZN9rocsparseL23sddmm_csx_sample_kernelILi512ELi2EL20rocsparse_direction_1E21rocsparse_complex_numIfEllS3_EEvT4_S4_T3_PKT5_S4_PS6_PKS5_PKS4_21rocsparse_index_base_ ; -- Begin function _ZN9rocsparseL23sddmm_csx_sample_kernelILi512ELi2EL20rocsparse_direction_1E21rocsparse_complex_numIfEllS3_EEvT4_S4_T3_PKT5_S4_PS6_PKS5_PKS4_21rocsparse_index_base_
	.p2align	8
	.type	_ZN9rocsparseL23sddmm_csx_sample_kernelILi512ELi2EL20rocsparse_direction_1E21rocsparse_complex_numIfEllS3_EEvT4_S4_T3_PKT5_S4_PS6_PKS5_PKS4_21rocsparse_index_base_,@function
_ZN9rocsparseL23sddmm_csx_sample_kernelILi512ELi2EL20rocsparse_direction_1E21rocsparse_complex_numIfEllS3_EEvT4_S4_T3_PKT5_S4_PS6_PKS5_PKS4_21rocsparse_index_base_: ; @_ZN9rocsparseL23sddmm_csx_sample_kernelILi512ELi2EL20rocsparse_direction_1E21rocsparse_complex_numIfEllS3_EEvT4_S4_T3_PKT5_S4_PS6_PKS5_PKS4_21rocsparse_index_base_
; %bb.0:
	s_load_dwordx2 s[4:5], s[0:1], 0x8
	v_lshrrev_b32_e32 v1, 1, v0
	v_lshl_or_b32 v4, s2, 8, v1
	v_mov_b32_e32 v5, 0
	s_waitcnt lgkmcnt(0)
	v_cmp_gt_i64_e32 vcc, s[4:5], v[4:5]
	s_and_saveexec_b64 s[2:3], vcc
	s_cbranch_execz .LBB204_4
; %bb.1:
	s_load_dwordx2 s[4:5], s[0:1], 0x30
	s_load_dword s2, s[0:1], 0x40
	v_add_u32_e32 v2, 1, v4
	v_mov_b32_e32 v3, v5
	v_and_b32_e32 v0, 1, v0
	s_waitcnt lgkmcnt(0)
	v_lshl_add_u64 v[6:7], v[4:5], 3, s[4:5]
	v_lshl_add_u64 v[2:3], v[2:3], 3, s[4:5]
	global_load_dwordx2 v[6:7], v[6:7], off
	v_subrev_co_u32_e32 v0, vcc, s2, v0
	global_load_dwordx2 v[2:3], v[2:3], off
	s_nop 0
	v_subb_co_u32_e64 v1, s[4:5], 0, 0, vcc
	s_waitcnt vmcnt(1)
	v_lshl_add_u64 v[0:1], v[0:1], 0, v[6:7]
	s_waitcnt vmcnt(0)
	v_subrev_co_u32_e32 v2, vcc, s2, v2
	s_nop 1
	v_subbrev_co_u32_e32 v3, vcc, 0, v3, vcc
	v_cmp_lt_i64_e32 vcc, v[0:1], v[2:3]
	s_and_b64 exec, exec, vcc
	s_cbranch_execz .LBB204_4
; %bb.2:
	s_load_dwordx4 s[4:7], s[0:1], 0x18
	s_load_dwordx2 s[8:9], s[0:1], 0x28
	s_load_dwordx2 s[10:11], s[0:1], 0x38
	s_waitcnt lgkmcnt(0)
	v_mad_u64_u32 v[6:7], s[0:1], s6, v4, 0
	v_mov_b32_e32 v8, v7
	v_mad_u64_u32 v[4:5], s[0:1], s7, v4, v[8:9]
	v_mov_b32_e32 v7, v4
	v_lshlrev_b64 v[8:9], 3, v[0:1]
	v_lshl_add_u64 v[4:5], v[6:7], 3, s[4:5]
	v_lshl_add_u64 v[6:7], s[8:9], 0, v[8:9]
	;; [unrolled: 1-line block ×3, first 2 shown]
	s_mov_b64 s[0:1], 0
.LBB204_3:                              ; =>This Inner Loop Header: Depth=1
	global_load_dwordx2 v[10:11], v[8:9], off
	v_lshl_add_u64 v[0:1], v[0:1], 0, 2
	v_lshl_add_u64 v[8:9], v[8:9], 0, 16
	s_waitcnt vmcnt(0)
	v_subrev_co_u32_e32 v10, vcc, s2, v10
	s_nop 1
	v_subbrev_co_u32_e32 v11, vcc, 0, v11, vcc
	v_lshl_add_u64 v[10:11], v[10:11], 3, v[4:5]
	global_load_dwordx2 v[10:11], v[10:11], off
	v_cmp_ge_i64_e32 vcc, v[0:1], v[2:3]
	s_or_b64 s[0:1], vcc, s[0:1]
	s_waitcnt vmcnt(0)
	global_store_dwordx2 v[6:7], v[10:11], off
	v_lshl_add_u64 v[6:7], v[6:7], 0, 16
	s_andn2_b64 exec, exec, s[0:1]
	s_cbranch_execnz .LBB204_3
.LBB204_4:
	s_endpgm
	.section	.rodata,"a",@progbits
	.p2align	6, 0x0
	.amdhsa_kernel _ZN9rocsparseL23sddmm_csx_sample_kernelILi512ELi2EL20rocsparse_direction_1E21rocsparse_complex_numIfEllS3_EEvT4_S4_T3_PKT5_S4_PS6_PKS5_PKS4_21rocsparse_index_base_
		.amdhsa_group_segment_fixed_size 0
		.amdhsa_private_segment_fixed_size 0
		.amdhsa_kernarg_size 68
		.amdhsa_user_sgpr_count 2
		.amdhsa_user_sgpr_dispatch_ptr 0
		.amdhsa_user_sgpr_queue_ptr 0
		.amdhsa_user_sgpr_kernarg_segment_ptr 1
		.amdhsa_user_sgpr_dispatch_id 0
		.amdhsa_user_sgpr_kernarg_preload_length 0
		.amdhsa_user_sgpr_kernarg_preload_offset 0
		.amdhsa_user_sgpr_private_segment_size 0
		.amdhsa_uses_dynamic_stack 0
		.amdhsa_enable_private_segment 0
		.amdhsa_system_sgpr_workgroup_id_x 1
		.amdhsa_system_sgpr_workgroup_id_y 0
		.amdhsa_system_sgpr_workgroup_id_z 0
		.amdhsa_system_sgpr_workgroup_info 0
		.amdhsa_system_vgpr_workitem_id 0
		.amdhsa_next_free_vgpr 12
		.amdhsa_next_free_sgpr 12
		.amdhsa_accum_offset 12
		.amdhsa_reserve_vcc 1
		.amdhsa_float_round_mode_32 0
		.amdhsa_float_round_mode_16_64 0
		.amdhsa_float_denorm_mode_32 3
		.amdhsa_float_denorm_mode_16_64 3
		.amdhsa_dx10_clamp 1
		.amdhsa_ieee_mode 1
		.amdhsa_fp16_overflow 0
		.amdhsa_tg_split 0
		.amdhsa_exception_fp_ieee_invalid_op 0
		.amdhsa_exception_fp_denorm_src 0
		.amdhsa_exception_fp_ieee_div_zero 0
		.amdhsa_exception_fp_ieee_overflow 0
		.amdhsa_exception_fp_ieee_underflow 0
		.amdhsa_exception_fp_ieee_inexact 0
		.amdhsa_exception_int_div_zero 0
	.end_amdhsa_kernel
	.section	.text._ZN9rocsparseL23sddmm_csx_sample_kernelILi512ELi2EL20rocsparse_direction_1E21rocsparse_complex_numIfEllS3_EEvT4_S4_T3_PKT5_S4_PS6_PKS5_PKS4_21rocsparse_index_base_,"axG",@progbits,_ZN9rocsparseL23sddmm_csx_sample_kernelILi512ELi2EL20rocsparse_direction_1E21rocsparse_complex_numIfEllS3_EEvT4_S4_T3_PKT5_S4_PS6_PKS5_PKS4_21rocsparse_index_base_,comdat
.Lfunc_end204:
	.size	_ZN9rocsparseL23sddmm_csx_sample_kernelILi512ELi2EL20rocsparse_direction_1E21rocsparse_complex_numIfEllS3_EEvT4_S4_T3_PKT5_S4_PS6_PKS5_PKS4_21rocsparse_index_base_, .Lfunc_end204-_ZN9rocsparseL23sddmm_csx_sample_kernelILi512ELi2EL20rocsparse_direction_1E21rocsparse_complex_numIfEllS3_EEvT4_S4_T3_PKT5_S4_PS6_PKS5_PKS4_21rocsparse_index_base_
                                        ; -- End function
	.set _ZN9rocsparseL23sddmm_csx_sample_kernelILi512ELi2EL20rocsparse_direction_1E21rocsparse_complex_numIfEllS3_EEvT4_S4_T3_PKT5_S4_PS6_PKS5_PKS4_21rocsparse_index_base_.num_vgpr, 12
	.set _ZN9rocsparseL23sddmm_csx_sample_kernelILi512ELi2EL20rocsparse_direction_1E21rocsparse_complex_numIfEllS3_EEvT4_S4_T3_PKT5_S4_PS6_PKS5_PKS4_21rocsparse_index_base_.num_agpr, 0
	.set _ZN9rocsparseL23sddmm_csx_sample_kernelILi512ELi2EL20rocsparse_direction_1E21rocsparse_complex_numIfEllS3_EEvT4_S4_T3_PKT5_S4_PS6_PKS5_PKS4_21rocsparse_index_base_.numbered_sgpr, 12
	.set _ZN9rocsparseL23sddmm_csx_sample_kernelILi512ELi2EL20rocsparse_direction_1E21rocsparse_complex_numIfEllS3_EEvT4_S4_T3_PKT5_S4_PS6_PKS5_PKS4_21rocsparse_index_base_.num_named_barrier, 0
	.set _ZN9rocsparseL23sddmm_csx_sample_kernelILi512ELi2EL20rocsparse_direction_1E21rocsparse_complex_numIfEllS3_EEvT4_S4_T3_PKT5_S4_PS6_PKS5_PKS4_21rocsparse_index_base_.private_seg_size, 0
	.set _ZN9rocsparseL23sddmm_csx_sample_kernelILi512ELi2EL20rocsparse_direction_1E21rocsparse_complex_numIfEllS3_EEvT4_S4_T3_PKT5_S4_PS6_PKS5_PKS4_21rocsparse_index_base_.uses_vcc, 1
	.set _ZN9rocsparseL23sddmm_csx_sample_kernelILi512ELi2EL20rocsparse_direction_1E21rocsparse_complex_numIfEllS3_EEvT4_S4_T3_PKT5_S4_PS6_PKS5_PKS4_21rocsparse_index_base_.uses_flat_scratch, 0
	.set _ZN9rocsparseL23sddmm_csx_sample_kernelILi512ELi2EL20rocsparse_direction_1E21rocsparse_complex_numIfEllS3_EEvT4_S4_T3_PKT5_S4_PS6_PKS5_PKS4_21rocsparse_index_base_.has_dyn_sized_stack, 0
	.set _ZN9rocsparseL23sddmm_csx_sample_kernelILi512ELi2EL20rocsparse_direction_1E21rocsparse_complex_numIfEllS3_EEvT4_S4_T3_PKT5_S4_PS6_PKS5_PKS4_21rocsparse_index_base_.has_recursion, 0
	.set _ZN9rocsparseL23sddmm_csx_sample_kernelILi512ELi2EL20rocsparse_direction_1E21rocsparse_complex_numIfEllS3_EEvT4_S4_T3_PKT5_S4_PS6_PKS5_PKS4_21rocsparse_index_base_.has_indirect_call, 0
	.section	.AMDGPU.csdata,"",@progbits
; Kernel info:
; codeLenInByte = 344
; TotalNumSgprs: 18
; NumVgprs: 12
; NumAgprs: 0
; TotalNumVgprs: 12
; ScratchSize: 0
; MemoryBound: 0
; FloatMode: 240
; IeeeMode: 1
; LDSByteSize: 0 bytes/workgroup (compile time only)
; SGPRBlocks: 2
; VGPRBlocks: 1
; NumSGPRsForWavesPerEU: 18
; NumVGPRsForWavesPerEU: 12
; AccumOffset: 12
; Occupancy: 8
; WaveLimiterHint : 1
; COMPUTE_PGM_RSRC2:SCRATCH_EN: 0
; COMPUTE_PGM_RSRC2:USER_SGPR: 2
; COMPUTE_PGM_RSRC2:TRAP_HANDLER: 0
; COMPUTE_PGM_RSRC2:TGID_X_EN: 1
; COMPUTE_PGM_RSRC2:TGID_Y_EN: 0
; COMPUTE_PGM_RSRC2:TGID_Z_EN: 0
; COMPUTE_PGM_RSRC2:TIDIG_COMP_CNT: 0
; COMPUTE_PGM_RSRC3_GFX90A:ACCUM_OFFSET: 2
; COMPUTE_PGM_RSRC3_GFX90A:TG_SPLIT: 0
	.section	.text._ZN9rocsparseL23sddmm_csx_sample_kernelILi512ELi1EL20rocsparse_direction_1E21rocsparse_complex_numIfEllS3_EEvT4_S4_T3_PKT5_S4_PS6_PKS5_PKS4_21rocsparse_index_base_,"axG",@progbits,_ZN9rocsparseL23sddmm_csx_sample_kernelILi512ELi1EL20rocsparse_direction_1E21rocsparse_complex_numIfEllS3_EEvT4_S4_T3_PKT5_S4_PS6_PKS5_PKS4_21rocsparse_index_base_,comdat
	.globl	_ZN9rocsparseL23sddmm_csx_sample_kernelILi512ELi1EL20rocsparse_direction_1E21rocsparse_complex_numIfEllS3_EEvT4_S4_T3_PKT5_S4_PS6_PKS5_PKS4_21rocsparse_index_base_ ; -- Begin function _ZN9rocsparseL23sddmm_csx_sample_kernelILi512ELi1EL20rocsparse_direction_1E21rocsparse_complex_numIfEllS3_EEvT4_S4_T3_PKT5_S4_PS6_PKS5_PKS4_21rocsparse_index_base_
	.p2align	8
	.type	_ZN9rocsparseL23sddmm_csx_sample_kernelILi512ELi1EL20rocsparse_direction_1E21rocsparse_complex_numIfEllS3_EEvT4_S4_T3_PKT5_S4_PS6_PKS5_PKS4_21rocsparse_index_base_,@function
_ZN9rocsparseL23sddmm_csx_sample_kernelILi512ELi1EL20rocsparse_direction_1E21rocsparse_complex_numIfEllS3_EEvT4_S4_T3_PKT5_S4_PS6_PKS5_PKS4_21rocsparse_index_base_: ; @_ZN9rocsparseL23sddmm_csx_sample_kernelILi512ELi1EL20rocsparse_direction_1E21rocsparse_complex_numIfEllS3_EEvT4_S4_T3_PKT5_S4_PS6_PKS5_PKS4_21rocsparse_index_base_
; %bb.0:
	s_load_dwordx2 s[4:5], s[0:1], 0x8
	v_lshl_or_b32 v4, s2, 9, v0
	v_mov_b32_e32 v5, 0
	s_waitcnt lgkmcnt(0)
	v_cmp_gt_i64_e32 vcc, s[4:5], v[4:5]
	s_and_saveexec_b64 s[2:3], vcc
	s_cbranch_execz .LBB205_4
; %bb.1:
	s_load_dwordx2 s[2:3], s[0:1], 0x30
	v_add_u32_e32 v0, 1, v4
	v_mov_b32_e32 v1, v5
	s_waitcnt lgkmcnt(0)
	v_lshl_add_u64 v[2:3], v[4:5], 3, s[2:3]
	v_lshl_add_u64 v[8:9], v[0:1], 3, s[2:3]
	global_load_dwordx2 v[6:7], v[2:3], off
	global_load_dwordx2 v[0:1], v[8:9], off
	s_waitcnt vmcnt(0)
	v_cmp_lt_i64_e32 vcc, v[6:7], v[0:1]
	s_and_b64 exec, exec, vcc
	s_cbranch_execz .LBB205_4
; %bb.2:
	s_load_dwordx2 s[8:9], s[0:1], 0x38
	s_load_dword s2, s[0:1], 0x40
	s_load_dwordx4 s[4:7], s[0:1], 0x18
	s_load_dwordx2 s[10:11], s[0:1], 0x28
	s_mov_b32 s3, 0
	s_waitcnt lgkmcnt(0)
	v_subrev_co_u32_e32 v0, vcc, s2, v0
	v_mad_u64_u32 v[8:9], s[0:1], s6, v4, 0
	s_nop 0
	v_subbrev_co_u32_e32 v1, vcc, 0, v1, vcc
	v_mov_b32_e32 v10, v9
	v_subrev_co_u32_e32 v2, vcc, s2, v6
	v_mad_u64_u32 v[4:5], s[0:1], s7, v4, v[10:11]
	s_nop 0
	v_subbrev_co_u32_e32 v3, vcc, 0, v7, vcc
	v_mov_b32_e32 v9, v4
	v_lshlrev_b64 v[6:7], 3, v[6:7]
	s_lshl_b64 s[0:1], s[2:3], 3
	v_lshl_add_u64 v[4:5], v[8:9], 3, s[4:5]
	v_mov_b32_e32 v9, s1
	v_subrev_co_u32_e32 v8, vcc, s0, v6
	s_mov_b64 s[0:1], 0
	s_nop 0
	v_subb_co_u32_e32 v9, vcc, v7, v9, vcc
	v_lshl_add_u64 v[6:7], s[10:11], 0, v[8:9]
	v_lshl_add_u64 v[8:9], s[8:9], 0, v[8:9]
.LBB205_3:                              ; =>This Inner Loop Header: Depth=1
	global_load_dwordx2 v[10:11], v[8:9], off
	v_lshl_add_u64 v[2:3], v[2:3], 0, 1
	v_lshl_add_u64 v[8:9], v[8:9], 0, 8
	s_waitcnt vmcnt(0)
	v_subrev_co_u32_e32 v10, vcc, s2, v10
	s_nop 1
	v_subbrev_co_u32_e32 v11, vcc, 0, v11, vcc
	v_lshl_add_u64 v[10:11], v[10:11], 3, v[4:5]
	global_load_dwordx2 v[10:11], v[10:11], off
	v_cmp_ge_i64_e32 vcc, v[2:3], v[0:1]
	s_or_b64 s[0:1], vcc, s[0:1]
	s_waitcnt vmcnt(0)
	global_store_dwordx2 v[6:7], v[10:11], off
	v_lshl_add_u64 v[6:7], v[6:7], 0, 8
	s_andn2_b64 exec, exec, s[0:1]
	s_cbranch_execnz .LBB205_3
.LBB205_4:
	s_endpgm
	.section	.rodata,"a",@progbits
	.p2align	6, 0x0
	.amdhsa_kernel _ZN9rocsparseL23sddmm_csx_sample_kernelILi512ELi1EL20rocsparse_direction_1E21rocsparse_complex_numIfEllS3_EEvT4_S4_T3_PKT5_S4_PS6_PKS5_PKS4_21rocsparse_index_base_
		.amdhsa_group_segment_fixed_size 0
		.amdhsa_private_segment_fixed_size 0
		.amdhsa_kernarg_size 68
		.amdhsa_user_sgpr_count 2
		.amdhsa_user_sgpr_dispatch_ptr 0
		.amdhsa_user_sgpr_queue_ptr 0
		.amdhsa_user_sgpr_kernarg_segment_ptr 1
		.amdhsa_user_sgpr_dispatch_id 0
		.amdhsa_user_sgpr_kernarg_preload_length 0
		.amdhsa_user_sgpr_kernarg_preload_offset 0
		.amdhsa_user_sgpr_private_segment_size 0
		.amdhsa_uses_dynamic_stack 0
		.amdhsa_enable_private_segment 0
		.amdhsa_system_sgpr_workgroup_id_x 1
		.amdhsa_system_sgpr_workgroup_id_y 0
		.amdhsa_system_sgpr_workgroup_id_z 0
		.amdhsa_system_sgpr_workgroup_info 0
		.amdhsa_system_vgpr_workitem_id 0
		.amdhsa_next_free_vgpr 12
		.amdhsa_next_free_sgpr 12
		.amdhsa_accum_offset 12
		.amdhsa_reserve_vcc 1
		.amdhsa_float_round_mode_32 0
		.amdhsa_float_round_mode_16_64 0
		.amdhsa_float_denorm_mode_32 3
		.amdhsa_float_denorm_mode_16_64 3
		.amdhsa_dx10_clamp 1
		.amdhsa_ieee_mode 1
		.amdhsa_fp16_overflow 0
		.amdhsa_tg_split 0
		.amdhsa_exception_fp_ieee_invalid_op 0
		.amdhsa_exception_fp_denorm_src 0
		.amdhsa_exception_fp_ieee_div_zero 0
		.amdhsa_exception_fp_ieee_overflow 0
		.amdhsa_exception_fp_ieee_underflow 0
		.amdhsa_exception_fp_ieee_inexact 0
		.amdhsa_exception_int_div_zero 0
	.end_amdhsa_kernel
	.section	.text._ZN9rocsparseL23sddmm_csx_sample_kernelILi512ELi1EL20rocsparse_direction_1E21rocsparse_complex_numIfEllS3_EEvT4_S4_T3_PKT5_S4_PS6_PKS5_PKS4_21rocsparse_index_base_,"axG",@progbits,_ZN9rocsparseL23sddmm_csx_sample_kernelILi512ELi1EL20rocsparse_direction_1E21rocsparse_complex_numIfEllS3_EEvT4_S4_T3_PKT5_S4_PS6_PKS5_PKS4_21rocsparse_index_base_,comdat
.Lfunc_end205:
	.size	_ZN9rocsparseL23sddmm_csx_sample_kernelILi512ELi1EL20rocsparse_direction_1E21rocsparse_complex_numIfEllS3_EEvT4_S4_T3_PKT5_S4_PS6_PKS5_PKS4_21rocsparse_index_base_, .Lfunc_end205-_ZN9rocsparseL23sddmm_csx_sample_kernelILi512ELi1EL20rocsparse_direction_1E21rocsparse_complex_numIfEllS3_EEvT4_S4_T3_PKT5_S4_PS6_PKS5_PKS4_21rocsparse_index_base_
                                        ; -- End function
	.set _ZN9rocsparseL23sddmm_csx_sample_kernelILi512ELi1EL20rocsparse_direction_1E21rocsparse_complex_numIfEllS3_EEvT4_S4_T3_PKT5_S4_PS6_PKS5_PKS4_21rocsparse_index_base_.num_vgpr, 12
	.set _ZN9rocsparseL23sddmm_csx_sample_kernelILi512ELi1EL20rocsparse_direction_1E21rocsparse_complex_numIfEllS3_EEvT4_S4_T3_PKT5_S4_PS6_PKS5_PKS4_21rocsparse_index_base_.num_agpr, 0
	.set _ZN9rocsparseL23sddmm_csx_sample_kernelILi512ELi1EL20rocsparse_direction_1E21rocsparse_complex_numIfEllS3_EEvT4_S4_T3_PKT5_S4_PS6_PKS5_PKS4_21rocsparse_index_base_.numbered_sgpr, 12
	.set _ZN9rocsparseL23sddmm_csx_sample_kernelILi512ELi1EL20rocsparse_direction_1E21rocsparse_complex_numIfEllS3_EEvT4_S4_T3_PKT5_S4_PS6_PKS5_PKS4_21rocsparse_index_base_.num_named_barrier, 0
	.set _ZN9rocsparseL23sddmm_csx_sample_kernelILi512ELi1EL20rocsparse_direction_1E21rocsparse_complex_numIfEllS3_EEvT4_S4_T3_PKT5_S4_PS6_PKS5_PKS4_21rocsparse_index_base_.private_seg_size, 0
	.set _ZN9rocsparseL23sddmm_csx_sample_kernelILi512ELi1EL20rocsparse_direction_1E21rocsparse_complex_numIfEllS3_EEvT4_S4_T3_PKT5_S4_PS6_PKS5_PKS4_21rocsparse_index_base_.uses_vcc, 1
	.set _ZN9rocsparseL23sddmm_csx_sample_kernelILi512ELi1EL20rocsparse_direction_1E21rocsparse_complex_numIfEllS3_EEvT4_S4_T3_PKT5_S4_PS6_PKS5_PKS4_21rocsparse_index_base_.uses_flat_scratch, 0
	.set _ZN9rocsparseL23sddmm_csx_sample_kernelILi512ELi1EL20rocsparse_direction_1E21rocsparse_complex_numIfEllS3_EEvT4_S4_T3_PKT5_S4_PS6_PKS5_PKS4_21rocsparse_index_base_.has_dyn_sized_stack, 0
	.set _ZN9rocsparseL23sddmm_csx_sample_kernelILi512ELi1EL20rocsparse_direction_1E21rocsparse_complex_numIfEllS3_EEvT4_S4_T3_PKT5_S4_PS6_PKS5_PKS4_21rocsparse_index_base_.has_recursion, 0
	.set _ZN9rocsparseL23sddmm_csx_sample_kernelILi512ELi1EL20rocsparse_direction_1E21rocsparse_complex_numIfEllS3_EEvT4_S4_T3_PKT5_S4_PS6_PKS5_PKS4_21rocsparse_index_base_.has_indirect_call, 0
	.section	.AMDGPU.csdata,"",@progbits
; Kernel info:
; codeLenInByte = 344
; TotalNumSgprs: 18
; NumVgprs: 12
; NumAgprs: 0
; TotalNumVgprs: 12
; ScratchSize: 0
; MemoryBound: 0
; FloatMode: 240
; IeeeMode: 1
; LDSByteSize: 0 bytes/workgroup (compile time only)
; SGPRBlocks: 2
; VGPRBlocks: 1
; NumSGPRsForWavesPerEU: 18
; NumVGPRsForWavesPerEU: 12
; AccumOffset: 12
; Occupancy: 8
; WaveLimiterHint : 1
; COMPUTE_PGM_RSRC2:SCRATCH_EN: 0
; COMPUTE_PGM_RSRC2:USER_SGPR: 2
; COMPUTE_PGM_RSRC2:TRAP_HANDLER: 0
; COMPUTE_PGM_RSRC2:TGID_X_EN: 1
; COMPUTE_PGM_RSRC2:TGID_Y_EN: 0
; COMPUTE_PGM_RSRC2:TGID_Z_EN: 0
; COMPUTE_PGM_RSRC2:TIDIG_COMP_CNT: 0
; COMPUTE_PGM_RSRC3_GFX90A:ACCUM_OFFSET: 2
; COMPUTE_PGM_RSRC3_GFX90A:TG_SPLIT: 0
	.section	.text._ZN9rocsparseL16sddmm_csx_kernelILi512ELi8EL20rocsparse_direction_0E21rocsparse_complex_numIfEllS3_S3_S3_EEv20rocsparse_operation_S4_16rocsparse_order_S5_T4_S6_S6_T3_NS_24const_host_device_scalarIT2_EEPKT5_lPKT6_lSA_PT7_PKS7_PKS6_21rocsparse_index_base_b,"axG",@progbits,_ZN9rocsparseL16sddmm_csx_kernelILi512ELi8EL20rocsparse_direction_0E21rocsparse_complex_numIfEllS3_S3_S3_EEv20rocsparse_operation_S4_16rocsparse_order_S5_T4_S6_S6_T3_NS_24const_host_device_scalarIT2_EEPKT5_lPKT6_lSA_PT7_PKS7_PKS6_21rocsparse_index_base_b,comdat
	.globl	_ZN9rocsparseL16sddmm_csx_kernelILi512ELi8EL20rocsparse_direction_0E21rocsparse_complex_numIfEllS3_S3_S3_EEv20rocsparse_operation_S4_16rocsparse_order_S5_T4_S6_S6_T3_NS_24const_host_device_scalarIT2_EEPKT5_lPKT6_lSA_PT7_PKS7_PKS6_21rocsparse_index_base_b ; -- Begin function _ZN9rocsparseL16sddmm_csx_kernelILi512ELi8EL20rocsparse_direction_0E21rocsparse_complex_numIfEllS3_S3_S3_EEv20rocsparse_operation_S4_16rocsparse_order_S5_T4_S6_S6_T3_NS_24const_host_device_scalarIT2_EEPKT5_lPKT6_lSA_PT7_PKS7_PKS6_21rocsparse_index_base_b
	.p2align	8
	.type	_ZN9rocsparseL16sddmm_csx_kernelILi512ELi8EL20rocsparse_direction_0E21rocsparse_complex_numIfEllS3_S3_S3_EEv20rocsparse_operation_S4_16rocsparse_order_S5_T4_S6_S6_T3_NS_24const_host_device_scalarIT2_EEPKT5_lPKT6_lSA_PT7_PKS7_PKS6_21rocsparse_index_base_b,@function
_ZN9rocsparseL16sddmm_csx_kernelILi512ELi8EL20rocsparse_direction_0E21rocsparse_complex_numIfEllS3_S3_S3_EEv20rocsparse_operation_S4_16rocsparse_order_S5_T4_S6_S6_T3_NS_24const_host_device_scalarIT2_EEPKT5_lPKT6_lSA_PT7_PKS7_PKS6_21rocsparse_index_base_b: ; @_ZN9rocsparseL16sddmm_csx_kernelILi512ELi8EL20rocsparse_direction_0E21rocsparse_complex_numIfEllS3_S3_S3_EEv20rocsparse_operation_S4_16rocsparse_order_S5_T4_S6_S6_T3_NS_24const_host_device_scalarIT2_EEPKT5_lPKT6_lSA_PT7_PKS7_PKS6_21rocsparse_index_base_b
; %bb.0:
	s_load_dwordx2 s[4:5], s[0:1], 0x30
	s_load_dwordx4 s[12:15], s[0:1], 0x50
	s_load_dwordx2 s[16:17], s[0:1], 0x78
	s_add_u32 s3, s0, 48
	s_addc_u32 s6, s1, 0
	s_add_u32 s7, s0, 0x58
	s_addc_u32 s8, s1, 0
	s_waitcnt lgkmcnt(0)
	s_bitcmp1_b32 s17, 0
	s_cselect_b32 s5, s6, s5
	s_cselect_b32 s3, s3, s4
	v_mov_b32_e32 v2, s3
	v_mov_b32_e32 v3, s5
	flat_load_dwordx2 v[6:7], v[2:3]
	s_cselect_b32 s3, s8, s15
	s_cselect_b32 s4, s7, s14
	v_mov_b32_e32 v2, s4
	v_mov_b32_e32 v3, s3
	flat_load_dwordx2 v[8:9], v[2:3]
	s_brev_b32 s3, -2
	s_mov_b64 s[4:5], -1
	s_waitcnt vmcnt(0) lgkmcnt(0)
	v_bitop3_b32 v1, v6, s3, v7 bitop3:0xc8
	v_cmp_eq_u32_e32 vcc, 0, v1
	s_and_saveexec_b64 s[6:7], vcc
; %bb.1:
	v_cmp_neq_f32_e32 vcc, 1.0, v8
	v_cmp_neq_f32_e64 s[4:5], 0, v9
	s_or_b64 s[4:5], vcc, s[4:5]
	s_orn2_b64 s[4:5], s[4:5], exec
; %bb.2:
	s_or_b64 exec, exec, s[6:7]
	s_and_saveexec_b64 s[6:7], s[4:5]
	s_cbranch_execz .LBB206_34
; %bb.3:
	s_load_dwordx2 s[4:5], s[0:1], 0x10
	v_lshrrev_b32_e32 v10, 3, v0
	v_lshl_or_b32 v2, s2, 6, v10
	v_mov_b32_e32 v3, 0
	s_waitcnt lgkmcnt(0)
	v_cmp_gt_i64_e32 vcc, s[4:5], v[2:3]
	s_and_b64 exec, exec, vcc
	s_cbranch_execz .LBB206_34
; %bb.4:
	s_load_dwordx4 s[4:7], s[0:1], 0x0
	s_load_dwordx2 s[14:15], s[0:1], 0x68
	s_load_dwordx2 s[2:3], s[0:1], 0x40
	s_waitcnt lgkmcnt(0)
	s_cmp_eq_u32 s6, 1
	s_cselect_b64 s[8:9], -1, 0
	s_cmpk_eq_i32 s4, 0x6f
	s_cselect_b64 s[10:11], -1, 0
	s_cmpk_lg_i32 s4, 0x6f
	s_cselect_b64 s[18:19], -1, 0
	s_cmp_lg_u32 s6, 1
	s_cbranch_scc0 .LBB206_8
; %bb.5:
	s_andn2_b64 vcc, exec, s[10:11]
	v_mov_b64_e32 v[16:17], v[2:3]
	s_cbranch_vccnz .LBB206_7
; %bb.6:
	v_mad_u64_u32 v[16:17], s[20:21], s2, v2, 0
	v_mov_b32_e32 v4, v17
	v_mad_u64_u32 v[4:5], s[20:21], s3, v2, v[4:5]
	v_mov_b32_e32 v17, v4
.LBB206_7:
	s_cbranch_execz .LBB206_9
	s_branch .LBB206_11
.LBB206_8:
                                        ; implicit-def: $vgpr16_vgpr17
.LBB206_9:
	s_andn2_b64 vcc, exec, s[18:19]
	v_mov_b64_e32 v[16:17], v[2:3]
	s_cbranch_vccnz .LBB206_11
; %bb.10:
	v_mad_u64_u32 v[16:17], s[18:19], s2, v2, 0
	v_mov_b32_e32 v4, v17
	v_mad_u64_u32 v[4:5], s[18:19], s3, v2, v[4:5]
	v_mov_b32_e32 v17, v4
.LBB206_11:
	v_lshl_add_u64 v[2:3], v[2:3], 3, s[14:15]
	global_load_dwordx4 v[2:5], v[2:3], off
	s_waitcnt vmcnt(0)
	v_cmp_lt_i64_e32 vcc, v[2:3], v[4:5]
	s_and_b64 exec, exec, vcc
	s_cbranch_execz .LBB206_34
; %bb.12:
	s_xor_b64 s[8:9], s[10:11], s[8:9]
	s_and_b64 s[8:9], s[8:9], exec
	s_cselect_b32 s9, 0, s3
	s_cselect_b32 s8, 1, s2
	s_cmp_lg_u32 s7, 1
	s_cselect_b64 s[18:19], -1, 0
	s_cmp_eq_u32 s7, 1
	s_cselect_b64 s[2:3], -1, 0
	s_cmpk_eq_i32 s5, 0x6f
	s_cselect_b64 s[20:21], -1, 0
	s_cmpk_lg_i32 s5, 0x6f
	s_cselect_b64 s[10:11], -1, 0
	s_xor_b64 s[2:3], s[20:21], s[2:3]
	s_and_b64 s[2:3], s[2:3], exec
	s_cselect_b32 s26, s12, 1
	v_and_b32_e32 v0, 7, v0
	v_mad_u64_u32 v[14:15], s[34:35], s26, v0, 0
	s_cselect_b32 s27, s13, 0
	v_mov_b32_e32 v18, v15
	s_load_dwordx2 s[28:29], s[0:1], 0x48
	s_load_dwordx2 s[22:23], s[0:1], 0x60
	;; [unrolled: 1-line block ×4, first 2 shown]
	v_mad_u64_u32 v[18:19], s[34:35], s27, v0, v[18:19]
	v_mov_b32_e32 v15, v18
	s_waitcnt lgkmcnt(0)
	v_lshl_add_u64 v[14:15], v[14:15], 3, s[28:29]
	v_mad_u64_u32 v[18:19], s[28:29], s8, v0, 0
	s_load_dwordx2 s[14:15], s[0:1], 0x70
	v_mov_b32_e32 v20, v19
	v_subrev_co_u32_e32 v2, vcc, s16, v2
	v_mad_u64_u32 v[20:21], s[28:29], s9, v0, v[20:21]
	s_nop 0
	v_subbrev_co_u32_e32 v3, vcc, 0, v3, vcc
	v_mov_b32_e32 v19, v20
	v_lshlrev_b64 v[16:17], 3, v[16:17]
	v_mov_b32_e32 v1, 0
	v_lshlrev_b32_e32 v26, 6, v10
	v_subrev_co_u32_e32 v4, vcc, s16, v4
	v_lshl_add_u64 v[16:17], v[18:19], 3, v[16:17]
	v_cndmask_b32_e64 v18, 0, 1, s[10:11]
	v_cmp_gt_i64_e64 s[0:1], s[24:25], v[0:1]
	v_lshl_or_b32 v27, v0, 3, v26
	v_cmp_eq_u32_e64 s[2:3], 0, v0
	v_xor_b32_e32 v10, 0x80000000, v7
	v_cmp_gt_u32_e64 s[4:5], 4, v0
	v_cmp_gt_u32_e64 s[6:7], 2, v0
	v_mov_b32_e32 v11, v6
	v_mov_b32_e32 v12, v8
	;; [unrolled: 1-line block ×4, first 2 shown]
	v_subbrev_co_u32_e32 v5, vcc, 0, v5, vcc
	v_lshl_add_u64 v[14:15], v[14:15], 0, 4
	s_lshl_b64 s[26:27], s[26:27], 6
	v_lshl_add_u64 v[16:17], s[30:31], 0, v[16:17]
	s_lshl_b64 s[28:29], s[8:9], 6
	s_mov_b64 s[30:31], 0
	v_cmp_ne_u32_e64 s[8:9], 1, v18
	s_branch .LBB206_14
.LBB206_13:                             ;   in Loop: Header=BB206_14 Depth=1
	s_or_b64 exec, exec, s[10:11]
	v_lshl_add_u64 v[2:3], v[2:3], 0, 1
	v_cmp_ge_i64_e32 vcc, v[2:3], v[4:5]
	s_or_b64 s[30:31], vcc, s[30:31]
	s_andn2_b64 exec, exec, s[30:31]
	s_cbranch_execz .LBB206_34
.LBB206_14:                             ; =>This Loop Header: Depth=1
                                        ;     Child Loop BB206_24 Depth 2
	s_waitcnt lgkmcnt(0)
	v_lshl_add_u64 v[18:19], v[2:3], 3, s[14:15]
	global_load_dwordx2 v[18:19], v[18:19], off
	s_mov_b64 s[34:35], -1
	s_and_b64 vcc, exec, s[18:19]
                                        ; implicit-def: $vgpr20_vgpr21
	s_waitcnt vmcnt(0)
	v_subrev_co_u32_e64 v18, s[10:11], s16, v18
	s_nop 1
	v_subbrev_co_u32_e64 v19, s[10:11], 0, v19, s[10:11]
	s_cbranch_vccnz .LBB206_17
; %bb.15:                               ;   in Loop: Header=BB206_14 Depth=1
	s_andn2_b64 vcc, exec, s[34:35]
	s_cbranch_vccz .LBB206_20
.LBB206_16:                             ;   in Loop: Header=BB206_14 Depth=1
	v_mov_b32_e32 v19, 0
	v_mov_b32_e32 v18, v19
	s_and_saveexec_b64 s[10:11], s[0:1]
	s_cbranch_execnz .LBB206_23
	s_branch .LBB206_26
.LBB206_17:                             ;   in Loop: Header=BB206_14 Depth=1
	s_and_b64 vcc, exec, s[8:9]
	v_mov_b64_e32 v[20:21], v[18:19]
	s_cbranch_vccnz .LBB206_19
; %bb.18:                               ;   in Loop: Header=BB206_14 Depth=1
	v_mul_lo_u32 v22, v19, s12
	v_mul_lo_u32 v23, v18, s13
	v_mad_u64_u32 v[20:21], s[10:11], v18, s12, 0
	v_add3_u32 v21, v21, v23, v22
.LBB206_19:                             ;   in Loop: Header=BB206_14 Depth=1
	s_cbranch_execnz .LBB206_16
.LBB206_20:                             ;   in Loop: Header=BB206_14 Depth=1
	s_andn2_b64 vcc, exec, s[20:21]
	s_cbranch_vccnz .LBB206_22
; %bb.21:                               ;   in Loop: Header=BB206_14 Depth=1
	v_mul_lo_u32 v20, v19, s12
	v_mul_lo_u32 v21, v18, s13
	v_mad_u64_u32 v[18:19], s[10:11], v18, s12, 0
	v_add3_u32 v19, v19, v21, v20
.LBB206_22:                             ;   in Loop: Header=BB206_14 Depth=1
	v_mov_b64_e32 v[20:21], v[18:19]
	v_mov_b32_e32 v19, 0
	v_mov_b32_e32 v18, v19
	s_and_saveexec_b64 s[10:11], s[0:1]
	s_cbranch_execz .LBB206_26
.LBB206_23:                             ;   in Loop: Header=BB206_14 Depth=1
	v_mov_b32_e32 v18, 0
	v_lshl_add_u64 v[20:21], v[20:21], 3, v[14:15]
	s_mov_b64 s[34:35], 0
	v_mov_b64_e32 v[22:23], v[16:17]
	v_mov_b64_e32 v[24:25], v[0:1]
	v_mov_b32_e32 v19, v18
.LBB206_24:                             ;   Parent Loop BB206_14 Depth=1
                                        ; =>  This Inner Loop Header: Depth=2
	global_load_dwordx2 v[28:29], v[22:23], off
	global_load_dwordx2 v[30:31], v[20:21], off offset:-4
	v_lshl_add_u64 v[24:25], v[24:25], 0, 8
	v_cmp_le_i64_e32 vcc, s[24:25], v[24:25]
	v_lshl_add_u64 v[20:21], v[20:21], 0, s[26:27]
	v_lshl_add_u64 v[22:23], v[22:23], 0, s[28:29]
	s_or_b64 s[34:35], vcc, s[34:35]
	s_waitcnt vmcnt(1)
	v_xor_b32_e32 v32, 0x80000000, v29
	v_mov_b32_e32 v33, v28
	s_waitcnt vmcnt(0)
	v_pk_mul_f32 v[32:33], v[30:31], v[32:33] op_sel:[1,0]
	s_nop 0
	v_pk_fma_f32 v[28:29], v[28:29], v[30:31], v[32:33] op_sel_hi:[1,0,1]
	s_nop 0
	v_pk_add_f32 v[18:19], v[18:19], v[28:29]
	s_andn2_b64 exec, exec, s[34:35]
	s_cbranch_execnz .LBB206_24
; %bb.25:                               ;   in Loop: Header=BB206_14 Depth=1
	s_or_b64 exec, exec, s[34:35]
.LBB206_26:                             ;   in Loop: Header=BB206_14 Depth=1
	s_or_b64 exec, exec, s[10:11]
	ds_write_b64 v27, v[18:19]
	s_waitcnt lgkmcnt(0)
	s_barrier
	s_and_saveexec_b64 s[10:11], s[4:5]
	s_cbranch_execz .LBB206_28
; %bb.27:                               ;   in Loop: Header=BB206_14 Depth=1
	ds_read2_b64 v[18:21], v27 offset1:4
	s_waitcnt lgkmcnt(0)
	v_pk_add_f32 v[18:19], v[20:21], v[18:19]
	ds_write_b64 v27, v[18:19]
.LBB206_28:                             ;   in Loop: Header=BB206_14 Depth=1
	s_or_b64 exec, exec, s[10:11]
	s_waitcnt lgkmcnt(0)
	s_barrier
	s_and_saveexec_b64 s[10:11], s[6:7]
	s_cbranch_execz .LBB206_30
; %bb.29:                               ;   in Loop: Header=BB206_14 Depth=1
	ds_read2_b64 v[18:21], v27 offset1:2
	s_waitcnt lgkmcnt(0)
	v_pk_add_f32 v[18:19], v[20:21], v[18:19]
	ds_write_b64 v27, v[18:19]
.LBB206_30:                             ;   in Loop: Header=BB206_14 Depth=1
	s_or_b64 exec, exec, s[10:11]
	;; [unrolled: 11-line block ×3, first 2 shown]
	s_waitcnt lgkmcnt(0)
	s_barrier
	s_and_saveexec_b64 s[10:11], s[2:3]
	s_cbranch_execz .LBB206_13
; %bb.33:                               ;   in Loop: Header=BB206_14 Depth=1
	v_lshl_add_u64 v[18:19], v[2:3], 3, s[22:23]
	global_load_dwordx2 v[20:21], v[18:19], off
	ds_read_b64 v[22:23], v26
	s_waitcnt lgkmcnt(0)
	v_pk_mul_f32 v[24:25], v[22:23], v[10:11] op_sel:[1,0]
	s_nop 0
	v_pk_fma_f32 v[22:23], v[6:7], v[22:23], v[24:25] op_sel_hi:[1,0,1]
	s_waitcnt vmcnt(0)
	v_pk_mul_f32 v[28:29], v[8:9], v[20:21] op_sel:[0,1] op_sel_hi:[1,0] neg_lo:[0,1]
	s_nop 0
	v_pk_fma_f32 v[20:21], v[20:21], v[12:13], v[28:29]
	s_nop 0
	v_pk_add_f32 v[20:21], v[22:23], v[20:21]
	global_store_dwordx2 v[18:19], v[20:21], off
	s_branch .LBB206_13
.LBB206_34:
	s_endpgm
	.section	.rodata,"a",@progbits
	.p2align	6, 0x0
	.amdhsa_kernel _ZN9rocsparseL16sddmm_csx_kernelILi512ELi8EL20rocsparse_direction_0E21rocsparse_complex_numIfEllS3_S3_S3_EEv20rocsparse_operation_S4_16rocsparse_order_S5_T4_S6_S6_T3_NS_24const_host_device_scalarIT2_EEPKT5_lPKT6_lSA_PT7_PKS7_PKS6_21rocsparse_index_base_b
		.amdhsa_group_segment_fixed_size 4096
		.amdhsa_private_segment_fixed_size 0
		.amdhsa_kernarg_size 128
		.amdhsa_user_sgpr_count 2
		.amdhsa_user_sgpr_dispatch_ptr 0
		.amdhsa_user_sgpr_queue_ptr 0
		.amdhsa_user_sgpr_kernarg_segment_ptr 1
		.amdhsa_user_sgpr_dispatch_id 0
		.amdhsa_user_sgpr_kernarg_preload_length 0
		.amdhsa_user_sgpr_kernarg_preload_offset 0
		.amdhsa_user_sgpr_private_segment_size 0
		.amdhsa_uses_dynamic_stack 0
		.amdhsa_enable_private_segment 0
		.amdhsa_system_sgpr_workgroup_id_x 1
		.amdhsa_system_sgpr_workgroup_id_y 0
		.amdhsa_system_sgpr_workgroup_id_z 0
		.amdhsa_system_sgpr_workgroup_info 0
		.amdhsa_system_vgpr_workitem_id 0
		.amdhsa_next_free_vgpr 34
		.amdhsa_next_free_sgpr 36
		.amdhsa_accum_offset 36
		.amdhsa_reserve_vcc 1
		.amdhsa_float_round_mode_32 0
		.amdhsa_float_round_mode_16_64 0
		.amdhsa_float_denorm_mode_32 3
		.amdhsa_float_denorm_mode_16_64 3
		.amdhsa_dx10_clamp 1
		.amdhsa_ieee_mode 1
		.amdhsa_fp16_overflow 0
		.amdhsa_tg_split 0
		.amdhsa_exception_fp_ieee_invalid_op 0
		.amdhsa_exception_fp_denorm_src 0
		.amdhsa_exception_fp_ieee_div_zero 0
		.amdhsa_exception_fp_ieee_overflow 0
		.amdhsa_exception_fp_ieee_underflow 0
		.amdhsa_exception_fp_ieee_inexact 0
		.amdhsa_exception_int_div_zero 0
	.end_amdhsa_kernel
	.section	.text._ZN9rocsparseL16sddmm_csx_kernelILi512ELi8EL20rocsparse_direction_0E21rocsparse_complex_numIfEllS3_S3_S3_EEv20rocsparse_operation_S4_16rocsparse_order_S5_T4_S6_S6_T3_NS_24const_host_device_scalarIT2_EEPKT5_lPKT6_lSA_PT7_PKS7_PKS6_21rocsparse_index_base_b,"axG",@progbits,_ZN9rocsparseL16sddmm_csx_kernelILi512ELi8EL20rocsparse_direction_0E21rocsparse_complex_numIfEllS3_S3_S3_EEv20rocsparse_operation_S4_16rocsparse_order_S5_T4_S6_S6_T3_NS_24const_host_device_scalarIT2_EEPKT5_lPKT6_lSA_PT7_PKS7_PKS6_21rocsparse_index_base_b,comdat
.Lfunc_end206:
	.size	_ZN9rocsparseL16sddmm_csx_kernelILi512ELi8EL20rocsparse_direction_0E21rocsparse_complex_numIfEllS3_S3_S3_EEv20rocsparse_operation_S4_16rocsparse_order_S5_T4_S6_S6_T3_NS_24const_host_device_scalarIT2_EEPKT5_lPKT6_lSA_PT7_PKS7_PKS6_21rocsparse_index_base_b, .Lfunc_end206-_ZN9rocsparseL16sddmm_csx_kernelILi512ELi8EL20rocsparse_direction_0E21rocsparse_complex_numIfEllS3_S3_S3_EEv20rocsparse_operation_S4_16rocsparse_order_S5_T4_S6_S6_T3_NS_24const_host_device_scalarIT2_EEPKT5_lPKT6_lSA_PT7_PKS7_PKS6_21rocsparse_index_base_b
                                        ; -- End function
	.set _ZN9rocsparseL16sddmm_csx_kernelILi512ELi8EL20rocsparse_direction_0E21rocsparse_complex_numIfEllS3_S3_S3_EEv20rocsparse_operation_S4_16rocsparse_order_S5_T4_S6_S6_T3_NS_24const_host_device_scalarIT2_EEPKT5_lPKT6_lSA_PT7_PKS7_PKS6_21rocsparse_index_base_b.num_vgpr, 34
	.set _ZN9rocsparseL16sddmm_csx_kernelILi512ELi8EL20rocsparse_direction_0E21rocsparse_complex_numIfEllS3_S3_S3_EEv20rocsparse_operation_S4_16rocsparse_order_S5_T4_S6_S6_T3_NS_24const_host_device_scalarIT2_EEPKT5_lPKT6_lSA_PT7_PKS7_PKS6_21rocsparse_index_base_b.num_agpr, 0
	.set _ZN9rocsparseL16sddmm_csx_kernelILi512ELi8EL20rocsparse_direction_0E21rocsparse_complex_numIfEllS3_S3_S3_EEv20rocsparse_operation_S4_16rocsparse_order_S5_T4_S6_S6_T3_NS_24const_host_device_scalarIT2_EEPKT5_lPKT6_lSA_PT7_PKS7_PKS6_21rocsparse_index_base_b.numbered_sgpr, 36
	.set _ZN9rocsparseL16sddmm_csx_kernelILi512ELi8EL20rocsparse_direction_0E21rocsparse_complex_numIfEllS3_S3_S3_EEv20rocsparse_operation_S4_16rocsparse_order_S5_T4_S6_S6_T3_NS_24const_host_device_scalarIT2_EEPKT5_lPKT6_lSA_PT7_PKS7_PKS6_21rocsparse_index_base_b.num_named_barrier, 0
	.set _ZN9rocsparseL16sddmm_csx_kernelILi512ELi8EL20rocsparse_direction_0E21rocsparse_complex_numIfEllS3_S3_S3_EEv20rocsparse_operation_S4_16rocsparse_order_S5_T4_S6_S6_T3_NS_24const_host_device_scalarIT2_EEPKT5_lPKT6_lSA_PT7_PKS7_PKS6_21rocsparse_index_base_b.private_seg_size, 0
	.set _ZN9rocsparseL16sddmm_csx_kernelILi512ELi8EL20rocsparse_direction_0E21rocsparse_complex_numIfEllS3_S3_S3_EEv20rocsparse_operation_S4_16rocsparse_order_S5_T4_S6_S6_T3_NS_24const_host_device_scalarIT2_EEPKT5_lPKT6_lSA_PT7_PKS7_PKS6_21rocsparse_index_base_b.uses_vcc, 1
	.set _ZN9rocsparseL16sddmm_csx_kernelILi512ELi8EL20rocsparse_direction_0E21rocsparse_complex_numIfEllS3_S3_S3_EEv20rocsparse_operation_S4_16rocsparse_order_S5_T4_S6_S6_T3_NS_24const_host_device_scalarIT2_EEPKT5_lPKT6_lSA_PT7_PKS7_PKS6_21rocsparse_index_base_b.uses_flat_scratch, 0
	.set _ZN9rocsparseL16sddmm_csx_kernelILi512ELi8EL20rocsparse_direction_0E21rocsparse_complex_numIfEllS3_S3_S3_EEv20rocsparse_operation_S4_16rocsparse_order_S5_T4_S6_S6_T3_NS_24const_host_device_scalarIT2_EEPKT5_lPKT6_lSA_PT7_PKS7_PKS6_21rocsparse_index_base_b.has_dyn_sized_stack, 0
	.set _ZN9rocsparseL16sddmm_csx_kernelILi512ELi8EL20rocsparse_direction_0E21rocsparse_complex_numIfEllS3_S3_S3_EEv20rocsparse_operation_S4_16rocsparse_order_S5_T4_S6_S6_T3_NS_24const_host_device_scalarIT2_EEPKT5_lPKT6_lSA_PT7_PKS7_PKS6_21rocsparse_index_base_b.has_recursion, 0
	.set _ZN9rocsparseL16sddmm_csx_kernelILi512ELi8EL20rocsparse_direction_0E21rocsparse_complex_numIfEllS3_S3_S3_EEv20rocsparse_operation_S4_16rocsparse_order_S5_T4_S6_S6_T3_NS_24const_host_device_scalarIT2_EEPKT5_lPKT6_lSA_PT7_PKS7_PKS6_21rocsparse_index_base_b.has_indirect_call, 0
	.section	.AMDGPU.csdata,"",@progbits
; Kernel info:
; codeLenInByte = 1328
; TotalNumSgprs: 42
; NumVgprs: 34
; NumAgprs: 0
; TotalNumVgprs: 34
; ScratchSize: 0
; MemoryBound: 0
; FloatMode: 240
; IeeeMode: 1
; LDSByteSize: 4096 bytes/workgroup (compile time only)
; SGPRBlocks: 5
; VGPRBlocks: 4
; NumSGPRsForWavesPerEU: 42
; NumVGPRsForWavesPerEU: 34
; AccumOffset: 36
; Occupancy: 8
; WaveLimiterHint : 0
; COMPUTE_PGM_RSRC2:SCRATCH_EN: 0
; COMPUTE_PGM_RSRC2:USER_SGPR: 2
; COMPUTE_PGM_RSRC2:TRAP_HANDLER: 0
; COMPUTE_PGM_RSRC2:TGID_X_EN: 1
; COMPUTE_PGM_RSRC2:TGID_Y_EN: 0
; COMPUTE_PGM_RSRC2:TGID_Z_EN: 0
; COMPUTE_PGM_RSRC2:TIDIG_COMP_CNT: 0
; COMPUTE_PGM_RSRC3_GFX90A:ACCUM_OFFSET: 8
; COMPUTE_PGM_RSRC3_GFX90A:TG_SPLIT: 0
	.section	.text._ZN9rocsparseL16sddmm_csx_kernelILi512ELi4EL20rocsparse_direction_0E21rocsparse_complex_numIfEllS3_S3_S3_EEv20rocsparse_operation_S4_16rocsparse_order_S5_T4_S6_S6_T3_NS_24const_host_device_scalarIT2_EEPKT5_lPKT6_lSA_PT7_PKS7_PKS6_21rocsparse_index_base_b,"axG",@progbits,_ZN9rocsparseL16sddmm_csx_kernelILi512ELi4EL20rocsparse_direction_0E21rocsparse_complex_numIfEllS3_S3_S3_EEv20rocsparse_operation_S4_16rocsparse_order_S5_T4_S6_S6_T3_NS_24const_host_device_scalarIT2_EEPKT5_lPKT6_lSA_PT7_PKS7_PKS6_21rocsparse_index_base_b,comdat
	.globl	_ZN9rocsparseL16sddmm_csx_kernelILi512ELi4EL20rocsparse_direction_0E21rocsparse_complex_numIfEllS3_S3_S3_EEv20rocsparse_operation_S4_16rocsparse_order_S5_T4_S6_S6_T3_NS_24const_host_device_scalarIT2_EEPKT5_lPKT6_lSA_PT7_PKS7_PKS6_21rocsparse_index_base_b ; -- Begin function _ZN9rocsparseL16sddmm_csx_kernelILi512ELi4EL20rocsparse_direction_0E21rocsparse_complex_numIfEllS3_S3_S3_EEv20rocsparse_operation_S4_16rocsparse_order_S5_T4_S6_S6_T3_NS_24const_host_device_scalarIT2_EEPKT5_lPKT6_lSA_PT7_PKS7_PKS6_21rocsparse_index_base_b
	.p2align	8
	.type	_ZN9rocsparseL16sddmm_csx_kernelILi512ELi4EL20rocsparse_direction_0E21rocsparse_complex_numIfEllS3_S3_S3_EEv20rocsparse_operation_S4_16rocsparse_order_S5_T4_S6_S6_T3_NS_24const_host_device_scalarIT2_EEPKT5_lPKT6_lSA_PT7_PKS7_PKS6_21rocsparse_index_base_b,@function
_ZN9rocsparseL16sddmm_csx_kernelILi512ELi4EL20rocsparse_direction_0E21rocsparse_complex_numIfEllS3_S3_S3_EEv20rocsparse_operation_S4_16rocsparse_order_S5_T4_S6_S6_T3_NS_24const_host_device_scalarIT2_EEPKT5_lPKT6_lSA_PT7_PKS7_PKS6_21rocsparse_index_base_b: ; @_ZN9rocsparseL16sddmm_csx_kernelILi512ELi4EL20rocsparse_direction_0E21rocsparse_complex_numIfEllS3_S3_S3_EEv20rocsparse_operation_S4_16rocsparse_order_S5_T4_S6_S6_T3_NS_24const_host_device_scalarIT2_EEPKT5_lPKT6_lSA_PT7_PKS7_PKS6_21rocsparse_index_base_b
; %bb.0:
	s_load_dwordx2 s[4:5], s[0:1], 0x30
	s_load_dwordx4 s[12:15], s[0:1], 0x50
	s_load_dwordx2 s[10:11], s[0:1], 0x78
	s_add_u32 s3, s0, 48
	s_addc_u32 s6, s1, 0
	s_add_u32 s7, s0, 0x58
	s_addc_u32 s8, s1, 0
	s_waitcnt lgkmcnt(0)
	s_bitcmp1_b32 s11, 0
	s_cselect_b32 s5, s6, s5
	s_cselect_b32 s3, s3, s4
	v_mov_b32_e32 v2, s3
	v_mov_b32_e32 v3, s5
	flat_load_dwordx2 v[6:7], v[2:3]
	s_cselect_b32 s3, s8, s15
	s_cselect_b32 s4, s7, s14
	v_mov_b32_e32 v2, s4
	v_mov_b32_e32 v3, s3
	flat_load_dwordx2 v[8:9], v[2:3]
	s_brev_b32 s3, -2
	s_mov_b64 s[4:5], -1
	s_waitcnt vmcnt(0) lgkmcnt(0)
	v_bitop3_b32 v1, v6, s3, v7 bitop3:0xc8
	v_cmp_eq_u32_e32 vcc, 0, v1
	s_and_saveexec_b64 s[6:7], vcc
; %bb.1:
	v_cmp_neq_f32_e32 vcc, 1.0, v8
	v_cmp_neq_f32_e64 s[4:5], 0, v9
	s_or_b64 s[4:5], vcc, s[4:5]
	s_orn2_b64 s[4:5], s[4:5], exec
; %bb.2:
	s_or_b64 exec, exec, s[6:7]
	s_and_saveexec_b64 s[6:7], s[4:5]
	s_cbranch_execz .LBB207_32
; %bb.3:
	s_load_dwordx2 s[4:5], s[0:1], 0x10
	v_lshrrev_b32_e32 v10, 2, v0
	v_lshl_or_b32 v2, s2, 7, v10
	v_mov_b32_e32 v3, 0
	s_waitcnt lgkmcnt(0)
	v_cmp_gt_i64_e32 vcc, s[4:5], v[2:3]
	s_and_b64 exec, exec, vcc
	s_cbranch_execz .LBB207_32
; %bb.4:
	s_load_dwordx4 s[4:7], s[0:1], 0x0
	s_load_dwordx2 s[14:15], s[0:1], 0x68
	s_load_dwordx2 s[2:3], s[0:1], 0x40
	s_waitcnt lgkmcnt(0)
	s_cmp_eq_u32 s6, 1
	s_cselect_b64 s[8:9], -1, 0
	s_cmpk_eq_i32 s4, 0x6f
	s_cselect_b64 s[16:17], -1, 0
	s_cmpk_lg_i32 s4, 0x6f
	s_cselect_b64 s[18:19], -1, 0
	s_cmp_lg_u32 s6, 1
	s_cbranch_scc0 .LBB207_8
; %bb.5:
	s_andn2_b64 vcc, exec, s[16:17]
	v_mov_b64_e32 v[16:17], v[2:3]
	s_cbranch_vccnz .LBB207_7
; %bb.6:
	v_mad_u64_u32 v[16:17], s[20:21], s2, v2, 0
	v_mov_b32_e32 v4, v17
	v_mad_u64_u32 v[4:5], s[20:21], s3, v2, v[4:5]
	v_mov_b32_e32 v17, v4
.LBB207_7:
	s_cbranch_execz .LBB207_9
	s_branch .LBB207_11
.LBB207_8:
                                        ; implicit-def: $vgpr16_vgpr17
.LBB207_9:
	s_andn2_b64 vcc, exec, s[18:19]
	v_mov_b64_e32 v[16:17], v[2:3]
	s_cbranch_vccnz .LBB207_11
; %bb.10:
	v_mad_u64_u32 v[16:17], s[18:19], s2, v2, 0
	v_mov_b32_e32 v4, v17
	v_mad_u64_u32 v[4:5], s[18:19], s3, v2, v[4:5]
	v_mov_b32_e32 v17, v4
.LBB207_11:
	v_lshl_add_u64 v[2:3], v[2:3], 3, s[14:15]
	global_load_dwordx4 v[2:5], v[2:3], off
	s_waitcnt vmcnt(0)
	v_cmp_lt_i64_e32 vcc, v[2:3], v[4:5]
	s_and_b64 exec, exec, vcc
	s_cbranch_execz .LBB207_32
; %bb.12:
	s_xor_b64 s[8:9], s[16:17], s[8:9]
	s_and_b64 s[8:9], s[8:9], exec
	s_cselect_b32 s9, 0, s3
	s_cselect_b32 s8, 1, s2
	s_cmp_lg_u32 s7, 1
	s_cselect_b64 s[16:17], -1, 0
	s_cmp_eq_u32 s7, 1
	s_cselect_b64 s[2:3], -1, 0
	s_cmpk_eq_i32 s5, 0x6f
	s_cselect_b64 s[18:19], -1, 0
	s_cmpk_lg_i32 s5, 0x6f
	s_cselect_b64 s[6:7], -1, 0
	s_xor_b64 s[2:3], s[18:19], s[2:3]
	s_and_b64 s[2:3], s[2:3], exec
	s_cselect_b32 s24, s12, 1
	v_and_b32_e32 v0, 3, v0
	v_mad_u64_u32 v[14:15], s[30:31], s24, v0, 0
	s_cselect_b32 s25, s13, 0
	v_mov_b32_e32 v18, v15
	s_load_dwordx2 s[26:27], s[0:1], 0x48
	s_load_dwordx2 s[20:21], s[0:1], 0x60
	;; [unrolled: 1-line block ×4, first 2 shown]
	v_mad_u64_u32 v[18:19], s[30:31], s25, v0, v[18:19]
	v_mov_b32_e32 v15, v18
	s_waitcnt lgkmcnt(0)
	v_lshl_add_u64 v[14:15], v[14:15], 3, s[26:27]
	v_mad_u64_u32 v[18:19], s[26:27], s8, v0, 0
	s_load_dwordx2 s[14:15], s[0:1], 0x70
	v_mov_b32_e32 v20, v19
	v_subrev_co_u32_e32 v2, vcc, s10, v2
	v_mad_u64_u32 v[20:21], s[26:27], s9, v0, v[20:21]
	s_nop 0
	v_subbrev_co_u32_e32 v3, vcc, 0, v3, vcc
	v_mov_b32_e32 v19, v20
	v_lshlrev_b64 v[16:17], 3, v[16:17]
	v_mov_b32_e32 v1, 0
	v_lshlrev_b32_e32 v26, 5, v10
	v_subrev_co_u32_e32 v4, vcc, s10, v4
	v_lshl_add_u64 v[16:17], v[18:19], 3, v[16:17]
	v_cndmask_b32_e64 v18, 0, 1, s[6:7]
	v_cmp_gt_i64_e64 s[0:1], s[22:23], v[0:1]
	v_lshl_or_b32 v27, v0, 3, v26
	v_cmp_eq_u32_e64 s[2:3], 0, v0
	v_xor_b32_e32 v10, 0x80000000, v7
	v_cmp_gt_u32_e64 s[4:5], 2, v0
	v_mov_b32_e32 v11, v6
	v_mov_b32_e32 v12, v8
	;; [unrolled: 1-line block ×4, first 2 shown]
	v_subbrev_co_u32_e32 v5, vcc, 0, v5, vcc
	v_lshl_add_u64 v[14:15], v[14:15], 0, 4
	s_lshl_b64 s[24:25], s[24:25], 5
	v_lshl_add_u64 v[16:17], s[28:29], 0, v[16:17]
	s_lshl_b64 s[26:27], s[8:9], 5
	s_mov_b64 s[28:29], 0
	v_cmp_ne_u32_e64 s[6:7], 1, v18
	s_branch .LBB207_14
.LBB207_13:                             ;   in Loop: Header=BB207_14 Depth=1
	s_or_b64 exec, exec, s[8:9]
	v_lshl_add_u64 v[2:3], v[2:3], 0, 1
	v_cmp_ge_i64_e32 vcc, v[2:3], v[4:5]
	s_or_b64 s[28:29], vcc, s[28:29]
	s_andn2_b64 exec, exec, s[28:29]
	s_cbranch_execz .LBB207_32
.LBB207_14:                             ; =>This Loop Header: Depth=1
                                        ;     Child Loop BB207_24 Depth 2
	s_waitcnt lgkmcnt(0)
	v_lshl_add_u64 v[18:19], v[2:3], 3, s[14:15]
	global_load_dwordx2 v[18:19], v[18:19], off
	s_mov_b64 s[30:31], -1
	s_and_b64 vcc, exec, s[16:17]
                                        ; implicit-def: $vgpr20_vgpr21
	s_waitcnt vmcnt(0)
	v_subrev_co_u32_e64 v18, s[8:9], s10, v18
	s_nop 1
	v_subbrev_co_u32_e64 v19, s[8:9], 0, v19, s[8:9]
	s_cbranch_vccnz .LBB207_17
; %bb.15:                               ;   in Loop: Header=BB207_14 Depth=1
	s_andn2_b64 vcc, exec, s[30:31]
	s_cbranch_vccz .LBB207_20
.LBB207_16:                             ;   in Loop: Header=BB207_14 Depth=1
	v_mov_b32_e32 v19, 0
	v_mov_b32_e32 v18, v19
	s_and_saveexec_b64 s[8:9], s[0:1]
	s_cbranch_execnz .LBB207_23
	s_branch .LBB207_26
.LBB207_17:                             ;   in Loop: Header=BB207_14 Depth=1
	s_and_b64 vcc, exec, s[6:7]
	v_mov_b64_e32 v[20:21], v[18:19]
	s_cbranch_vccnz .LBB207_19
; %bb.18:                               ;   in Loop: Header=BB207_14 Depth=1
	v_mul_lo_u32 v22, v19, s12
	v_mul_lo_u32 v23, v18, s13
	v_mad_u64_u32 v[20:21], s[8:9], v18, s12, 0
	v_add3_u32 v21, v21, v23, v22
.LBB207_19:                             ;   in Loop: Header=BB207_14 Depth=1
	s_cbranch_execnz .LBB207_16
.LBB207_20:                             ;   in Loop: Header=BB207_14 Depth=1
	s_andn2_b64 vcc, exec, s[18:19]
	s_cbranch_vccnz .LBB207_22
; %bb.21:                               ;   in Loop: Header=BB207_14 Depth=1
	v_mul_lo_u32 v20, v19, s12
	v_mul_lo_u32 v21, v18, s13
	v_mad_u64_u32 v[18:19], s[8:9], v18, s12, 0
	v_add3_u32 v19, v19, v21, v20
.LBB207_22:                             ;   in Loop: Header=BB207_14 Depth=1
	v_mov_b64_e32 v[20:21], v[18:19]
	v_mov_b32_e32 v19, 0
	v_mov_b32_e32 v18, v19
	s_and_saveexec_b64 s[8:9], s[0:1]
	s_cbranch_execz .LBB207_26
.LBB207_23:                             ;   in Loop: Header=BB207_14 Depth=1
	v_mov_b32_e32 v18, 0
	v_lshl_add_u64 v[20:21], v[20:21], 3, v[14:15]
	s_mov_b64 s[30:31], 0
	v_mov_b64_e32 v[22:23], v[16:17]
	v_mov_b64_e32 v[24:25], v[0:1]
	v_mov_b32_e32 v19, v18
.LBB207_24:                             ;   Parent Loop BB207_14 Depth=1
                                        ; =>  This Inner Loop Header: Depth=2
	global_load_dwordx2 v[28:29], v[22:23], off
	global_load_dwordx2 v[30:31], v[20:21], off offset:-4
	v_lshl_add_u64 v[24:25], v[24:25], 0, 4
	v_cmp_le_i64_e32 vcc, s[22:23], v[24:25]
	v_lshl_add_u64 v[20:21], v[20:21], 0, s[24:25]
	v_lshl_add_u64 v[22:23], v[22:23], 0, s[26:27]
	s_or_b64 s[30:31], vcc, s[30:31]
	s_waitcnt vmcnt(1)
	v_xor_b32_e32 v32, 0x80000000, v29
	v_mov_b32_e32 v33, v28
	s_waitcnt vmcnt(0)
	v_pk_mul_f32 v[32:33], v[30:31], v[32:33] op_sel:[1,0]
	s_nop 0
	v_pk_fma_f32 v[28:29], v[28:29], v[30:31], v[32:33] op_sel_hi:[1,0,1]
	s_nop 0
	v_pk_add_f32 v[18:19], v[18:19], v[28:29]
	s_andn2_b64 exec, exec, s[30:31]
	s_cbranch_execnz .LBB207_24
; %bb.25:                               ;   in Loop: Header=BB207_14 Depth=1
	s_or_b64 exec, exec, s[30:31]
.LBB207_26:                             ;   in Loop: Header=BB207_14 Depth=1
	s_or_b64 exec, exec, s[8:9]
	ds_write_b64 v27, v[18:19]
	s_waitcnt lgkmcnt(0)
	s_barrier
	s_and_saveexec_b64 s[8:9], s[4:5]
	s_cbranch_execz .LBB207_28
; %bb.27:                               ;   in Loop: Header=BB207_14 Depth=1
	ds_read2_b64 v[18:21], v27 offset1:2
	s_waitcnt lgkmcnt(0)
	v_pk_add_f32 v[18:19], v[20:21], v[18:19]
	ds_write_b64 v27, v[18:19]
.LBB207_28:                             ;   in Loop: Header=BB207_14 Depth=1
	s_or_b64 exec, exec, s[8:9]
	s_waitcnt lgkmcnt(0)
	s_barrier
	s_and_saveexec_b64 s[8:9], s[2:3]
	s_cbranch_execz .LBB207_30
; %bb.29:                               ;   in Loop: Header=BB207_14 Depth=1
	ds_read2_b64 v[18:21], v27 offset1:1
	s_waitcnt lgkmcnt(0)
	v_pk_add_f32 v[18:19], v[20:21], v[18:19]
	ds_write_b64 v27, v[18:19]
.LBB207_30:                             ;   in Loop: Header=BB207_14 Depth=1
	s_or_b64 exec, exec, s[8:9]
	s_waitcnt lgkmcnt(0)
	s_barrier
	s_and_saveexec_b64 s[8:9], s[2:3]
	s_cbranch_execz .LBB207_13
; %bb.31:                               ;   in Loop: Header=BB207_14 Depth=1
	v_lshl_add_u64 v[18:19], v[2:3], 3, s[20:21]
	global_load_dwordx2 v[20:21], v[18:19], off
	ds_read_b64 v[22:23], v26
	s_waitcnt lgkmcnt(0)
	v_pk_mul_f32 v[24:25], v[22:23], v[10:11] op_sel:[1,0]
	s_nop 0
	v_pk_fma_f32 v[22:23], v[6:7], v[22:23], v[24:25] op_sel_hi:[1,0,1]
	s_waitcnt vmcnt(0)
	v_pk_mul_f32 v[28:29], v[8:9], v[20:21] op_sel:[0,1] op_sel_hi:[1,0] neg_lo:[0,1]
	s_nop 0
	v_pk_fma_f32 v[20:21], v[20:21], v[12:13], v[28:29]
	s_nop 0
	v_pk_add_f32 v[20:21], v[22:23], v[20:21]
	global_store_dwordx2 v[18:19], v[20:21], off
	s_branch .LBB207_13
.LBB207_32:
	s_endpgm
	.section	.rodata,"a",@progbits
	.p2align	6, 0x0
	.amdhsa_kernel _ZN9rocsparseL16sddmm_csx_kernelILi512ELi4EL20rocsparse_direction_0E21rocsparse_complex_numIfEllS3_S3_S3_EEv20rocsparse_operation_S4_16rocsparse_order_S5_T4_S6_S6_T3_NS_24const_host_device_scalarIT2_EEPKT5_lPKT6_lSA_PT7_PKS7_PKS6_21rocsparse_index_base_b
		.amdhsa_group_segment_fixed_size 4096
		.amdhsa_private_segment_fixed_size 0
		.amdhsa_kernarg_size 128
		.amdhsa_user_sgpr_count 2
		.amdhsa_user_sgpr_dispatch_ptr 0
		.amdhsa_user_sgpr_queue_ptr 0
		.amdhsa_user_sgpr_kernarg_segment_ptr 1
		.amdhsa_user_sgpr_dispatch_id 0
		.amdhsa_user_sgpr_kernarg_preload_length 0
		.amdhsa_user_sgpr_kernarg_preload_offset 0
		.amdhsa_user_sgpr_private_segment_size 0
		.amdhsa_uses_dynamic_stack 0
		.amdhsa_enable_private_segment 0
		.amdhsa_system_sgpr_workgroup_id_x 1
		.amdhsa_system_sgpr_workgroup_id_y 0
		.amdhsa_system_sgpr_workgroup_id_z 0
		.amdhsa_system_sgpr_workgroup_info 0
		.amdhsa_system_vgpr_workitem_id 0
		.amdhsa_next_free_vgpr 34
		.amdhsa_next_free_sgpr 32
		.amdhsa_accum_offset 36
		.amdhsa_reserve_vcc 1
		.amdhsa_float_round_mode_32 0
		.amdhsa_float_round_mode_16_64 0
		.amdhsa_float_denorm_mode_32 3
		.amdhsa_float_denorm_mode_16_64 3
		.amdhsa_dx10_clamp 1
		.amdhsa_ieee_mode 1
		.amdhsa_fp16_overflow 0
		.amdhsa_tg_split 0
		.amdhsa_exception_fp_ieee_invalid_op 0
		.amdhsa_exception_fp_denorm_src 0
		.amdhsa_exception_fp_ieee_div_zero 0
		.amdhsa_exception_fp_ieee_overflow 0
		.amdhsa_exception_fp_ieee_underflow 0
		.amdhsa_exception_fp_ieee_inexact 0
		.amdhsa_exception_int_div_zero 0
	.end_amdhsa_kernel
	.section	.text._ZN9rocsparseL16sddmm_csx_kernelILi512ELi4EL20rocsparse_direction_0E21rocsparse_complex_numIfEllS3_S3_S3_EEv20rocsparse_operation_S4_16rocsparse_order_S5_T4_S6_S6_T3_NS_24const_host_device_scalarIT2_EEPKT5_lPKT6_lSA_PT7_PKS7_PKS6_21rocsparse_index_base_b,"axG",@progbits,_ZN9rocsparseL16sddmm_csx_kernelILi512ELi4EL20rocsparse_direction_0E21rocsparse_complex_numIfEllS3_S3_S3_EEv20rocsparse_operation_S4_16rocsparse_order_S5_T4_S6_S6_T3_NS_24const_host_device_scalarIT2_EEPKT5_lPKT6_lSA_PT7_PKS7_PKS6_21rocsparse_index_base_b,comdat
.Lfunc_end207:
	.size	_ZN9rocsparseL16sddmm_csx_kernelILi512ELi4EL20rocsparse_direction_0E21rocsparse_complex_numIfEllS3_S3_S3_EEv20rocsparse_operation_S4_16rocsparse_order_S5_T4_S6_S6_T3_NS_24const_host_device_scalarIT2_EEPKT5_lPKT6_lSA_PT7_PKS7_PKS6_21rocsparse_index_base_b, .Lfunc_end207-_ZN9rocsparseL16sddmm_csx_kernelILi512ELi4EL20rocsparse_direction_0E21rocsparse_complex_numIfEllS3_S3_S3_EEv20rocsparse_operation_S4_16rocsparse_order_S5_T4_S6_S6_T3_NS_24const_host_device_scalarIT2_EEPKT5_lPKT6_lSA_PT7_PKS7_PKS6_21rocsparse_index_base_b
                                        ; -- End function
	.set _ZN9rocsparseL16sddmm_csx_kernelILi512ELi4EL20rocsparse_direction_0E21rocsparse_complex_numIfEllS3_S3_S3_EEv20rocsparse_operation_S4_16rocsparse_order_S5_T4_S6_S6_T3_NS_24const_host_device_scalarIT2_EEPKT5_lPKT6_lSA_PT7_PKS7_PKS6_21rocsparse_index_base_b.num_vgpr, 34
	.set _ZN9rocsparseL16sddmm_csx_kernelILi512ELi4EL20rocsparse_direction_0E21rocsparse_complex_numIfEllS3_S3_S3_EEv20rocsparse_operation_S4_16rocsparse_order_S5_T4_S6_S6_T3_NS_24const_host_device_scalarIT2_EEPKT5_lPKT6_lSA_PT7_PKS7_PKS6_21rocsparse_index_base_b.num_agpr, 0
	.set _ZN9rocsparseL16sddmm_csx_kernelILi512ELi4EL20rocsparse_direction_0E21rocsparse_complex_numIfEllS3_S3_S3_EEv20rocsparse_operation_S4_16rocsparse_order_S5_T4_S6_S6_T3_NS_24const_host_device_scalarIT2_EEPKT5_lPKT6_lSA_PT7_PKS7_PKS6_21rocsparse_index_base_b.numbered_sgpr, 32
	.set _ZN9rocsparseL16sddmm_csx_kernelILi512ELi4EL20rocsparse_direction_0E21rocsparse_complex_numIfEllS3_S3_S3_EEv20rocsparse_operation_S4_16rocsparse_order_S5_T4_S6_S6_T3_NS_24const_host_device_scalarIT2_EEPKT5_lPKT6_lSA_PT7_PKS7_PKS6_21rocsparse_index_base_b.num_named_barrier, 0
	.set _ZN9rocsparseL16sddmm_csx_kernelILi512ELi4EL20rocsparse_direction_0E21rocsparse_complex_numIfEllS3_S3_S3_EEv20rocsparse_operation_S4_16rocsparse_order_S5_T4_S6_S6_T3_NS_24const_host_device_scalarIT2_EEPKT5_lPKT6_lSA_PT7_PKS7_PKS6_21rocsparse_index_base_b.private_seg_size, 0
	.set _ZN9rocsparseL16sddmm_csx_kernelILi512ELi4EL20rocsparse_direction_0E21rocsparse_complex_numIfEllS3_S3_S3_EEv20rocsparse_operation_S4_16rocsparse_order_S5_T4_S6_S6_T3_NS_24const_host_device_scalarIT2_EEPKT5_lPKT6_lSA_PT7_PKS7_PKS6_21rocsparse_index_base_b.uses_vcc, 1
	.set _ZN9rocsparseL16sddmm_csx_kernelILi512ELi4EL20rocsparse_direction_0E21rocsparse_complex_numIfEllS3_S3_S3_EEv20rocsparse_operation_S4_16rocsparse_order_S5_T4_S6_S6_T3_NS_24const_host_device_scalarIT2_EEPKT5_lPKT6_lSA_PT7_PKS7_PKS6_21rocsparse_index_base_b.uses_flat_scratch, 0
	.set _ZN9rocsparseL16sddmm_csx_kernelILi512ELi4EL20rocsparse_direction_0E21rocsparse_complex_numIfEllS3_S3_S3_EEv20rocsparse_operation_S4_16rocsparse_order_S5_T4_S6_S6_T3_NS_24const_host_device_scalarIT2_EEPKT5_lPKT6_lSA_PT7_PKS7_PKS6_21rocsparse_index_base_b.has_dyn_sized_stack, 0
	.set _ZN9rocsparseL16sddmm_csx_kernelILi512ELi4EL20rocsparse_direction_0E21rocsparse_complex_numIfEllS3_S3_S3_EEv20rocsparse_operation_S4_16rocsparse_order_S5_T4_S6_S6_T3_NS_24const_host_device_scalarIT2_EEPKT5_lPKT6_lSA_PT7_PKS7_PKS6_21rocsparse_index_base_b.has_recursion, 0
	.set _ZN9rocsparseL16sddmm_csx_kernelILi512ELi4EL20rocsparse_direction_0E21rocsparse_complex_numIfEllS3_S3_S3_EEv20rocsparse_operation_S4_16rocsparse_order_S5_T4_S6_S6_T3_NS_24const_host_device_scalarIT2_EEPKT5_lPKT6_lSA_PT7_PKS7_PKS6_21rocsparse_index_base_b.has_indirect_call, 0
	.section	.AMDGPU.csdata,"",@progbits
; Kernel info:
; codeLenInByte = 1272
; TotalNumSgprs: 38
; NumVgprs: 34
; NumAgprs: 0
; TotalNumVgprs: 34
; ScratchSize: 0
; MemoryBound: 0
; FloatMode: 240
; IeeeMode: 1
; LDSByteSize: 4096 bytes/workgroup (compile time only)
; SGPRBlocks: 4
; VGPRBlocks: 4
; NumSGPRsForWavesPerEU: 38
; NumVGPRsForWavesPerEU: 34
; AccumOffset: 36
; Occupancy: 8
; WaveLimiterHint : 0
; COMPUTE_PGM_RSRC2:SCRATCH_EN: 0
; COMPUTE_PGM_RSRC2:USER_SGPR: 2
; COMPUTE_PGM_RSRC2:TRAP_HANDLER: 0
; COMPUTE_PGM_RSRC2:TGID_X_EN: 1
; COMPUTE_PGM_RSRC2:TGID_Y_EN: 0
; COMPUTE_PGM_RSRC2:TGID_Z_EN: 0
; COMPUTE_PGM_RSRC2:TIDIG_COMP_CNT: 0
; COMPUTE_PGM_RSRC3_GFX90A:ACCUM_OFFSET: 8
; COMPUTE_PGM_RSRC3_GFX90A:TG_SPLIT: 0
	.section	.text._ZN9rocsparseL16sddmm_csx_kernelILi512ELi2EL20rocsparse_direction_0E21rocsparse_complex_numIfEllS3_S3_S3_EEv20rocsparse_operation_S4_16rocsparse_order_S5_T4_S6_S6_T3_NS_24const_host_device_scalarIT2_EEPKT5_lPKT6_lSA_PT7_PKS7_PKS6_21rocsparse_index_base_b,"axG",@progbits,_ZN9rocsparseL16sddmm_csx_kernelILi512ELi2EL20rocsparse_direction_0E21rocsparse_complex_numIfEllS3_S3_S3_EEv20rocsparse_operation_S4_16rocsparse_order_S5_T4_S6_S6_T3_NS_24const_host_device_scalarIT2_EEPKT5_lPKT6_lSA_PT7_PKS7_PKS6_21rocsparse_index_base_b,comdat
	.globl	_ZN9rocsparseL16sddmm_csx_kernelILi512ELi2EL20rocsparse_direction_0E21rocsparse_complex_numIfEllS3_S3_S3_EEv20rocsparse_operation_S4_16rocsparse_order_S5_T4_S6_S6_T3_NS_24const_host_device_scalarIT2_EEPKT5_lPKT6_lSA_PT7_PKS7_PKS6_21rocsparse_index_base_b ; -- Begin function _ZN9rocsparseL16sddmm_csx_kernelILi512ELi2EL20rocsparse_direction_0E21rocsparse_complex_numIfEllS3_S3_S3_EEv20rocsparse_operation_S4_16rocsparse_order_S5_T4_S6_S6_T3_NS_24const_host_device_scalarIT2_EEPKT5_lPKT6_lSA_PT7_PKS7_PKS6_21rocsparse_index_base_b
	.p2align	8
	.type	_ZN9rocsparseL16sddmm_csx_kernelILi512ELi2EL20rocsparse_direction_0E21rocsparse_complex_numIfEllS3_S3_S3_EEv20rocsparse_operation_S4_16rocsparse_order_S5_T4_S6_S6_T3_NS_24const_host_device_scalarIT2_EEPKT5_lPKT6_lSA_PT7_PKS7_PKS6_21rocsparse_index_base_b,@function
_ZN9rocsparseL16sddmm_csx_kernelILi512ELi2EL20rocsparse_direction_0E21rocsparse_complex_numIfEllS3_S3_S3_EEv20rocsparse_operation_S4_16rocsparse_order_S5_T4_S6_S6_T3_NS_24const_host_device_scalarIT2_EEPKT5_lPKT6_lSA_PT7_PKS7_PKS6_21rocsparse_index_base_b: ; @_ZN9rocsparseL16sddmm_csx_kernelILi512ELi2EL20rocsparse_direction_0E21rocsparse_complex_numIfEllS3_S3_S3_EEv20rocsparse_operation_S4_16rocsparse_order_S5_T4_S6_S6_T3_NS_24const_host_device_scalarIT2_EEPKT5_lPKT6_lSA_PT7_PKS7_PKS6_21rocsparse_index_base_b
; %bb.0:
	s_load_dwordx2 s[4:5], s[0:1], 0x30
	s_load_dwordx4 s[12:15], s[0:1], 0x50
	s_load_dwordx2 s[10:11], s[0:1], 0x78
	s_add_u32 s3, s0, 48
	s_addc_u32 s6, s1, 0
	s_add_u32 s7, s0, 0x58
	s_addc_u32 s8, s1, 0
	s_waitcnt lgkmcnt(0)
	s_bitcmp1_b32 s11, 0
	s_cselect_b32 s5, s6, s5
	s_cselect_b32 s3, s3, s4
	v_mov_b32_e32 v2, s3
	v_mov_b32_e32 v3, s5
	flat_load_dwordx2 v[6:7], v[2:3]
	s_cselect_b32 s3, s8, s15
	s_cselect_b32 s4, s7, s14
	v_mov_b32_e32 v2, s4
	v_mov_b32_e32 v3, s3
	flat_load_dwordx2 v[8:9], v[2:3]
	s_brev_b32 s3, -2
	s_mov_b64 s[4:5], -1
	s_waitcnt vmcnt(0) lgkmcnt(0)
	v_bitop3_b32 v1, v6, s3, v7 bitop3:0xc8
	v_cmp_eq_u32_e32 vcc, 0, v1
	s_and_saveexec_b64 s[6:7], vcc
; %bb.1:
	v_cmp_neq_f32_e32 vcc, 1.0, v8
	v_cmp_neq_f32_e64 s[4:5], 0, v9
	s_or_b64 s[4:5], vcc, s[4:5]
	s_orn2_b64 s[4:5], s[4:5], exec
; %bb.2:
	s_or_b64 exec, exec, s[6:7]
	s_and_saveexec_b64 s[6:7], s[4:5]
	s_cbranch_execz .LBB208_30
; %bb.3:
	s_load_dwordx2 s[4:5], s[0:1], 0x10
	v_lshrrev_b32_e32 v10, 1, v0
	v_lshl_or_b32 v2, s2, 8, v10
	v_mov_b32_e32 v3, 0
	s_waitcnt lgkmcnt(0)
	v_cmp_gt_i64_e32 vcc, s[4:5], v[2:3]
	s_and_b64 exec, exec, vcc
	s_cbranch_execz .LBB208_30
; %bb.4:
	s_load_dwordx4 s[4:7], s[0:1], 0x0
	s_load_dwordx2 s[14:15], s[0:1], 0x68
	s_load_dwordx2 s[2:3], s[0:1], 0x40
	s_waitcnt lgkmcnt(0)
	s_cmp_eq_u32 s6, 1
	s_cselect_b64 s[8:9], -1, 0
	s_cmpk_eq_i32 s4, 0x6f
	s_cselect_b64 s[16:17], -1, 0
	s_cmpk_lg_i32 s4, 0x6f
	s_cselect_b64 s[18:19], -1, 0
	s_cmp_lg_u32 s6, 1
	s_cbranch_scc0 .LBB208_8
; %bb.5:
	s_andn2_b64 vcc, exec, s[16:17]
	v_mov_b64_e32 v[16:17], v[2:3]
	s_cbranch_vccnz .LBB208_7
; %bb.6:
	v_mad_u64_u32 v[16:17], s[20:21], s2, v2, 0
	v_mov_b32_e32 v4, v17
	v_mad_u64_u32 v[4:5], s[20:21], s3, v2, v[4:5]
	v_mov_b32_e32 v17, v4
.LBB208_7:
	s_cbranch_execz .LBB208_9
	s_branch .LBB208_11
.LBB208_8:
                                        ; implicit-def: $vgpr16_vgpr17
.LBB208_9:
	s_andn2_b64 vcc, exec, s[18:19]
	v_mov_b64_e32 v[16:17], v[2:3]
	s_cbranch_vccnz .LBB208_11
; %bb.10:
	v_mad_u64_u32 v[16:17], s[18:19], s2, v2, 0
	v_mov_b32_e32 v4, v17
	v_mad_u64_u32 v[4:5], s[18:19], s3, v2, v[4:5]
	v_mov_b32_e32 v17, v4
.LBB208_11:
	v_lshl_add_u64 v[2:3], v[2:3], 3, s[14:15]
	global_load_dwordx4 v[2:5], v[2:3], off
	s_waitcnt vmcnt(0)
	v_cmp_lt_i64_e32 vcc, v[2:3], v[4:5]
	s_and_b64 exec, exec, vcc
	s_cbranch_execz .LBB208_30
; %bb.12:
	s_xor_b64 s[8:9], s[16:17], s[8:9]
	s_and_b64 s[8:9], s[8:9], exec
	s_cselect_b32 s9, 0, s3
	s_cselect_b32 s8, 1, s2
	s_cmp_lg_u32 s7, 1
	s_cselect_b64 s[16:17], -1, 0
	s_cmp_eq_u32 s7, 1
	s_cselect_b64 s[2:3], -1, 0
	s_cmpk_eq_i32 s5, 0x6f
	s_cselect_b64 s[6:7], -1, 0
	s_cmpk_lg_i32 s5, 0x6f
	s_cselect_b64 s[4:5], -1, 0
	s_xor_b64 s[2:3], s[6:7], s[2:3]
	s_load_dwordx2 s[22:23], s[0:1], 0x48
	s_load_dwordx2 s[18:19], s[0:1], 0x60
	;; [unrolled: 1-line block ×5, first 2 shown]
	s_and_b64 s[2:3], s[2:3], exec
	v_cndmask_b32_e64 v20, 0, 1, s[6:7]
	s_cselect_b32 s7, s13, 0
	s_cselect_b32 s6, s12, 1
	v_and_b32_e32 v0, 1, v0
	v_subrev_co_u32_e32 v2, vcc, s10, v2
	v_mul_lo_u32 v15, s7, v0
	s_nop 0
	v_subbrev_co_u32_e32 v3, vcc, 0, v3, vcc
	v_mul_lo_u32 v14, s6, v0
	v_mul_lo_u32 v19, s9, v0
	;; [unrolled: 1-line block ×3, first 2 shown]
	v_lshlrev_b64 v[16:17], 3, v[16:17]
	v_mov_b32_e32 v1, 0
	v_lshlrev_b32_e32 v26, 4, v10
	v_subrev_co_u32_e32 v4, vcc, s10, v4
	s_waitcnt lgkmcnt(0)
	v_lshl_add_u64 v[14:15], v[14:15], 3, s[22:23]
	v_lshl_add_u64 v[16:17], v[18:19], 3, v[16:17]
	v_cndmask_b32_e64 v18, 0, 1, s[4:5]
	v_cmp_gt_i64_e64 s[0:1], s[20:21], v[0:1]
	v_lshl_or_b32 v27, v0, 3, v26
	v_cmp_eq_u32_e64 s[2:3], 0, v0
	v_xor_b32_e32 v10, 0x80000000, v7
	v_mov_b32_e32 v11, v6
	v_mov_b32_e32 v12, v8
	;; [unrolled: 1-line block ×4, first 2 shown]
	v_subbrev_co_u32_e32 v5, vcc, 0, v5, vcc
	v_lshl_add_u64 v[14:15], v[14:15], 0, 4
	s_lshl_b64 s[22:23], s[6:7], 4
	v_lshl_add_u64 v[16:17], s[24:25], 0, v[16:17]
	s_lshl_b64 s[24:25], s[8:9], 4
	s_mov_b64 s[26:27], 0
	v_cmp_ne_u32_e64 s[4:5], 1, v18
	v_cmp_ne_u32_e64 s[6:7], 1, v20
	s_branch .LBB208_14
.LBB208_13:                             ;   in Loop: Header=BB208_14 Depth=1
	s_or_b64 exec, exec, s[8:9]
	v_lshl_add_u64 v[2:3], v[2:3], 0, 1
	v_cmp_ge_i64_e32 vcc, v[2:3], v[4:5]
	s_or_b64 s[26:27], vcc, s[26:27]
	s_andn2_b64 exec, exec, s[26:27]
	s_cbranch_execz .LBB208_30
.LBB208_14:                             ; =>This Loop Header: Depth=1
                                        ;     Child Loop BB208_24 Depth 2
	v_lshl_add_u64 v[18:19], v[2:3], 3, s[14:15]
	global_load_dwordx2 v[18:19], v[18:19], off
	s_mov_b64 s[28:29], -1
	s_and_b64 vcc, exec, s[16:17]
                                        ; implicit-def: $vgpr20_vgpr21
	s_waitcnt vmcnt(0)
	v_subrev_co_u32_e64 v18, s[8:9], s10, v18
	s_nop 1
	v_subbrev_co_u32_e64 v19, s[8:9], 0, v19, s[8:9]
	s_cbranch_vccnz .LBB208_17
; %bb.15:                               ;   in Loop: Header=BB208_14 Depth=1
	s_andn2_b64 vcc, exec, s[28:29]
	s_cbranch_vccz .LBB208_20
.LBB208_16:                             ;   in Loop: Header=BB208_14 Depth=1
	v_mov_b32_e32 v19, 0
	v_mov_b32_e32 v18, v19
	s_and_saveexec_b64 s[8:9], s[0:1]
	s_cbranch_execnz .LBB208_23
	s_branch .LBB208_26
.LBB208_17:                             ;   in Loop: Header=BB208_14 Depth=1
	s_and_b64 vcc, exec, s[4:5]
	v_mov_b64_e32 v[20:21], v[18:19]
	s_cbranch_vccnz .LBB208_19
; %bb.18:                               ;   in Loop: Header=BB208_14 Depth=1
	v_mul_lo_u32 v22, v19, s12
	v_mul_lo_u32 v23, v18, s13
	v_mad_u64_u32 v[20:21], s[8:9], v18, s12, 0
	v_add3_u32 v21, v21, v23, v22
.LBB208_19:                             ;   in Loop: Header=BB208_14 Depth=1
	s_cbranch_execnz .LBB208_16
.LBB208_20:                             ;   in Loop: Header=BB208_14 Depth=1
	s_and_b64 vcc, exec, s[6:7]
	s_cbranch_vccnz .LBB208_22
; %bb.21:                               ;   in Loop: Header=BB208_14 Depth=1
	v_mul_lo_u32 v20, v19, s12
	v_mul_lo_u32 v21, v18, s13
	v_mad_u64_u32 v[18:19], s[8:9], v18, s12, 0
	v_add3_u32 v19, v19, v21, v20
.LBB208_22:                             ;   in Loop: Header=BB208_14 Depth=1
	v_mov_b64_e32 v[20:21], v[18:19]
	v_mov_b32_e32 v19, 0
	v_mov_b32_e32 v18, v19
	s_and_saveexec_b64 s[8:9], s[0:1]
	s_cbranch_execz .LBB208_26
.LBB208_23:                             ;   in Loop: Header=BB208_14 Depth=1
	v_mov_b32_e32 v18, 0
	v_lshl_add_u64 v[20:21], v[20:21], 3, v[14:15]
	s_mov_b64 s[28:29], 0
	v_mov_b64_e32 v[22:23], v[16:17]
	v_mov_b64_e32 v[24:25], v[0:1]
	v_mov_b32_e32 v19, v18
.LBB208_24:                             ;   Parent Loop BB208_14 Depth=1
                                        ; =>  This Inner Loop Header: Depth=2
	global_load_dwordx2 v[28:29], v[22:23], off
	global_load_dwordx2 v[30:31], v[20:21], off offset:-4
	v_lshl_add_u64 v[24:25], v[24:25], 0, 2
	v_cmp_le_i64_e32 vcc, s[20:21], v[24:25]
	v_lshl_add_u64 v[20:21], v[20:21], 0, s[22:23]
	v_lshl_add_u64 v[22:23], v[22:23], 0, s[24:25]
	s_or_b64 s[28:29], vcc, s[28:29]
	s_waitcnt vmcnt(1)
	v_xor_b32_e32 v32, 0x80000000, v29
	v_mov_b32_e32 v33, v28
	s_waitcnt vmcnt(0)
	v_pk_mul_f32 v[32:33], v[30:31], v[32:33] op_sel:[1,0]
	s_nop 0
	v_pk_fma_f32 v[28:29], v[28:29], v[30:31], v[32:33] op_sel_hi:[1,0,1]
	s_nop 0
	v_pk_add_f32 v[18:19], v[18:19], v[28:29]
	s_andn2_b64 exec, exec, s[28:29]
	s_cbranch_execnz .LBB208_24
; %bb.25:                               ;   in Loop: Header=BB208_14 Depth=1
	s_or_b64 exec, exec, s[28:29]
.LBB208_26:                             ;   in Loop: Header=BB208_14 Depth=1
	s_or_b64 exec, exec, s[8:9]
	ds_write_b64 v27, v[18:19]
	s_waitcnt lgkmcnt(0)
	s_barrier
	s_and_saveexec_b64 s[8:9], s[2:3]
	s_cbranch_execz .LBB208_28
; %bb.27:                               ;   in Loop: Header=BB208_14 Depth=1
	ds_read_b64 v[18:19], v26 offset:8
	ds_read_b64 v[20:21], v27
	s_waitcnt lgkmcnt(0)
	v_pk_add_f32 v[18:19], v[18:19], v[20:21]
	ds_write_b64 v27, v[18:19]
.LBB208_28:                             ;   in Loop: Header=BB208_14 Depth=1
	s_or_b64 exec, exec, s[8:9]
	s_waitcnt lgkmcnt(0)
	s_barrier
	s_and_saveexec_b64 s[8:9], s[2:3]
	s_cbranch_execz .LBB208_13
; %bb.29:                               ;   in Loop: Header=BB208_14 Depth=1
	v_lshl_add_u64 v[18:19], v[2:3], 3, s[18:19]
	global_load_dwordx2 v[20:21], v[18:19], off
	ds_read_b64 v[22:23], v26
	s_waitcnt lgkmcnt(0)
	v_pk_mul_f32 v[24:25], v[22:23], v[10:11] op_sel:[1,0]
	s_nop 0
	v_pk_fma_f32 v[22:23], v[6:7], v[22:23], v[24:25] op_sel_hi:[1,0,1]
	s_waitcnt vmcnt(0)
	v_pk_mul_f32 v[28:29], v[8:9], v[20:21] op_sel:[0,1] op_sel_hi:[1,0] neg_lo:[0,1]
	s_nop 0
	v_pk_fma_f32 v[20:21], v[20:21], v[12:13], v[28:29]
	s_nop 0
	v_pk_add_f32 v[20:21], v[22:23], v[20:21]
	global_store_dwordx2 v[18:19], v[20:21], off
	s_branch .LBB208_13
.LBB208_30:
	s_endpgm
	.section	.rodata,"a",@progbits
	.p2align	6, 0x0
	.amdhsa_kernel _ZN9rocsparseL16sddmm_csx_kernelILi512ELi2EL20rocsparse_direction_0E21rocsparse_complex_numIfEllS3_S3_S3_EEv20rocsparse_operation_S4_16rocsparse_order_S5_T4_S6_S6_T3_NS_24const_host_device_scalarIT2_EEPKT5_lPKT6_lSA_PT7_PKS7_PKS6_21rocsparse_index_base_b
		.amdhsa_group_segment_fixed_size 4096
		.amdhsa_private_segment_fixed_size 0
		.amdhsa_kernarg_size 128
		.amdhsa_user_sgpr_count 2
		.amdhsa_user_sgpr_dispatch_ptr 0
		.amdhsa_user_sgpr_queue_ptr 0
		.amdhsa_user_sgpr_kernarg_segment_ptr 1
		.amdhsa_user_sgpr_dispatch_id 0
		.amdhsa_user_sgpr_kernarg_preload_length 0
		.amdhsa_user_sgpr_kernarg_preload_offset 0
		.amdhsa_user_sgpr_private_segment_size 0
		.amdhsa_uses_dynamic_stack 0
		.amdhsa_enable_private_segment 0
		.amdhsa_system_sgpr_workgroup_id_x 1
		.amdhsa_system_sgpr_workgroup_id_y 0
		.amdhsa_system_sgpr_workgroup_id_z 0
		.amdhsa_system_sgpr_workgroup_info 0
		.amdhsa_system_vgpr_workitem_id 0
		.amdhsa_next_free_vgpr 34
		.amdhsa_next_free_sgpr 30
		.amdhsa_accum_offset 36
		.amdhsa_reserve_vcc 1
		.amdhsa_float_round_mode_32 0
		.amdhsa_float_round_mode_16_64 0
		.amdhsa_float_denorm_mode_32 3
		.amdhsa_float_denorm_mode_16_64 3
		.amdhsa_dx10_clamp 1
		.amdhsa_ieee_mode 1
		.amdhsa_fp16_overflow 0
		.amdhsa_tg_split 0
		.amdhsa_exception_fp_ieee_invalid_op 0
		.amdhsa_exception_fp_denorm_src 0
		.amdhsa_exception_fp_ieee_div_zero 0
		.amdhsa_exception_fp_ieee_overflow 0
		.amdhsa_exception_fp_ieee_underflow 0
		.amdhsa_exception_fp_ieee_inexact 0
		.amdhsa_exception_int_div_zero 0
	.end_amdhsa_kernel
	.section	.text._ZN9rocsparseL16sddmm_csx_kernelILi512ELi2EL20rocsparse_direction_0E21rocsparse_complex_numIfEllS3_S3_S3_EEv20rocsparse_operation_S4_16rocsparse_order_S5_T4_S6_S6_T3_NS_24const_host_device_scalarIT2_EEPKT5_lPKT6_lSA_PT7_PKS7_PKS6_21rocsparse_index_base_b,"axG",@progbits,_ZN9rocsparseL16sddmm_csx_kernelILi512ELi2EL20rocsparse_direction_0E21rocsparse_complex_numIfEllS3_S3_S3_EEv20rocsparse_operation_S4_16rocsparse_order_S5_T4_S6_S6_T3_NS_24const_host_device_scalarIT2_EEPKT5_lPKT6_lSA_PT7_PKS7_PKS6_21rocsparse_index_base_b,comdat
.Lfunc_end208:
	.size	_ZN9rocsparseL16sddmm_csx_kernelILi512ELi2EL20rocsparse_direction_0E21rocsparse_complex_numIfEllS3_S3_S3_EEv20rocsparse_operation_S4_16rocsparse_order_S5_T4_S6_S6_T3_NS_24const_host_device_scalarIT2_EEPKT5_lPKT6_lSA_PT7_PKS7_PKS6_21rocsparse_index_base_b, .Lfunc_end208-_ZN9rocsparseL16sddmm_csx_kernelILi512ELi2EL20rocsparse_direction_0E21rocsparse_complex_numIfEllS3_S3_S3_EEv20rocsparse_operation_S4_16rocsparse_order_S5_T4_S6_S6_T3_NS_24const_host_device_scalarIT2_EEPKT5_lPKT6_lSA_PT7_PKS7_PKS6_21rocsparse_index_base_b
                                        ; -- End function
	.set _ZN9rocsparseL16sddmm_csx_kernelILi512ELi2EL20rocsparse_direction_0E21rocsparse_complex_numIfEllS3_S3_S3_EEv20rocsparse_operation_S4_16rocsparse_order_S5_T4_S6_S6_T3_NS_24const_host_device_scalarIT2_EEPKT5_lPKT6_lSA_PT7_PKS7_PKS6_21rocsparse_index_base_b.num_vgpr, 34
	.set _ZN9rocsparseL16sddmm_csx_kernelILi512ELi2EL20rocsparse_direction_0E21rocsparse_complex_numIfEllS3_S3_S3_EEv20rocsparse_operation_S4_16rocsparse_order_S5_T4_S6_S6_T3_NS_24const_host_device_scalarIT2_EEPKT5_lPKT6_lSA_PT7_PKS7_PKS6_21rocsparse_index_base_b.num_agpr, 0
	.set _ZN9rocsparseL16sddmm_csx_kernelILi512ELi2EL20rocsparse_direction_0E21rocsparse_complex_numIfEllS3_S3_S3_EEv20rocsparse_operation_S4_16rocsparse_order_S5_T4_S6_S6_T3_NS_24const_host_device_scalarIT2_EEPKT5_lPKT6_lSA_PT7_PKS7_PKS6_21rocsparse_index_base_b.numbered_sgpr, 30
	.set _ZN9rocsparseL16sddmm_csx_kernelILi512ELi2EL20rocsparse_direction_0E21rocsparse_complex_numIfEllS3_S3_S3_EEv20rocsparse_operation_S4_16rocsparse_order_S5_T4_S6_S6_T3_NS_24const_host_device_scalarIT2_EEPKT5_lPKT6_lSA_PT7_PKS7_PKS6_21rocsparse_index_base_b.num_named_barrier, 0
	.set _ZN9rocsparseL16sddmm_csx_kernelILi512ELi2EL20rocsparse_direction_0E21rocsparse_complex_numIfEllS3_S3_S3_EEv20rocsparse_operation_S4_16rocsparse_order_S5_T4_S6_S6_T3_NS_24const_host_device_scalarIT2_EEPKT5_lPKT6_lSA_PT7_PKS7_PKS6_21rocsparse_index_base_b.private_seg_size, 0
	.set _ZN9rocsparseL16sddmm_csx_kernelILi512ELi2EL20rocsparse_direction_0E21rocsparse_complex_numIfEllS3_S3_S3_EEv20rocsparse_operation_S4_16rocsparse_order_S5_T4_S6_S6_T3_NS_24const_host_device_scalarIT2_EEPKT5_lPKT6_lSA_PT7_PKS7_PKS6_21rocsparse_index_base_b.uses_vcc, 1
	.set _ZN9rocsparseL16sddmm_csx_kernelILi512ELi2EL20rocsparse_direction_0E21rocsparse_complex_numIfEllS3_S3_S3_EEv20rocsparse_operation_S4_16rocsparse_order_S5_T4_S6_S6_T3_NS_24const_host_device_scalarIT2_EEPKT5_lPKT6_lSA_PT7_PKS7_PKS6_21rocsparse_index_base_b.uses_flat_scratch, 0
	.set _ZN9rocsparseL16sddmm_csx_kernelILi512ELi2EL20rocsparse_direction_0E21rocsparse_complex_numIfEllS3_S3_S3_EEv20rocsparse_operation_S4_16rocsparse_order_S5_T4_S6_S6_T3_NS_24const_host_device_scalarIT2_EEPKT5_lPKT6_lSA_PT7_PKS7_PKS6_21rocsparse_index_base_b.has_dyn_sized_stack, 0
	.set _ZN9rocsparseL16sddmm_csx_kernelILi512ELi2EL20rocsparse_direction_0E21rocsparse_complex_numIfEllS3_S3_S3_EEv20rocsparse_operation_S4_16rocsparse_order_S5_T4_S6_S6_T3_NS_24const_host_device_scalarIT2_EEPKT5_lPKT6_lSA_PT7_PKS7_PKS6_21rocsparse_index_base_b.has_recursion, 0
	.set _ZN9rocsparseL16sddmm_csx_kernelILi512ELi2EL20rocsparse_direction_0E21rocsparse_complex_numIfEllS3_S3_S3_EEv20rocsparse_operation_S4_16rocsparse_order_S5_T4_S6_S6_T3_NS_24const_host_device_scalarIT2_EEPKT5_lPKT6_lSA_PT7_PKS7_PKS6_21rocsparse_index_base_b.has_indirect_call, 0
	.section	.AMDGPU.csdata,"",@progbits
; Kernel info:
; codeLenInByte = 1220
; TotalNumSgprs: 36
; NumVgprs: 34
; NumAgprs: 0
; TotalNumVgprs: 34
; ScratchSize: 0
; MemoryBound: 0
; FloatMode: 240
; IeeeMode: 1
; LDSByteSize: 4096 bytes/workgroup (compile time only)
; SGPRBlocks: 4
; VGPRBlocks: 4
; NumSGPRsForWavesPerEU: 36
; NumVGPRsForWavesPerEU: 34
; AccumOffset: 36
; Occupancy: 8
; WaveLimiterHint : 0
; COMPUTE_PGM_RSRC2:SCRATCH_EN: 0
; COMPUTE_PGM_RSRC2:USER_SGPR: 2
; COMPUTE_PGM_RSRC2:TRAP_HANDLER: 0
; COMPUTE_PGM_RSRC2:TGID_X_EN: 1
; COMPUTE_PGM_RSRC2:TGID_Y_EN: 0
; COMPUTE_PGM_RSRC2:TGID_Z_EN: 0
; COMPUTE_PGM_RSRC2:TIDIG_COMP_CNT: 0
; COMPUTE_PGM_RSRC3_GFX90A:ACCUM_OFFSET: 8
; COMPUTE_PGM_RSRC3_GFX90A:TG_SPLIT: 0
	.section	.text._ZN9rocsparseL16sddmm_csx_kernelILi512ELi1EL20rocsparse_direction_0E21rocsparse_complex_numIfEllS3_S3_S3_EEv20rocsparse_operation_S4_16rocsparse_order_S5_T4_S6_S6_T3_NS_24const_host_device_scalarIT2_EEPKT5_lPKT6_lSA_PT7_PKS7_PKS6_21rocsparse_index_base_b,"axG",@progbits,_ZN9rocsparseL16sddmm_csx_kernelILi512ELi1EL20rocsparse_direction_0E21rocsparse_complex_numIfEllS3_S3_S3_EEv20rocsparse_operation_S4_16rocsparse_order_S5_T4_S6_S6_T3_NS_24const_host_device_scalarIT2_EEPKT5_lPKT6_lSA_PT7_PKS7_PKS6_21rocsparse_index_base_b,comdat
	.globl	_ZN9rocsparseL16sddmm_csx_kernelILi512ELi1EL20rocsparse_direction_0E21rocsparse_complex_numIfEllS3_S3_S3_EEv20rocsparse_operation_S4_16rocsparse_order_S5_T4_S6_S6_T3_NS_24const_host_device_scalarIT2_EEPKT5_lPKT6_lSA_PT7_PKS7_PKS6_21rocsparse_index_base_b ; -- Begin function _ZN9rocsparseL16sddmm_csx_kernelILi512ELi1EL20rocsparse_direction_0E21rocsparse_complex_numIfEllS3_S3_S3_EEv20rocsparse_operation_S4_16rocsparse_order_S5_T4_S6_S6_T3_NS_24const_host_device_scalarIT2_EEPKT5_lPKT6_lSA_PT7_PKS7_PKS6_21rocsparse_index_base_b
	.p2align	8
	.type	_ZN9rocsparseL16sddmm_csx_kernelILi512ELi1EL20rocsparse_direction_0E21rocsparse_complex_numIfEllS3_S3_S3_EEv20rocsparse_operation_S4_16rocsparse_order_S5_T4_S6_S6_T3_NS_24const_host_device_scalarIT2_EEPKT5_lPKT6_lSA_PT7_PKS7_PKS6_21rocsparse_index_base_b,@function
_ZN9rocsparseL16sddmm_csx_kernelILi512ELi1EL20rocsparse_direction_0E21rocsparse_complex_numIfEllS3_S3_S3_EEv20rocsparse_operation_S4_16rocsparse_order_S5_T4_S6_S6_T3_NS_24const_host_device_scalarIT2_EEPKT5_lPKT6_lSA_PT7_PKS7_PKS6_21rocsparse_index_base_b: ; @_ZN9rocsparseL16sddmm_csx_kernelILi512ELi1EL20rocsparse_direction_0E21rocsparse_complex_numIfEllS3_S3_S3_EEv20rocsparse_operation_S4_16rocsparse_order_S5_T4_S6_S6_T3_NS_24const_host_device_scalarIT2_EEPKT5_lPKT6_lSA_PT7_PKS7_PKS6_21rocsparse_index_base_b
; %bb.0:
	s_load_dwordx2 s[4:5], s[0:1], 0x30
	s_load_dwordx4 s[8:11], s[0:1], 0x50
	s_load_dwordx2 s[12:13], s[0:1], 0x78
	s_add_u32 s3, s0, 48
	s_addc_u32 s6, s1, 0
	s_add_u32 s7, s0, 0x58
	s_addc_u32 s14, s1, 0
	s_waitcnt lgkmcnt(0)
	s_bitcmp1_b32 s13, 0
	s_cselect_b32 s5, s6, s5
	s_cselect_b32 s3, s3, s4
	v_mov_b32_e32 v2, s3
	v_mov_b32_e32 v3, s5
	flat_load_dwordx2 v[6:7], v[2:3]
	s_cselect_b32 s3, s14, s11
	s_cselect_b32 s4, s7, s10
	v_mov_b32_e32 v2, s4
	v_mov_b32_e32 v3, s3
	flat_load_dwordx2 v[8:9], v[2:3]
	s_brev_b32 s3, -2
	s_mov_b64 s[4:5], -1
	s_waitcnt vmcnt(0) lgkmcnt(0)
	v_bitop3_b32 v1, v6, s3, v7 bitop3:0xc8
	v_cmp_eq_u32_e32 vcc, 0, v1
	s_and_saveexec_b64 s[6:7], vcc
; %bb.1:
	v_cmp_neq_f32_e32 vcc, 1.0, v8
	v_cmp_neq_f32_e64 s[4:5], 0, v9
	s_or_b64 s[4:5], vcc, s[4:5]
	s_orn2_b64 s[4:5], s[4:5], exec
; %bb.2:
	s_or_b64 exec, exec, s[6:7]
	s_and_saveexec_b64 s[6:7], s[4:5]
	s_cbranch_execz .LBB209_26
; %bb.3:
	s_load_dwordx2 s[4:5], s[0:1], 0x10
	v_lshl_or_b32 v2, s2, 9, v0
	v_mov_b32_e32 v3, 0
	s_waitcnt lgkmcnt(0)
	v_cmp_gt_i64_e32 vcc, s[4:5], v[2:3]
	s_and_b64 exec, exec, vcc
	s_cbranch_execz .LBB209_26
; %bb.4:
	s_load_dwordx4 s[4:7], s[0:1], 0x0
	s_load_dwordx2 s[10:11], s[0:1], 0x68
	s_load_dwordx2 s[2:3], s[0:1], 0x40
	s_waitcnt lgkmcnt(0)
	s_cmp_eq_u32 s6, 1
	s_cselect_b64 s[18:19], -1, 0
	s_cmpk_eq_i32 s4, 0x6f
	s_cselect_b64 s[20:21], -1, 0
	s_cmpk_lg_i32 s4, 0x6f
	s_cselect_b64 s[14:15], -1, 0
	s_cmp_lg_u32 s6, 1
	s_cbranch_scc0 .LBB209_8
; %bb.5:
	s_andn2_b64 vcc, exec, s[20:21]
	v_mov_b64_e32 v[10:11], v[2:3]
	s_cbranch_vccnz .LBB209_7
; %bb.6:
	v_mad_u64_u32 v[10:11], s[16:17], s2, v2, 0
	v_mov_b32_e32 v4, v11
	v_mad_u64_u32 v[4:5], s[16:17], s3, v2, v[4:5]
	v_mov_b32_e32 v11, v4
.LBB209_7:
	s_cbranch_execz .LBB209_9
	s_branch .LBB209_11
.LBB209_8:
                                        ; implicit-def: $vgpr10_vgpr11
.LBB209_9:
	s_andn2_b64 vcc, exec, s[14:15]
	v_mov_b64_e32 v[10:11], v[2:3]
	s_cbranch_vccnz .LBB209_11
; %bb.10:
	v_mad_u64_u32 v[10:11], s[14:15], s2, v2, 0
	v_mov_b32_e32 v4, v11
	v_mad_u64_u32 v[4:5], s[14:15], s3, v2, v[4:5]
	v_mov_b32_e32 v11, v4
.LBB209_11:
	v_lshl_add_u64 v[2:3], v[2:3], 3, s[10:11]
	global_load_dwordx4 v[2:5], v[2:3], off
	s_waitcnt vmcnt(0)
	v_cmp_lt_i64_e32 vcc, v[2:3], v[4:5]
	s_and_b64 exec, exec, vcc
	s_cbranch_execz .LBB209_26
; %bb.12:
	s_load_dwordx2 s[22:23], s[0:1], 0x38
	s_load_dwordx2 s[10:11], s[0:1], 0x70
	;; [unrolled: 1-line block ×5, first 2 shown]
	s_xor_b64 s[0:1], s[20:21], s[18:19]
	s_and_b64 s[0:1], s[0:1], exec
	s_cselect_b32 s1, 0, s3
	s_cselect_b32 s0, 1, s2
	s_cmp_lg_u32 s7, 1
	s_cselect_b64 s[18:19], -1, 0
	s_cmp_eq_u32 s7, 1
	s_cselect_b64 s[2:3], -1, 0
	s_cmpk_eq_i32 s5, 0x6f
	s_cselect_b64 s[6:7], -1, 0
	s_cmpk_lg_i32 s5, 0x6f
	s_cselect_b64 s[4:5], -1, 0
	s_xor_b64 s[2:3], s[6:7], s[2:3]
	s_and_b64 s[2:3], s[2:3], exec
	v_subrev_co_u32_e32 v2, vcc, s12, v2
	s_waitcnt lgkmcnt(0)
	v_lshl_add_u64 v[10:11], v[10:11], 3, s[22:23]
	v_cndmask_b32_e64 v14, 0, 1, s[6:7]
	s_cselect_b32 s3, s9, 0
	s_cselect_b32 s2, s8, 1
	v_subbrev_co_u32_e32 v3, vcc, 0, v3, vcc
	s_add_u32 s22, s24, 4
	v_cndmask_b32_e64 v15, 0, 1, s[4:5]
	v_cmp_gt_i64_e64 s[4:5], s[16:17], 0
	v_subrev_co_u32_e32 v4, vcc, s12, v4
	s_addc_u32 s23, s25, 0
	s_lshl_b64 s[24:25], s[2:3], 3
	v_cmp_ne_u32_e64 s[2:3], 1, v14
	v_cndmask_b32_e64 v14, 0, 1, s[4:5]
	s_mov_b64 s[20:21], 0
	v_lshlrev_b32_e32 v20, 3, v0
	v_xor_b32_e32 v0, 0x80000000, v7
	v_mov_b32_e32 v1, v6
	v_mov_b32_e32 v12, v8
	;; [unrolled: 1-line block ×4, first 2 shown]
	v_subbrev_co_u32_e32 v5, vcc, 0, v5, vcc
	s_lshl_b64 s[26:27], s[0:1], 3
	v_cmp_ne_u32_e64 s[0:1], 1, v15
	v_cmp_ne_u32_e64 s[4:5], 1, v14
	s_branch .LBB209_15
.LBB209_13:                             ;   in Loop: Header=BB209_15 Depth=1
	v_mov_b32_e32 v15, 0
	v_mov_b32_e32 v14, v15
.LBB209_14:                             ;   in Loop: Header=BB209_15 Depth=1
	ds_write_b64 v20, v[14:15]
	v_lshl_add_u64 v[14:15], v[2:3], 3, s[14:15]
	s_waitcnt lgkmcnt(0)
	s_barrier
	global_load_dwordx2 v[16:17], v[14:15], off
	ds_read_b64 v[18:19], v20
	v_lshl_add_u64 v[2:3], v[2:3], 0, 1
	v_cmp_ge_i64_e32 vcc, v[2:3], v[4:5]
	s_or_b64 s[20:21], vcc, s[20:21]
	s_waitcnt lgkmcnt(0)
	v_pk_mul_f32 v[22:23], v[18:19], v[0:1] op_sel:[1,0]
	s_nop 0
	v_pk_fma_f32 v[18:19], v[6:7], v[18:19], v[22:23] op_sel_hi:[1,0,1]
	s_waitcnt vmcnt(0)
	v_pk_mul_f32 v[22:23], v[8:9], v[16:17] op_sel:[0,1] op_sel_hi:[1,0] neg_lo:[0,1]
	s_nop 0
	v_pk_fma_f32 v[16:17], v[16:17], v[12:13], v[22:23]
	s_nop 0
	v_pk_add_f32 v[16:17], v[18:19], v[16:17]
	global_store_dwordx2 v[14:15], v[16:17], off
	s_andn2_b64 exec, exec, s[20:21]
	s_cbranch_execz .LBB209_26
.LBB209_15:                             ; =>This Loop Header: Depth=1
                                        ;     Child Loop BB209_25 Depth 2
	v_lshl_add_u64 v[14:15], v[2:3], 3, s[10:11]
	global_load_dwordx2 v[14:15], v[14:15], off
	s_and_b64 vcc, exec, s[18:19]
	s_mov_b64 s[28:29], -1
                                        ; implicit-def: $vgpr16_vgpr17
	s_waitcnt vmcnt(0)
	v_subrev_co_u32_e64 v14, s[6:7], s12, v14
	s_nop 1
	v_subbrev_co_u32_e64 v15, s[6:7], 0, v15, s[6:7]
	s_cbranch_vccnz .LBB209_18
; %bb.16:                               ;   in Loop: Header=BB209_15 Depth=1
	s_andn2_b64 vcc, exec, s[28:29]
	s_cbranch_vccz .LBB209_21
.LBB209_17:                             ;   in Loop: Header=BB209_15 Depth=1
	s_and_b64 vcc, exec, s[4:5]
	s_cbranch_vccz .LBB209_24
	s_branch .LBB209_13
.LBB209_18:                             ;   in Loop: Header=BB209_15 Depth=1
	s_and_b64 vcc, exec, s[0:1]
	v_mov_b64_e32 v[16:17], v[14:15]
	s_cbranch_vccnz .LBB209_20
; %bb.19:                               ;   in Loop: Header=BB209_15 Depth=1
	v_mul_lo_u32 v18, v15, s8
	v_mul_lo_u32 v19, v14, s9
	v_mad_u64_u32 v[16:17], s[6:7], v14, s8, 0
	v_add3_u32 v17, v17, v19, v18
.LBB209_20:                             ;   in Loop: Header=BB209_15 Depth=1
	s_cbranch_execnz .LBB209_17
.LBB209_21:                             ;   in Loop: Header=BB209_15 Depth=1
	s_and_b64 vcc, exec, s[2:3]
	s_cbranch_vccnz .LBB209_23
; %bb.22:                               ;   in Loop: Header=BB209_15 Depth=1
	v_mul_lo_u32 v16, v15, s8
	v_mul_lo_u32 v17, v14, s9
	v_mad_u64_u32 v[14:15], s[6:7], v14, s8, 0
	v_add3_u32 v15, v15, v17, v16
.LBB209_23:                             ;   in Loop: Header=BB209_15 Depth=1
	v_mov_b64_e32 v[16:17], v[14:15]
	s_and_b64 vcc, exec, s[4:5]
	s_cbranch_vccnz .LBB209_13
.LBB209_24:                             ;   in Loop: Header=BB209_15 Depth=1
	v_mov_b32_e32 v14, 0
	v_lshl_add_u64 v[16:17], v[16:17], 3, s[22:23]
	v_mov_b64_e32 v[18:19], v[10:11]
	s_mov_b64 s[6:7], s[16:17]
	v_mov_b32_e32 v15, v14
.LBB209_25:                             ;   Parent Loop BB209_15 Depth=1
                                        ; =>  This Inner Loop Header: Depth=2
	global_load_dwordx2 v[22:23], v[18:19], off
	global_load_dwordx2 v[24:25], v[16:17], off offset:-4
	s_add_u32 s6, s6, -1
	s_addc_u32 s7, s7, -1
	v_lshl_add_u64 v[16:17], v[16:17], 0, s[24:25]
	v_lshl_add_u64 v[18:19], v[18:19], 0, s[26:27]
	s_cmp_eq_u64 s[6:7], 0
	s_waitcnt vmcnt(1)
	v_xor_b32_e32 v26, 0x80000000, v23
	v_mov_b32_e32 v27, v22
	s_waitcnt vmcnt(0)
	v_pk_mul_f32 v[26:27], v[24:25], v[26:27] op_sel:[1,0]
	s_nop 0
	v_pk_fma_f32 v[22:23], v[22:23], v[24:25], v[26:27] op_sel_hi:[1,0,1]
	s_nop 0
	v_pk_add_f32 v[14:15], v[14:15], v[22:23]
	s_cbranch_scc0 .LBB209_25
	s_branch .LBB209_14
.LBB209_26:
	s_endpgm
	.section	.rodata,"a",@progbits
	.p2align	6, 0x0
	.amdhsa_kernel _ZN9rocsparseL16sddmm_csx_kernelILi512ELi1EL20rocsparse_direction_0E21rocsparse_complex_numIfEllS3_S3_S3_EEv20rocsparse_operation_S4_16rocsparse_order_S5_T4_S6_S6_T3_NS_24const_host_device_scalarIT2_EEPKT5_lPKT6_lSA_PT7_PKS7_PKS6_21rocsparse_index_base_b
		.amdhsa_group_segment_fixed_size 4096
		.amdhsa_private_segment_fixed_size 0
		.amdhsa_kernarg_size 128
		.amdhsa_user_sgpr_count 2
		.amdhsa_user_sgpr_dispatch_ptr 0
		.amdhsa_user_sgpr_queue_ptr 0
		.amdhsa_user_sgpr_kernarg_segment_ptr 1
		.amdhsa_user_sgpr_dispatch_id 0
		.amdhsa_user_sgpr_kernarg_preload_length 0
		.amdhsa_user_sgpr_kernarg_preload_offset 0
		.amdhsa_user_sgpr_private_segment_size 0
		.amdhsa_uses_dynamic_stack 0
		.amdhsa_enable_private_segment 0
		.amdhsa_system_sgpr_workgroup_id_x 1
		.amdhsa_system_sgpr_workgroup_id_y 0
		.amdhsa_system_sgpr_workgroup_id_z 0
		.amdhsa_system_sgpr_workgroup_info 0
		.amdhsa_system_vgpr_workitem_id 0
		.amdhsa_next_free_vgpr 28
		.amdhsa_next_free_sgpr 30
		.amdhsa_accum_offset 28
		.amdhsa_reserve_vcc 1
		.amdhsa_float_round_mode_32 0
		.amdhsa_float_round_mode_16_64 0
		.amdhsa_float_denorm_mode_32 3
		.amdhsa_float_denorm_mode_16_64 3
		.amdhsa_dx10_clamp 1
		.amdhsa_ieee_mode 1
		.amdhsa_fp16_overflow 0
		.amdhsa_tg_split 0
		.amdhsa_exception_fp_ieee_invalid_op 0
		.amdhsa_exception_fp_denorm_src 0
		.amdhsa_exception_fp_ieee_div_zero 0
		.amdhsa_exception_fp_ieee_overflow 0
		.amdhsa_exception_fp_ieee_underflow 0
		.amdhsa_exception_fp_ieee_inexact 0
		.amdhsa_exception_int_div_zero 0
	.end_amdhsa_kernel
	.section	.text._ZN9rocsparseL16sddmm_csx_kernelILi512ELi1EL20rocsparse_direction_0E21rocsparse_complex_numIfEllS3_S3_S3_EEv20rocsparse_operation_S4_16rocsparse_order_S5_T4_S6_S6_T3_NS_24const_host_device_scalarIT2_EEPKT5_lPKT6_lSA_PT7_PKS7_PKS6_21rocsparse_index_base_b,"axG",@progbits,_ZN9rocsparseL16sddmm_csx_kernelILi512ELi1EL20rocsparse_direction_0E21rocsparse_complex_numIfEllS3_S3_S3_EEv20rocsparse_operation_S4_16rocsparse_order_S5_T4_S6_S6_T3_NS_24const_host_device_scalarIT2_EEPKT5_lPKT6_lSA_PT7_PKS7_PKS6_21rocsparse_index_base_b,comdat
.Lfunc_end209:
	.size	_ZN9rocsparseL16sddmm_csx_kernelILi512ELi1EL20rocsparse_direction_0E21rocsparse_complex_numIfEllS3_S3_S3_EEv20rocsparse_operation_S4_16rocsparse_order_S5_T4_S6_S6_T3_NS_24const_host_device_scalarIT2_EEPKT5_lPKT6_lSA_PT7_PKS7_PKS6_21rocsparse_index_base_b, .Lfunc_end209-_ZN9rocsparseL16sddmm_csx_kernelILi512ELi1EL20rocsparse_direction_0E21rocsparse_complex_numIfEllS3_S3_S3_EEv20rocsparse_operation_S4_16rocsparse_order_S5_T4_S6_S6_T3_NS_24const_host_device_scalarIT2_EEPKT5_lPKT6_lSA_PT7_PKS7_PKS6_21rocsparse_index_base_b
                                        ; -- End function
	.set _ZN9rocsparseL16sddmm_csx_kernelILi512ELi1EL20rocsparse_direction_0E21rocsparse_complex_numIfEllS3_S3_S3_EEv20rocsparse_operation_S4_16rocsparse_order_S5_T4_S6_S6_T3_NS_24const_host_device_scalarIT2_EEPKT5_lPKT6_lSA_PT7_PKS7_PKS6_21rocsparse_index_base_b.num_vgpr, 28
	.set _ZN9rocsparseL16sddmm_csx_kernelILi512ELi1EL20rocsparse_direction_0E21rocsparse_complex_numIfEllS3_S3_S3_EEv20rocsparse_operation_S4_16rocsparse_order_S5_T4_S6_S6_T3_NS_24const_host_device_scalarIT2_EEPKT5_lPKT6_lSA_PT7_PKS7_PKS6_21rocsparse_index_base_b.num_agpr, 0
	.set _ZN9rocsparseL16sddmm_csx_kernelILi512ELi1EL20rocsparse_direction_0E21rocsparse_complex_numIfEllS3_S3_S3_EEv20rocsparse_operation_S4_16rocsparse_order_S5_T4_S6_S6_T3_NS_24const_host_device_scalarIT2_EEPKT5_lPKT6_lSA_PT7_PKS7_PKS6_21rocsparse_index_base_b.numbered_sgpr, 30
	.set _ZN9rocsparseL16sddmm_csx_kernelILi512ELi1EL20rocsparse_direction_0E21rocsparse_complex_numIfEllS3_S3_S3_EEv20rocsparse_operation_S4_16rocsparse_order_S5_T4_S6_S6_T3_NS_24const_host_device_scalarIT2_EEPKT5_lPKT6_lSA_PT7_PKS7_PKS6_21rocsparse_index_base_b.num_named_barrier, 0
	.set _ZN9rocsparseL16sddmm_csx_kernelILi512ELi1EL20rocsparse_direction_0E21rocsparse_complex_numIfEllS3_S3_S3_EEv20rocsparse_operation_S4_16rocsparse_order_S5_T4_S6_S6_T3_NS_24const_host_device_scalarIT2_EEPKT5_lPKT6_lSA_PT7_PKS7_PKS6_21rocsparse_index_base_b.private_seg_size, 0
	.set _ZN9rocsparseL16sddmm_csx_kernelILi512ELi1EL20rocsparse_direction_0E21rocsparse_complex_numIfEllS3_S3_S3_EEv20rocsparse_operation_S4_16rocsparse_order_S5_T4_S6_S6_T3_NS_24const_host_device_scalarIT2_EEPKT5_lPKT6_lSA_PT7_PKS7_PKS6_21rocsparse_index_base_b.uses_vcc, 1
	.set _ZN9rocsparseL16sddmm_csx_kernelILi512ELi1EL20rocsparse_direction_0E21rocsparse_complex_numIfEllS3_S3_S3_EEv20rocsparse_operation_S4_16rocsparse_order_S5_T4_S6_S6_T3_NS_24const_host_device_scalarIT2_EEPKT5_lPKT6_lSA_PT7_PKS7_PKS6_21rocsparse_index_base_b.uses_flat_scratch, 0
	.set _ZN9rocsparseL16sddmm_csx_kernelILi512ELi1EL20rocsparse_direction_0E21rocsparse_complex_numIfEllS3_S3_S3_EEv20rocsparse_operation_S4_16rocsparse_order_S5_T4_S6_S6_T3_NS_24const_host_device_scalarIT2_EEPKT5_lPKT6_lSA_PT7_PKS7_PKS6_21rocsparse_index_base_b.has_dyn_sized_stack, 0
	.set _ZN9rocsparseL16sddmm_csx_kernelILi512ELi1EL20rocsparse_direction_0E21rocsparse_complex_numIfEllS3_S3_S3_EEv20rocsparse_operation_S4_16rocsparse_order_S5_T4_S6_S6_T3_NS_24const_host_device_scalarIT2_EEPKT5_lPKT6_lSA_PT7_PKS7_PKS6_21rocsparse_index_base_b.has_recursion, 0
	.set _ZN9rocsparseL16sddmm_csx_kernelILi512ELi1EL20rocsparse_direction_0E21rocsparse_complex_numIfEllS3_S3_S3_EEv20rocsparse_operation_S4_16rocsparse_order_S5_T4_S6_S6_T3_NS_24const_host_device_scalarIT2_EEPKT5_lPKT6_lSA_PT7_PKS7_PKS6_21rocsparse_index_base_b.has_indirect_call, 0
	.section	.AMDGPU.csdata,"",@progbits
; Kernel info:
; codeLenInByte = 1052
; TotalNumSgprs: 36
; NumVgprs: 28
; NumAgprs: 0
; TotalNumVgprs: 28
; ScratchSize: 0
; MemoryBound: 0
; FloatMode: 240
; IeeeMode: 1
; LDSByteSize: 4096 bytes/workgroup (compile time only)
; SGPRBlocks: 4
; VGPRBlocks: 3
; NumSGPRsForWavesPerEU: 36
; NumVGPRsForWavesPerEU: 28
; AccumOffset: 28
; Occupancy: 8
; WaveLimiterHint : 0
; COMPUTE_PGM_RSRC2:SCRATCH_EN: 0
; COMPUTE_PGM_RSRC2:USER_SGPR: 2
; COMPUTE_PGM_RSRC2:TRAP_HANDLER: 0
; COMPUTE_PGM_RSRC2:TGID_X_EN: 1
; COMPUTE_PGM_RSRC2:TGID_Y_EN: 0
; COMPUTE_PGM_RSRC2:TGID_Z_EN: 0
; COMPUTE_PGM_RSRC2:TIDIG_COMP_CNT: 0
; COMPUTE_PGM_RSRC3_GFX90A:ACCUM_OFFSET: 6
; COMPUTE_PGM_RSRC3_GFX90A:TG_SPLIT: 0
	.section	.text._ZN9rocsparseL16csr2dense_kernelILi16ELi32Ell21rocsparse_complex_numIdEEEviT2_S3_PKT3_PKT1_PKS3_PS4_l16rocsparse_order_,"axG",@progbits,_ZN9rocsparseL16csr2dense_kernelILi16ELi32Ell21rocsparse_complex_numIdEEEviT2_S3_PKT3_PKT1_PKS3_PS4_l16rocsparse_order_,comdat
	.globl	_ZN9rocsparseL16csr2dense_kernelILi16ELi32Ell21rocsparse_complex_numIdEEEviT2_S3_PKT3_PKT1_PKS3_PS4_l16rocsparse_order_ ; -- Begin function _ZN9rocsparseL16csr2dense_kernelILi16ELi32Ell21rocsparse_complex_numIdEEEviT2_S3_PKT3_PKT1_PKS3_PS4_l16rocsparse_order_
	.p2align	8
	.type	_ZN9rocsparseL16csr2dense_kernelILi16ELi32Ell21rocsparse_complex_numIdEEEviT2_S3_PKT3_PKT1_PKS3_PS4_l16rocsparse_order_,@function
_ZN9rocsparseL16csr2dense_kernelILi16ELi32Ell21rocsparse_complex_numIdEEEviT2_S3_PKT3_PKT1_PKS3_PS4_l16rocsparse_order_: ; @_ZN9rocsparseL16csr2dense_kernelILi16ELi32Ell21rocsparse_complex_numIdEEEviT2_S3_PKT3_PKT1_PKS3_PS4_l16rocsparse_order_
; %bb.0:
	s_load_dwordx2 s[4:5], s[0:1], 0x8
	v_lshrrev_b32_e32 v1, 5, v0
	v_lshl_or_b32 v8, s2, 4, v1
	v_mov_b32_e32 v1, 0
	v_mov_b32_e32 v9, v1
	s_waitcnt lgkmcnt(0)
	v_cmp_gt_i64_e32 vcc, s[4:5], v[8:9]
	s_and_saveexec_b64 s[2:3], vcc
	s_cbranch_execz .LBB210_8
; %bb.1:
	s_load_dwordx2 s[2:3], s[0:1], 0x20
	v_and_b32_e32 v0, 31, v0
	s_waitcnt lgkmcnt(0)
	v_lshl_add_u64 v[2:3], v[8:9], 3, s[2:3]
	global_load_dwordx4 v[2:5], v[2:3], off
	s_waitcnt vmcnt(0)
	v_sub_co_u32_e32 v4, vcc, v4, v2
	s_nop 1
	v_subb_co_u32_e32 v5, vcc, v5, v3, vcc
	v_cmp_gt_i64_e32 vcc, v[4:5], v[0:1]
	s_and_b64 exec, exec, vcc
	s_cbranch_execz .LBB210_8
; %bb.2:
	s_load_dword s14, s[0:1], 0x0
	s_load_dwordx4 s[8:11], s[0:1], 0x28
	s_load_dword s4, s[0:1], 0x40
	s_load_dwordx2 s[6:7], s[0:1], 0x18
	s_load_dwordx2 s[2:3], s[0:1], 0x38
	s_waitcnt lgkmcnt(0)
	s_ashr_i32 s12, s14, 31
	v_lshl_add_u64 v[6:7], v[8:9], 4, s[10:11]
	v_lshl_add_u64 v[2:3], v[2:3], 0, v[0:1]
	s_cmp_lg_u32 s4, 1
	v_mad_u64_u32 v[10:11], s[0:1], s2, v8, 0
	v_mov_b32_e32 v12, v11
	v_mad_u64_u32 v[8:9], s[0:1], s3, v8, v[12:13]
	v_mov_b32_e32 v11, v8
	v_lshl_add_u64 v[8:9], v[10:11], 4, s[10:11]
	v_mov_b32_e32 v11, s12
	v_subrev_co_u32_e32 v10, vcc, s14, v2
	s_cselect_b64 s[4:5], -1, 0
	s_nop 0
	v_subb_co_u32_e32 v11, vcc, v3, v11, vcc
	v_lshl_add_u64 v[2:3], v[10:11], 3, s[8:9]
	v_lshl_add_u64 v[10:11], v[10:11], 4, s[6:7]
	s_mov_b64 s[6:7], 0
	v_mov_b32_e32 v16, s12
	s_mov_b64 s[8:9], 0x100
	s_mov_b64 s[10:11], 0x200
	s_branch .LBB210_4
.LBB210_3:                              ;   in Loop: Header=BB210_4 Depth=1
	global_load_dwordx4 v[18:21], v[10:11], off
	v_lshl_add_u64 v[0:1], v[0:1], 0, 32
	v_cmp_ge_i64_e32 vcc, v[0:1], v[4:5]
	v_lshl_add_u64 v[2:3], v[2:3], 0, s[8:9]
	s_or_b64 s[6:7], vcc, s[6:7]
	v_lshl_add_u64 v[10:11], v[10:11], 0, s[10:11]
	s_waitcnt vmcnt(0)
	global_store_dwordx4 v[12:13], v[18:21], off
	s_andn2_b64 exec, exec, s[6:7]
	s_cbranch_execz .LBB210_8
.LBB210_4:                              ; =>This Inner Loop Header: Depth=1
	s_barrier
	global_load_dwordx2 v[14:15], v[2:3], off
	s_mov_b64 s[12:13], -1
	s_and_b64 vcc, exec, s[4:5]
                                        ; implicit-def: $vgpr12_vgpr13
	s_waitcnt vmcnt(0)
	v_subrev_co_u32_e64 v14, s[0:1], s14, v14
	s_nop 1
	v_subb_co_u32_e64 v15, s[0:1], v15, v16, s[0:1]
	s_cbranch_vccz .LBB210_6
; %bb.5:                                ;   in Loop: Header=BB210_4 Depth=1
	v_lshl_add_u64 v[12:13], v[14:15], 4, v[8:9]
	s_mov_b64 s[12:13], 0
.LBB210_6:                              ;   in Loop: Header=BB210_4 Depth=1
	s_andn2_b64 vcc, exec, s[12:13]
	s_cbranch_vccnz .LBB210_3
; %bb.7:                                ;   in Loop: Header=BB210_4 Depth=1
	v_mul_lo_u32 v15, v15, s2
	v_mul_lo_u32 v17, v14, s3
	v_mad_u64_u32 v[12:13], s[0:1], v14, s2, 0
	v_add3_u32 v13, v13, v17, v15
	v_lshl_add_u64 v[12:13], v[12:13], 4, v[6:7]
	s_branch .LBB210_3
.LBB210_8:
	s_endpgm
	.section	.rodata,"a",@progbits
	.p2align	6, 0x0
	.amdhsa_kernel _ZN9rocsparseL16csr2dense_kernelILi16ELi32Ell21rocsparse_complex_numIdEEEviT2_S3_PKT3_PKT1_PKS3_PS4_l16rocsparse_order_
		.amdhsa_group_segment_fixed_size 0
		.amdhsa_private_segment_fixed_size 0
		.amdhsa_kernarg_size 68
		.amdhsa_user_sgpr_count 2
		.amdhsa_user_sgpr_dispatch_ptr 0
		.amdhsa_user_sgpr_queue_ptr 0
		.amdhsa_user_sgpr_kernarg_segment_ptr 1
		.amdhsa_user_sgpr_dispatch_id 0
		.amdhsa_user_sgpr_kernarg_preload_length 0
		.amdhsa_user_sgpr_kernarg_preload_offset 0
		.amdhsa_user_sgpr_private_segment_size 0
		.amdhsa_uses_dynamic_stack 0
		.amdhsa_enable_private_segment 0
		.amdhsa_system_sgpr_workgroup_id_x 1
		.amdhsa_system_sgpr_workgroup_id_y 0
		.amdhsa_system_sgpr_workgroup_id_z 0
		.amdhsa_system_sgpr_workgroup_info 0
		.amdhsa_system_vgpr_workitem_id 0
		.amdhsa_next_free_vgpr 22
		.amdhsa_next_free_sgpr 15
		.amdhsa_accum_offset 24
		.amdhsa_reserve_vcc 1
		.amdhsa_float_round_mode_32 0
		.amdhsa_float_round_mode_16_64 0
		.amdhsa_float_denorm_mode_32 3
		.amdhsa_float_denorm_mode_16_64 3
		.amdhsa_dx10_clamp 1
		.amdhsa_ieee_mode 1
		.amdhsa_fp16_overflow 0
		.amdhsa_tg_split 0
		.amdhsa_exception_fp_ieee_invalid_op 0
		.amdhsa_exception_fp_denorm_src 0
		.amdhsa_exception_fp_ieee_div_zero 0
		.amdhsa_exception_fp_ieee_overflow 0
		.amdhsa_exception_fp_ieee_underflow 0
		.amdhsa_exception_fp_ieee_inexact 0
		.amdhsa_exception_int_div_zero 0
	.end_amdhsa_kernel
	.section	.text._ZN9rocsparseL16csr2dense_kernelILi16ELi32Ell21rocsparse_complex_numIdEEEviT2_S3_PKT3_PKT1_PKS3_PS4_l16rocsparse_order_,"axG",@progbits,_ZN9rocsparseL16csr2dense_kernelILi16ELi32Ell21rocsparse_complex_numIdEEEviT2_S3_PKT3_PKT1_PKS3_PS4_l16rocsparse_order_,comdat
.Lfunc_end210:
	.size	_ZN9rocsparseL16csr2dense_kernelILi16ELi32Ell21rocsparse_complex_numIdEEEviT2_S3_PKT3_PKT1_PKS3_PS4_l16rocsparse_order_, .Lfunc_end210-_ZN9rocsparseL16csr2dense_kernelILi16ELi32Ell21rocsparse_complex_numIdEEEviT2_S3_PKT3_PKT1_PKS3_PS4_l16rocsparse_order_
                                        ; -- End function
	.set _ZN9rocsparseL16csr2dense_kernelILi16ELi32Ell21rocsparse_complex_numIdEEEviT2_S3_PKT3_PKT1_PKS3_PS4_l16rocsparse_order_.num_vgpr, 22
	.set _ZN9rocsparseL16csr2dense_kernelILi16ELi32Ell21rocsparse_complex_numIdEEEviT2_S3_PKT3_PKT1_PKS3_PS4_l16rocsparse_order_.num_agpr, 0
	.set _ZN9rocsparseL16csr2dense_kernelILi16ELi32Ell21rocsparse_complex_numIdEEEviT2_S3_PKT3_PKT1_PKS3_PS4_l16rocsparse_order_.numbered_sgpr, 15
	.set _ZN9rocsparseL16csr2dense_kernelILi16ELi32Ell21rocsparse_complex_numIdEEEviT2_S3_PKT3_PKT1_PKS3_PS4_l16rocsparse_order_.num_named_barrier, 0
	.set _ZN9rocsparseL16csr2dense_kernelILi16ELi32Ell21rocsparse_complex_numIdEEEviT2_S3_PKT3_PKT1_PKS3_PS4_l16rocsparse_order_.private_seg_size, 0
	.set _ZN9rocsparseL16csr2dense_kernelILi16ELi32Ell21rocsparse_complex_numIdEEEviT2_S3_PKT3_PKT1_PKS3_PS4_l16rocsparse_order_.uses_vcc, 1
	.set _ZN9rocsparseL16csr2dense_kernelILi16ELi32Ell21rocsparse_complex_numIdEEEviT2_S3_PKT3_PKT1_PKS3_PS4_l16rocsparse_order_.uses_flat_scratch, 0
	.set _ZN9rocsparseL16csr2dense_kernelILi16ELi32Ell21rocsparse_complex_numIdEEEviT2_S3_PKT3_PKT1_PKS3_PS4_l16rocsparse_order_.has_dyn_sized_stack, 0
	.set _ZN9rocsparseL16csr2dense_kernelILi16ELi32Ell21rocsparse_complex_numIdEEEviT2_S3_PKT3_PKT1_PKS3_PS4_l16rocsparse_order_.has_recursion, 0
	.set _ZN9rocsparseL16csr2dense_kernelILi16ELi32Ell21rocsparse_complex_numIdEEEviT2_S3_PKT3_PKT1_PKS3_PS4_l16rocsparse_order_.has_indirect_call, 0
	.section	.AMDGPU.csdata,"",@progbits
; Kernel info:
; codeLenInByte = 444
; TotalNumSgprs: 21
; NumVgprs: 22
; NumAgprs: 0
; TotalNumVgprs: 22
; ScratchSize: 0
; MemoryBound: 0
; FloatMode: 240
; IeeeMode: 1
; LDSByteSize: 0 bytes/workgroup (compile time only)
; SGPRBlocks: 2
; VGPRBlocks: 2
; NumSGPRsForWavesPerEU: 21
; NumVGPRsForWavesPerEU: 22
; AccumOffset: 24
; Occupancy: 8
; WaveLimiterHint : 0
; COMPUTE_PGM_RSRC2:SCRATCH_EN: 0
; COMPUTE_PGM_RSRC2:USER_SGPR: 2
; COMPUTE_PGM_RSRC2:TRAP_HANDLER: 0
; COMPUTE_PGM_RSRC2:TGID_X_EN: 1
; COMPUTE_PGM_RSRC2:TGID_Y_EN: 0
; COMPUTE_PGM_RSRC2:TGID_Z_EN: 0
; COMPUTE_PGM_RSRC2:TIDIG_COMP_CNT: 0
; COMPUTE_PGM_RSRC3_GFX90A:ACCUM_OFFSET: 5
; COMPUTE_PGM_RSRC3_GFX90A:TG_SPLIT: 0
	.section	.text._ZN9rocsparseL16csr2dense_kernelILi16ELi64Ell21rocsparse_complex_numIdEEEviT2_S3_PKT3_PKT1_PKS3_PS4_l16rocsparse_order_,"axG",@progbits,_ZN9rocsparseL16csr2dense_kernelILi16ELi64Ell21rocsparse_complex_numIdEEEviT2_S3_PKT3_PKT1_PKS3_PS4_l16rocsparse_order_,comdat
	.globl	_ZN9rocsparseL16csr2dense_kernelILi16ELi64Ell21rocsparse_complex_numIdEEEviT2_S3_PKT3_PKT1_PKS3_PS4_l16rocsparse_order_ ; -- Begin function _ZN9rocsparseL16csr2dense_kernelILi16ELi64Ell21rocsparse_complex_numIdEEEviT2_S3_PKT3_PKT1_PKS3_PS4_l16rocsparse_order_
	.p2align	8
	.type	_ZN9rocsparseL16csr2dense_kernelILi16ELi64Ell21rocsparse_complex_numIdEEEviT2_S3_PKT3_PKT1_PKS3_PS4_l16rocsparse_order_,@function
_ZN9rocsparseL16csr2dense_kernelILi16ELi64Ell21rocsparse_complex_numIdEEEviT2_S3_PKT3_PKT1_PKS3_PS4_l16rocsparse_order_: ; @_ZN9rocsparseL16csr2dense_kernelILi16ELi64Ell21rocsparse_complex_numIdEEEviT2_S3_PKT3_PKT1_PKS3_PS4_l16rocsparse_order_
; %bb.0:
	s_load_dwordx2 s[4:5], s[0:1], 0x8
	v_lshrrev_b32_e32 v1, 6, v0
	v_lshl_or_b32 v8, s2, 4, v1
	v_mov_b32_e32 v1, 0
	v_mov_b32_e32 v9, v1
	s_waitcnt lgkmcnt(0)
	v_cmp_gt_i64_e32 vcc, s[4:5], v[8:9]
	s_and_saveexec_b64 s[2:3], vcc
	s_cbranch_execz .LBB211_8
; %bb.1:
	s_load_dwordx2 s[2:3], s[0:1], 0x20
	v_and_b32_e32 v0, 63, v0
	s_waitcnt lgkmcnt(0)
	v_lshl_add_u64 v[2:3], v[8:9], 3, s[2:3]
	global_load_dwordx4 v[2:5], v[2:3], off
	s_waitcnt vmcnt(0)
	v_sub_co_u32_e32 v4, vcc, v4, v2
	s_nop 1
	v_subb_co_u32_e32 v5, vcc, v5, v3, vcc
	v_cmp_gt_i64_e32 vcc, v[4:5], v[0:1]
	s_and_b64 exec, exec, vcc
	s_cbranch_execz .LBB211_8
; %bb.2:
	s_load_dword s14, s[0:1], 0x0
	s_load_dwordx4 s[8:11], s[0:1], 0x28
	s_load_dword s4, s[0:1], 0x40
	s_load_dwordx2 s[6:7], s[0:1], 0x18
	s_load_dwordx2 s[2:3], s[0:1], 0x38
	s_waitcnt lgkmcnt(0)
	s_ashr_i32 s12, s14, 31
	v_lshl_add_u64 v[6:7], v[8:9], 4, s[10:11]
	v_lshl_add_u64 v[2:3], v[2:3], 0, v[0:1]
	s_cmp_lg_u32 s4, 1
	v_mad_u64_u32 v[10:11], s[0:1], s2, v8, 0
	v_mov_b32_e32 v12, v11
	v_mad_u64_u32 v[8:9], s[0:1], s3, v8, v[12:13]
	v_mov_b32_e32 v11, v8
	v_lshl_add_u64 v[8:9], v[10:11], 4, s[10:11]
	v_mov_b32_e32 v11, s12
	v_subrev_co_u32_e32 v10, vcc, s14, v2
	s_cselect_b64 s[4:5], -1, 0
	s_nop 0
	v_subb_co_u32_e32 v11, vcc, v3, v11, vcc
	v_lshl_add_u64 v[2:3], v[10:11], 3, s[8:9]
	v_lshl_add_u64 v[10:11], v[10:11], 4, s[6:7]
	s_mov_b64 s[6:7], 0
	v_mov_b32_e32 v16, s12
	s_mov_b64 s[8:9], 0x200
	s_mov_b64 s[10:11], 0x400
	s_branch .LBB211_4
.LBB211_3:                              ;   in Loop: Header=BB211_4 Depth=1
	global_load_dwordx4 v[18:21], v[10:11], off
	v_lshl_add_u64 v[0:1], v[0:1], 0, 64
	v_cmp_ge_i64_e32 vcc, v[0:1], v[4:5]
	v_lshl_add_u64 v[2:3], v[2:3], 0, s[8:9]
	s_or_b64 s[6:7], vcc, s[6:7]
	v_lshl_add_u64 v[10:11], v[10:11], 0, s[10:11]
	s_waitcnt vmcnt(0)
	global_store_dwordx4 v[12:13], v[18:21], off
	s_andn2_b64 exec, exec, s[6:7]
	s_cbranch_execz .LBB211_8
.LBB211_4:                              ; =>This Inner Loop Header: Depth=1
	s_barrier
	global_load_dwordx2 v[14:15], v[2:3], off
	s_mov_b64 s[12:13], -1
	s_and_b64 vcc, exec, s[4:5]
                                        ; implicit-def: $vgpr12_vgpr13
	s_waitcnt vmcnt(0)
	v_subrev_co_u32_e64 v14, s[0:1], s14, v14
	s_nop 1
	v_subb_co_u32_e64 v15, s[0:1], v15, v16, s[0:1]
	s_cbranch_vccz .LBB211_6
; %bb.5:                                ;   in Loop: Header=BB211_4 Depth=1
	v_lshl_add_u64 v[12:13], v[14:15], 4, v[8:9]
	s_mov_b64 s[12:13], 0
.LBB211_6:                              ;   in Loop: Header=BB211_4 Depth=1
	s_andn2_b64 vcc, exec, s[12:13]
	s_cbranch_vccnz .LBB211_3
; %bb.7:                                ;   in Loop: Header=BB211_4 Depth=1
	v_mul_lo_u32 v15, v15, s2
	v_mul_lo_u32 v17, v14, s3
	v_mad_u64_u32 v[12:13], s[0:1], v14, s2, 0
	v_add3_u32 v13, v13, v17, v15
	v_lshl_add_u64 v[12:13], v[12:13], 4, v[6:7]
	s_branch .LBB211_3
.LBB211_8:
	s_endpgm
	.section	.rodata,"a",@progbits
	.p2align	6, 0x0
	.amdhsa_kernel _ZN9rocsparseL16csr2dense_kernelILi16ELi64Ell21rocsparse_complex_numIdEEEviT2_S3_PKT3_PKT1_PKS3_PS4_l16rocsparse_order_
		.amdhsa_group_segment_fixed_size 0
		.amdhsa_private_segment_fixed_size 0
		.amdhsa_kernarg_size 68
		.amdhsa_user_sgpr_count 2
		.amdhsa_user_sgpr_dispatch_ptr 0
		.amdhsa_user_sgpr_queue_ptr 0
		.amdhsa_user_sgpr_kernarg_segment_ptr 1
		.amdhsa_user_sgpr_dispatch_id 0
		.amdhsa_user_sgpr_kernarg_preload_length 0
		.amdhsa_user_sgpr_kernarg_preload_offset 0
		.amdhsa_user_sgpr_private_segment_size 0
		.amdhsa_uses_dynamic_stack 0
		.amdhsa_enable_private_segment 0
		.amdhsa_system_sgpr_workgroup_id_x 1
		.amdhsa_system_sgpr_workgroup_id_y 0
		.amdhsa_system_sgpr_workgroup_id_z 0
		.amdhsa_system_sgpr_workgroup_info 0
		.amdhsa_system_vgpr_workitem_id 0
		.amdhsa_next_free_vgpr 22
		.amdhsa_next_free_sgpr 15
		.amdhsa_accum_offset 24
		.amdhsa_reserve_vcc 1
		.amdhsa_float_round_mode_32 0
		.amdhsa_float_round_mode_16_64 0
		.amdhsa_float_denorm_mode_32 3
		.amdhsa_float_denorm_mode_16_64 3
		.amdhsa_dx10_clamp 1
		.amdhsa_ieee_mode 1
		.amdhsa_fp16_overflow 0
		.amdhsa_tg_split 0
		.amdhsa_exception_fp_ieee_invalid_op 0
		.amdhsa_exception_fp_denorm_src 0
		.amdhsa_exception_fp_ieee_div_zero 0
		.amdhsa_exception_fp_ieee_overflow 0
		.amdhsa_exception_fp_ieee_underflow 0
		.amdhsa_exception_fp_ieee_inexact 0
		.amdhsa_exception_int_div_zero 0
	.end_amdhsa_kernel
	.section	.text._ZN9rocsparseL16csr2dense_kernelILi16ELi64Ell21rocsparse_complex_numIdEEEviT2_S3_PKT3_PKT1_PKS3_PS4_l16rocsparse_order_,"axG",@progbits,_ZN9rocsparseL16csr2dense_kernelILi16ELi64Ell21rocsparse_complex_numIdEEEviT2_S3_PKT3_PKT1_PKS3_PS4_l16rocsparse_order_,comdat
.Lfunc_end211:
	.size	_ZN9rocsparseL16csr2dense_kernelILi16ELi64Ell21rocsparse_complex_numIdEEEviT2_S3_PKT3_PKT1_PKS3_PS4_l16rocsparse_order_, .Lfunc_end211-_ZN9rocsparseL16csr2dense_kernelILi16ELi64Ell21rocsparse_complex_numIdEEEviT2_S3_PKT3_PKT1_PKS3_PS4_l16rocsparse_order_
                                        ; -- End function
	.set _ZN9rocsparseL16csr2dense_kernelILi16ELi64Ell21rocsparse_complex_numIdEEEviT2_S3_PKT3_PKT1_PKS3_PS4_l16rocsparse_order_.num_vgpr, 22
	.set _ZN9rocsparseL16csr2dense_kernelILi16ELi64Ell21rocsparse_complex_numIdEEEviT2_S3_PKT3_PKT1_PKS3_PS4_l16rocsparse_order_.num_agpr, 0
	.set _ZN9rocsparseL16csr2dense_kernelILi16ELi64Ell21rocsparse_complex_numIdEEEviT2_S3_PKT3_PKT1_PKS3_PS4_l16rocsparse_order_.numbered_sgpr, 15
	.set _ZN9rocsparseL16csr2dense_kernelILi16ELi64Ell21rocsparse_complex_numIdEEEviT2_S3_PKT3_PKT1_PKS3_PS4_l16rocsparse_order_.num_named_barrier, 0
	.set _ZN9rocsparseL16csr2dense_kernelILi16ELi64Ell21rocsparse_complex_numIdEEEviT2_S3_PKT3_PKT1_PKS3_PS4_l16rocsparse_order_.private_seg_size, 0
	.set _ZN9rocsparseL16csr2dense_kernelILi16ELi64Ell21rocsparse_complex_numIdEEEviT2_S3_PKT3_PKT1_PKS3_PS4_l16rocsparse_order_.uses_vcc, 1
	.set _ZN9rocsparseL16csr2dense_kernelILi16ELi64Ell21rocsparse_complex_numIdEEEviT2_S3_PKT3_PKT1_PKS3_PS4_l16rocsparse_order_.uses_flat_scratch, 0
	.set _ZN9rocsparseL16csr2dense_kernelILi16ELi64Ell21rocsparse_complex_numIdEEEviT2_S3_PKT3_PKT1_PKS3_PS4_l16rocsparse_order_.has_dyn_sized_stack, 0
	.set _ZN9rocsparseL16csr2dense_kernelILi16ELi64Ell21rocsparse_complex_numIdEEEviT2_S3_PKT3_PKT1_PKS3_PS4_l16rocsparse_order_.has_recursion, 0
	.set _ZN9rocsparseL16csr2dense_kernelILi16ELi64Ell21rocsparse_complex_numIdEEEviT2_S3_PKT3_PKT1_PKS3_PS4_l16rocsparse_order_.has_indirect_call, 0
	.section	.AMDGPU.csdata,"",@progbits
; Kernel info:
; codeLenInByte = 444
; TotalNumSgprs: 21
; NumVgprs: 22
; NumAgprs: 0
; TotalNumVgprs: 22
; ScratchSize: 0
; MemoryBound: 0
; FloatMode: 240
; IeeeMode: 1
; LDSByteSize: 0 bytes/workgroup (compile time only)
; SGPRBlocks: 2
; VGPRBlocks: 2
; NumSGPRsForWavesPerEU: 21
; NumVGPRsForWavesPerEU: 22
; AccumOffset: 24
; Occupancy: 8
; WaveLimiterHint : 0
; COMPUTE_PGM_RSRC2:SCRATCH_EN: 0
; COMPUTE_PGM_RSRC2:USER_SGPR: 2
; COMPUTE_PGM_RSRC2:TRAP_HANDLER: 0
; COMPUTE_PGM_RSRC2:TGID_X_EN: 1
; COMPUTE_PGM_RSRC2:TGID_Y_EN: 0
; COMPUTE_PGM_RSRC2:TGID_Z_EN: 0
; COMPUTE_PGM_RSRC2:TIDIG_COMP_CNT: 0
; COMPUTE_PGM_RSRC3_GFX90A:ACCUM_OFFSET: 5
; COMPUTE_PGM_RSRC3_GFX90A:TG_SPLIT: 0
	.section	.text._ZN9rocsparseL16csc2dense_kernelILi16ELi32Ell21rocsparse_complex_numIdEEEviT2_S3_PKT3_PKT1_PKS3_PS4_l16rocsparse_order_,"axG",@progbits,_ZN9rocsparseL16csc2dense_kernelILi16ELi32Ell21rocsparse_complex_numIdEEEviT2_S3_PKT3_PKT1_PKS3_PS4_l16rocsparse_order_,comdat
	.globl	_ZN9rocsparseL16csc2dense_kernelILi16ELi32Ell21rocsparse_complex_numIdEEEviT2_S3_PKT3_PKT1_PKS3_PS4_l16rocsparse_order_ ; -- Begin function _ZN9rocsparseL16csc2dense_kernelILi16ELi32Ell21rocsparse_complex_numIdEEEviT2_S3_PKT3_PKT1_PKS3_PS4_l16rocsparse_order_
	.p2align	8
	.type	_ZN9rocsparseL16csc2dense_kernelILi16ELi32Ell21rocsparse_complex_numIdEEEviT2_S3_PKT3_PKT1_PKS3_PS4_l16rocsparse_order_,@function
_ZN9rocsparseL16csc2dense_kernelILi16ELi32Ell21rocsparse_complex_numIdEEEviT2_S3_PKT3_PKT1_PKS3_PS4_l16rocsparse_order_: ; @_ZN9rocsparseL16csc2dense_kernelILi16ELi32Ell21rocsparse_complex_numIdEEEviT2_S3_PKT3_PKT1_PKS3_PS4_l16rocsparse_order_
; %bb.0:
	s_load_dwordx2 s[4:5], s[0:1], 0x10
	v_lshrrev_b32_e32 v1, 5, v0
	v_lshl_or_b32 v8, s2, 4, v1
	v_mov_b32_e32 v1, 0
	v_mov_b32_e32 v9, v1
	s_waitcnt lgkmcnt(0)
	v_cmp_gt_i64_e32 vcc, s[4:5], v[8:9]
	s_and_saveexec_b64 s[2:3], vcc
	s_cbranch_execz .LBB212_8
; %bb.1:
	s_load_dwordx2 s[2:3], s[0:1], 0x20
	v_and_b32_e32 v0, 31, v0
	s_waitcnt lgkmcnt(0)
	v_lshl_add_u64 v[2:3], v[8:9], 3, s[2:3]
	global_load_dwordx4 v[2:5], v[2:3], off
	s_waitcnt vmcnt(0)
	v_sub_co_u32_e32 v4, vcc, v4, v2
	s_nop 1
	v_subb_co_u32_e32 v5, vcc, v5, v3, vcc
	v_cmp_gt_i64_e32 vcc, v[4:5], v[0:1]
	s_and_b64 exec, exec, vcc
	s_cbranch_execz .LBB212_8
; %bb.2:
	s_load_dword s14, s[0:1], 0x0
	s_load_dwordx4 s[8:11], s[0:1], 0x28
	s_load_dword s4, s[0:1], 0x40
	s_load_dwordx2 s[6:7], s[0:1], 0x18
	s_load_dwordx2 s[2:3], s[0:1], 0x38
	s_waitcnt lgkmcnt(0)
	s_ashr_i32 s12, s14, 31
	v_lshl_add_u64 v[6:7], v[8:9], 4, s[10:11]
	v_lshl_add_u64 v[2:3], v[2:3], 0, v[0:1]
	s_cmp_lg_u32 s4, 1
	v_mad_u64_u32 v[10:11], s[0:1], s2, v8, 0
	v_mov_b32_e32 v12, v11
	v_mad_u64_u32 v[8:9], s[0:1], s3, v8, v[12:13]
	v_mov_b32_e32 v11, v8
	v_lshl_add_u64 v[8:9], v[10:11], 4, s[10:11]
	v_mov_b32_e32 v11, s12
	v_subrev_co_u32_e32 v10, vcc, s14, v2
	s_cselect_b64 s[4:5], -1, 0
	s_nop 0
	v_subb_co_u32_e32 v11, vcc, v3, v11, vcc
	v_lshl_add_u64 v[2:3], v[10:11], 3, s[8:9]
	v_lshl_add_u64 v[10:11], v[10:11], 4, s[6:7]
	s_mov_b64 s[6:7], 0
	v_mov_b32_e32 v16, s12
	s_mov_b64 s[8:9], 0x100
	s_mov_b64 s[10:11], 0x200
	s_branch .LBB212_4
.LBB212_3:                              ;   in Loop: Header=BB212_4 Depth=1
	global_load_dwordx4 v[18:21], v[10:11], off
	v_lshl_add_u64 v[0:1], v[0:1], 0, 32
	v_cmp_ge_i64_e32 vcc, v[0:1], v[4:5]
	v_lshl_add_u64 v[2:3], v[2:3], 0, s[8:9]
	s_or_b64 s[6:7], vcc, s[6:7]
	v_lshl_add_u64 v[10:11], v[10:11], 0, s[10:11]
	s_waitcnt vmcnt(0)
	global_store_dwordx4 v[12:13], v[18:21], off
	s_andn2_b64 exec, exec, s[6:7]
	s_cbranch_execz .LBB212_8
.LBB212_4:                              ; =>This Inner Loop Header: Depth=1
	global_load_dwordx2 v[14:15], v[2:3], off
	s_mov_b64 s[12:13], -1
	s_and_b64 vcc, exec, s[4:5]
                                        ; implicit-def: $vgpr12_vgpr13
	s_waitcnt vmcnt(0)
	v_subrev_co_u32_e64 v14, s[0:1], s14, v14
	s_nop 1
	v_subb_co_u32_e64 v15, s[0:1], v15, v16, s[0:1]
	s_cbranch_vccz .LBB212_6
; %bb.5:                                ;   in Loop: Header=BB212_4 Depth=1
	v_mul_lo_u32 v17, v15, s2
	v_mul_lo_u32 v18, v14, s3
	v_mad_u64_u32 v[12:13], s[0:1], v14, s2, 0
	v_add3_u32 v13, v13, v18, v17
	v_lshl_add_u64 v[12:13], v[12:13], 4, v[6:7]
	s_mov_b64 s[12:13], 0
.LBB212_6:                              ;   in Loop: Header=BB212_4 Depth=1
	s_andn2_b64 vcc, exec, s[12:13]
	s_cbranch_vccnz .LBB212_3
; %bb.7:                                ;   in Loop: Header=BB212_4 Depth=1
	v_lshl_add_u64 v[12:13], v[14:15], 4, v[8:9]
	s_branch .LBB212_3
.LBB212_8:
	s_endpgm
	.section	.rodata,"a",@progbits
	.p2align	6, 0x0
	.amdhsa_kernel _ZN9rocsparseL16csc2dense_kernelILi16ELi32Ell21rocsparse_complex_numIdEEEviT2_S3_PKT3_PKT1_PKS3_PS4_l16rocsparse_order_
		.amdhsa_group_segment_fixed_size 0
		.amdhsa_private_segment_fixed_size 0
		.amdhsa_kernarg_size 68
		.amdhsa_user_sgpr_count 2
		.amdhsa_user_sgpr_dispatch_ptr 0
		.amdhsa_user_sgpr_queue_ptr 0
		.amdhsa_user_sgpr_kernarg_segment_ptr 1
		.amdhsa_user_sgpr_dispatch_id 0
		.amdhsa_user_sgpr_kernarg_preload_length 0
		.amdhsa_user_sgpr_kernarg_preload_offset 0
		.amdhsa_user_sgpr_private_segment_size 0
		.amdhsa_uses_dynamic_stack 0
		.amdhsa_enable_private_segment 0
		.amdhsa_system_sgpr_workgroup_id_x 1
		.amdhsa_system_sgpr_workgroup_id_y 0
		.amdhsa_system_sgpr_workgroup_id_z 0
		.amdhsa_system_sgpr_workgroup_info 0
		.amdhsa_system_vgpr_workitem_id 0
		.amdhsa_next_free_vgpr 22
		.amdhsa_next_free_sgpr 15
		.amdhsa_accum_offset 24
		.amdhsa_reserve_vcc 1
		.amdhsa_float_round_mode_32 0
		.amdhsa_float_round_mode_16_64 0
		.amdhsa_float_denorm_mode_32 3
		.amdhsa_float_denorm_mode_16_64 3
		.amdhsa_dx10_clamp 1
		.amdhsa_ieee_mode 1
		.amdhsa_fp16_overflow 0
		.amdhsa_tg_split 0
		.amdhsa_exception_fp_ieee_invalid_op 0
		.amdhsa_exception_fp_denorm_src 0
		.amdhsa_exception_fp_ieee_div_zero 0
		.amdhsa_exception_fp_ieee_overflow 0
		.amdhsa_exception_fp_ieee_underflow 0
		.amdhsa_exception_fp_ieee_inexact 0
		.amdhsa_exception_int_div_zero 0
	.end_amdhsa_kernel
	.section	.text._ZN9rocsparseL16csc2dense_kernelILi16ELi32Ell21rocsparse_complex_numIdEEEviT2_S3_PKT3_PKT1_PKS3_PS4_l16rocsparse_order_,"axG",@progbits,_ZN9rocsparseL16csc2dense_kernelILi16ELi32Ell21rocsparse_complex_numIdEEEviT2_S3_PKT3_PKT1_PKS3_PS4_l16rocsparse_order_,comdat
.Lfunc_end212:
	.size	_ZN9rocsparseL16csc2dense_kernelILi16ELi32Ell21rocsparse_complex_numIdEEEviT2_S3_PKT3_PKT1_PKS3_PS4_l16rocsparse_order_, .Lfunc_end212-_ZN9rocsparseL16csc2dense_kernelILi16ELi32Ell21rocsparse_complex_numIdEEEviT2_S3_PKT3_PKT1_PKS3_PS4_l16rocsparse_order_
                                        ; -- End function
	.set _ZN9rocsparseL16csc2dense_kernelILi16ELi32Ell21rocsparse_complex_numIdEEEviT2_S3_PKT3_PKT1_PKS3_PS4_l16rocsparse_order_.num_vgpr, 22
	.set _ZN9rocsparseL16csc2dense_kernelILi16ELi32Ell21rocsparse_complex_numIdEEEviT2_S3_PKT3_PKT1_PKS3_PS4_l16rocsparse_order_.num_agpr, 0
	.set _ZN9rocsparseL16csc2dense_kernelILi16ELi32Ell21rocsparse_complex_numIdEEEviT2_S3_PKT3_PKT1_PKS3_PS4_l16rocsparse_order_.numbered_sgpr, 15
	.set _ZN9rocsparseL16csc2dense_kernelILi16ELi32Ell21rocsparse_complex_numIdEEEviT2_S3_PKT3_PKT1_PKS3_PS4_l16rocsparse_order_.num_named_barrier, 0
	.set _ZN9rocsparseL16csc2dense_kernelILi16ELi32Ell21rocsparse_complex_numIdEEEviT2_S3_PKT3_PKT1_PKS3_PS4_l16rocsparse_order_.private_seg_size, 0
	.set _ZN9rocsparseL16csc2dense_kernelILi16ELi32Ell21rocsparse_complex_numIdEEEviT2_S3_PKT3_PKT1_PKS3_PS4_l16rocsparse_order_.uses_vcc, 1
	.set _ZN9rocsparseL16csc2dense_kernelILi16ELi32Ell21rocsparse_complex_numIdEEEviT2_S3_PKT3_PKT1_PKS3_PS4_l16rocsparse_order_.uses_flat_scratch, 0
	.set _ZN9rocsparseL16csc2dense_kernelILi16ELi32Ell21rocsparse_complex_numIdEEEviT2_S3_PKT3_PKT1_PKS3_PS4_l16rocsparse_order_.has_dyn_sized_stack, 0
	.set _ZN9rocsparseL16csc2dense_kernelILi16ELi32Ell21rocsparse_complex_numIdEEEviT2_S3_PKT3_PKT1_PKS3_PS4_l16rocsparse_order_.has_recursion, 0
	.set _ZN9rocsparseL16csc2dense_kernelILi16ELi32Ell21rocsparse_complex_numIdEEEviT2_S3_PKT3_PKT1_PKS3_PS4_l16rocsparse_order_.has_indirect_call, 0
	.section	.AMDGPU.csdata,"",@progbits
; Kernel info:
; codeLenInByte = 440
; TotalNumSgprs: 21
; NumVgprs: 22
; NumAgprs: 0
; TotalNumVgprs: 22
; ScratchSize: 0
; MemoryBound: 0
; FloatMode: 240
; IeeeMode: 1
; LDSByteSize: 0 bytes/workgroup (compile time only)
; SGPRBlocks: 2
; VGPRBlocks: 2
; NumSGPRsForWavesPerEU: 21
; NumVGPRsForWavesPerEU: 22
; AccumOffset: 24
; Occupancy: 8
; WaveLimiterHint : 0
; COMPUTE_PGM_RSRC2:SCRATCH_EN: 0
; COMPUTE_PGM_RSRC2:USER_SGPR: 2
; COMPUTE_PGM_RSRC2:TRAP_HANDLER: 0
; COMPUTE_PGM_RSRC2:TGID_X_EN: 1
; COMPUTE_PGM_RSRC2:TGID_Y_EN: 0
; COMPUTE_PGM_RSRC2:TGID_Z_EN: 0
; COMPUTE_PGM_RSRC2:TIDIG_COMP_CNT: 0
; COMPUTE_PGM_RSRC3_GFX90A:ACCUM_OFFSET: 5
; COMPUTE_PGM_RSRC3_GFX90A:TG_SPLIT: 0
	.section	.text._ZN9rocsparseL16csc2dense_kernelILi16ELi64Ell21rocsparse_complex_numIdEEEviT2_S3_PKT3_PKT1_PKS3_PS4_l16rocsparse_order_,"axG",@progbits,_ZN9rocsparseL16csc2dense_kernelILi16ELi64Ell21rocsparse_complex_numIdEEEviT2_S3_PKT3_PKT1_PKS3_PS4_l16rocsparse_order_,comdat
	.globl	_ZN9rocsparseL16csc2dense_kernelILi16ELi64Ell21rocsparse_complex_numIdEEEviT2_S3_PKT3_PKT1_PKS3_PS4_l16rocsparse_order_ ; -- Begin function _ZN9rocsparseL16csc2dense_kernelILi16ELi64Ell21rocsparse_complex_numIdEEEviT2_S3_PKT3_PKT1_PKS3_PS4_l16rocsparse_order_
	.p2align	8
	.type	_ZN9rocsparseL16csc2dense_kernelILi16ELi64Ell21rocsparse_complex_numIdEEEviT2_S3_PKT3_PKT1_PKS3_PS4_l16rocsparse_order_,@function
_ZN9rocsparseL16csc2dense_kernelILi16ELi64Ell21rocsparse_complex_numIdEEEviT2_S3_PKT3_PKT1_PKS3_PS4_l16rocsparse_order_: ; @_ZN9rocsparseL16csc2dense_kernelILi16ELi64Ell21rocsparse_complex_numIdEEEviT2_S3_PKT3_PKT1_PKS3_PS4_l16rocsparse_order_
; %bb.0:
	s_load_dwordx2 s[4:5], s[0:1], 0x10
	v_lshrrev_b32_e32 v1, 6, v0
	v_lshl_or_b32 v8, s2, 4, v1
	v_mov_b32_e32 v1, 0
	v_mov_b32_e32 v9, v1
	s_waitcnt lgkmcnt(0)
	v_cmp_gt_i64_e32 vcc, s[4:5], v[8:9]
	s_and_saveexec_b64 s[2:3], vcc
	s_cbranch_execz .LBB213_8
; %bb.1:
	s_load_dwordx2 s[2:3], s[0:1], 0x20
	v_and_b32_e32 v0, 63, v0
	s_waitcnt lgkmcnt(0)
	v_lshl_add_u64 v[2:3], v[8:9], 3, s[2:3]
	global_load_dwordx4 v[2:5], v[2:3], off
	s_waitcnt vmcnt(0)
	v_sub_co_u32_e32 v4, vcc, v4, v2
	s_nop 1
	v_subb_co_u32_e32 v5, vcc, v5, v3, vcc
	v_cmp_gt_i64_e32 vcc, v[4:5], v[0:1]
	s_and_b64 exec, exec, vcc
	s_cbranch_execz .LBB213_8
; %bb.2:
	s_load_dword s14, s[0:1], 0x0
	s_load_dwordx4 s[8:11], s[0:1], 0x28
	s_load_dword s4, s[0:1], 0x40
	s_load_dwordx2 s[6:7], s[0:1], 0x18
	s_load_dwordx2 s[2:3], s[0:1], 0x38
	s_waitcnt lgkmcnt(0)
	s_ashr_i32 s12, s14, 31
	v_lshl_add_u64 v[6:7], v[8:9], 4, s[10:11]
	v_lshl_add_u64 v[2:3], v[2:3], 0, v[0:1]
	s_cmp_lg_u32 s4, 1
	v_mad_u64_u32 v[10:11], s[0:1], s2, v8, 0
	v_mov_b32_e32 v12, v11
	v_mad_u64_u32 v[8:9], s[0:1], s3, v8, v[12:13]
	v_mov_b32_e32 v11, v8
	v_lshl_add_u64 v[8:9], v[10:11], 4, s[10:11]
	v_mov_b32_e32 v11, s12
	v_subrev_co_u32_e32 v10, vcc, s14, v2
	s_cselect_b64 s[4:5], -1, 0
	s_nop 0
	v_subb_co_u32_e32 v11, vcc, v3, v11, vcc
	v_lshl_add_u64 v[2:3], v[10:11], 3, s[8:9]
	v_lshl_add_u64 v[10:11], v[10:11], 4, s[6:7]
	s_mov_b64 s[6:7], 0
	v_mov_b32_e32 v16, s12
	s_mov_b64 s[8:9], 0x200
	s_mov_b64 s[10:11], 0x400
	s_branch .LBB213_4
.LBB213_3:                              ;   in Loop: Header=BB213_4 Depth=1
	global_load_dwordx4 v[18:21], v[10:11], off
	v_lshl_add_u64 v[0:1], v[0:1], 0, 64
	v_cmp_ge_i64_e32 vcc, v[0:1], v[4:5]
	v_lshl_add_u64 v[2:3], v[2:3], 0, s[8:9]
	s_or_b64 s[6:7], vcc, s[6:7]
	v_lshl_add_u64 v[10:11], v[10:11], 0, s[10:11]
	s_waitcnt vmcnt(0)
	global_store_dwordx4 v[12:13], v[18:21], off
	s_andn2_b64 exec, exec, s[6:7]
	s_cbranch_execz .LBB213_8
.LBB213_4:                              ; =>This Inner Loop Header: Depth=1
	global_load_dwordx2 v[14:15], v[2:3], off
	s_mov_b64 s[12:13], -1
	s_and_b64 vcc, exec, s[4:5]
                                        ; implicit-def: $vgpr12_vgpr13
	s_waitcnt vmcnt(0)
	v_subrev_co_u32_e64 v14, s[0:1], s14, v14
	s_nop 1
	v_subb_co_u32_e64 v15, s[0:1], v15, v16, s[0:1]
	s_cbranch_vccz .LBB213_6
; %bb.5:                                ;   in Loop: Header=BB213_4 Depth=1
	v_mul_lo_u32 v17, v15, s2
	v_mul_lo_u32 v18, v14, s3
	v_mad_u64_u32 v[12:13], s[0:1], v14, s2, 0
	v_add3_u32 v13, v13, v18, v17
	v_lshl_add_u64 v[12:13], v[12:13], 4, v[6:7]
	s_mov_b64 s[12:13], 0
.LBB213_6:                              ;   in Loop: Header=BB213_4 Depth=1
	s_andn2_b64 vcc, exec, s[12:13]
	s_cbranch_vccnz .LBB213_3
; %bb.7:                                ;   in Loop: Header=BB213_4 Depth=1
	v_lshl_add_u64 v[12:13], v[14:15], 4, v[8:9]
	s_branch .LBB213_3
.LBB213_8:
	s_endpgm
	.section	.rodata,"a",@progbits
	.p2align	6, 0x0
	.amdhsa_kernel _ZN9rocsparseL16csc2dense_kernelILi16ELi64Ell21rocsparse_complex_numIdEEEviT2_S3_PKT3_PKT1_PKS3_PS4_l16rocsparse_order_
		.amdhsa_group_segment_fixed_size 0
		.amdhsa_private_segment_fixed_size 0
		.amdhsa_kernarg_size 68
		.amdhsa_user_sgpr_count 2
		.amdhsa_user_sgpr_dispatch_ptr 0
		.amdhsa_user_sgpr_queue_ptr 0
		.amdhsa_user_sgpr_kernarg_segment_ptr 1
		.amdhsa_user_sgpr_dispatch_id 0
		.amdhsa_user_sgpr_kernarg_preload_length 0
		.amdhsa_user_sgpr_kernarg_preload_offset 0
		.amdhsa_user_sgpr_private_segment_size 0
		.amdhsa_uses_dynamic_stack 0
		.amdhsa_enable_private_segment 0
		.amdhsa_system_sgpr_workgroup_id_x 1
		.amdhsa_system_sgpr_workgroup_id_y 0
		.amdhsa_system_sgpr_workgroup_id_z 0
		.amdhsa_system_sgpr_workgroup_info 0
		.amdhsa_system_vgpr_workitem_id 0
		.amdhsa_next_free_vgpr 22
		.amdhsa_next_free_sgpr 15
		.amdhsa_accum_offset 24
		.amdhsa_reserve_vcc 1
		.amdhsa_float_round_mode_32 0
		.amdhsa_float_round_mode_16_64 0
		.amdhsa_float_denorm_mode_32 3
		.amdhsa_float_denorm_mode_16_64 3
		.amdhsa_dx10_clamp 1
		.amdhsa_ieee_mode 1
		.amdhsa_fp16_overflow 0
		.amdhsa_tg_split 0
		.amdhsa_exception_fp_ieee_invalid_op 0
		.amdhsa_exception_fp_denorm_src 0
		.amdhsa_exception_fp_ieee_div_zero 0
		.amdhsa_exception_fp_ieee_overflow 0
		.amdhsa_exception_fp_ieee_underflow 0
		.amdhsa_exception_fp_ieee_inexact 0
		.amdhsa_exception_int_div_zero 0
	.end_amdhsa_kernel
	.section	.text._ZN9rocsparseL16csc2dense_kernelILi16ELi64Ell21rocsparse_complex_numIdEEEviT2_S3_PKT3_PKT1_PKS3_PS4_l16rocsparse_order_,"axG",@progbits,_ZN9rocsparseL16csc2dense_kernelILi16ELi64Ell21rocsparse_complex_numIdEEEviT2_S3_PKT3_PKT1_PKS3_PS4_l16rocsparse_order_,comdat
.Lfunc_end213:
	.size	_ZN9rocsparseL16csc2dense_kernelILi16ELi64Ell21rocsparse_complex_numIdEEEviT2_S3_PKT3_PKT1_PKS3_PS4_l16rocsparse_order_, .Lfunc_end213-_ZN9rocsparseL16csc2dense_kernelILi16ELi64Ell21rocsparse_complex_numIdEEEviT2_S3_PKT3_PKT1_PKS3_PS4_l16rocsparse_order_
                                        ; -- End function
	.set _ZN9rocsparseL16csc2dense_kernelILi16ELi64Ell21rocsparse_complex_numIdEEEviT2_S3_PKT3_PKT1_PKS3_PS4_l16rocsparse_order_.num_vgpr, 22
	.set _ZN9rocsparseL16csc2dense_kernelILi16ELi64Ell21rocsparse_complex_numIdEEEviT2_S3_PKT3_PKT1_PKS3_PS4_l16rocsparse_order_.num_agpr, 0
	.set _ZN9rocsparseL16csc2dense_kernelILi16ELi64Ell21rocsparse_complex_numIdEEEviT2_S3_PKT3_PKT1_PKS3_PS4_l16rocsparse_order_.numbered_sgpr, 15
	.set _ZN9rocsparseL16csc2dense_kernelILi16ELi64Ell21rocsparse_complex_numIdEEEviT2_S3_PKT3_PKT1_PKS3_PS4_l16rocsparse_order_.num_named_barrier, 0
	.set _ZN9rocsparseL16csc2dense_kernelILi16ELi64Ell21rocsparse_complex_numIdEEEviT2_S3_PKT3_PKT1_PKS3_PS4_l16rocsparse_order_.private_seg_size, 0
	.set _ZN9rocsparseL16csc2dense_kernelILi16ELi64Ell21rocsparse_complex_numIdEEEviT2_S3_PKT3_PKT1_PKS3_PS4_l16rocsparse_order_.uses_vcc, 1
	.set _ZN9rocsparseL16csc2dense_kernelILi16ELi64Ell21rocsparse_complex_numIdEEEviT2_S3_PKT3_PKT1_PKS3_PS4_l16rocsparse_order_.uses_flat_scratch, 0
	.set _ZN9rocsparseL16csc2dense_kernelILi16ELi64Ell21rocsparse_complex_numIdEEEviT2_S3_PKT3_PKT1_PKS3_PS4_l16rocsparse_order_.has_dyn_sized_stack, 0
	.set _ZN9rocsparseL16csc2dense_kernelILi16ELi64Ell21rocsparse_complex_numIdEEEviT2_S3_PKT3_PKT1_PKS3_PS4_l16rocsparse_order_.has_recursion, 0
	.set _ZN9rocsparseL16csc2dense_kernelILi16ELi64Ell21rocsparse_complex_numIdEEEviT2_S3_PKT3_PKT1_PKS3_PS4_l16rocsparse_order_.has_indirect_call, 0
	.section	.AMDGPU.csdata,"",@progbits
; Kernel info:
; codeLenInByte = 440
; TotalNumSgprs: 21
; NumVgprs: 22
; NumAgprs: 0
; TotalNumVgprs: 22
; ScratchSize: 0
; MemoryBound: 0
; FloatMode: 240
; IeeeMode: 1
; LDSByteSize: 0 bytes/workgroup (compile time only)
; SGPRBlocks: 2
; VGPRBlocks: 2
; NumSGPRsForWavesPerEU: 21
; NumVGPRsForWavesPerEU: 22
; AccumOffset: 24
; Occupancy: 8
; WaveLimiterHint : 0
; COMPUTE_PGM_RSRC2:SCRATCH_EN: 0
; COMPUTE_PGM_RSRC2:USER_SGPR: 2
; COMPUTE_PGM_RSRC2:TRAP_HANDLER: 0
; COMPUTE_PGM_RSRC2:TGID_X_EN: 1
; COMPUTE_PGM_RSRC2:TGID_Y_EN: 0
; COMPUTE_PGM_RSRC2:TGID_Z_EN: 0
; COMPUTE_PGM_RSRC2:TIDIG_COMP_CNT: 0
; COMPUTE_PGM_RSRC3_GFX90A:ACCUM_OFFSET: 5
; COMPUTE_PGM_RSRC3_GFX90A:TG_SPLIT: 0
	.section	.text._ZN9rocsparseL23sddmm_csx_sample_kernelILi512ELi64EL20rocsparse_direction_1E21rocsparse_complex_numIdEllS3_EEvT4_S4_T3_PKT5_S4_PS6_PKS5_PKS4_21rocsparse_index_base_,"axG",@progbits,_ZN9rocsparseL23sddmm_csx_sample_kernelILi512ELi64EL20rocsparse_direction_1E21rocsparse_complex_numIdEllS3_EEvT4_S4_T3_PKT5_S4_PS6_PKS5_PKS4_21rocsparse_index_base_,comdat
	.globl	_ZN9rocsparseL23sddmm_csx_sample_kernelILi512ELi64EL20rocsparse_direction_1E21rocsparse_complex_numIdEllS3_EEvT4_S4_T3_PKT5_S4_PS6_PKS5_PKS4_21rocsparse_index_base_ ; -- Begin function _ZN9rocsparseL23sddmm_csx_sample_kernelILi512ELi64EL20rocsparse_direction_1E21rocsparse_complex_numIdEllS3_EEvT4_S4_T3_PKT5_S4_PS6_PKS5_PKS4_21rocsparse_index_base_
	.p2align	8
	.type	_ZN9rocsparseL23sddmm_csx_sample_kernelILi512ELi64EL20rocsparse_direction_1E21rocsparse_complex_numIdEllS3_EEvT4_S4_T3_PKT5_S4_PS6_PKS5_PKS4_21rocsparse_index_base_,@function
_ZN9rocsparseL23sddmm_csx_sample_kernelILi512ELi64EL20rocsparse_direction_1E21rocsparse_complex_numIdEllS3_EEvT4_S4_T3_PKT5_S4_PS6_PKS5_PKS4_21rocsparse_index_base_: ; @_ZN9rocsparseL23sddmm_csx_sample_kernelILi512ELi64EL20rocsparse_direction_1E21rocsparse_complex_numIdEllS3_EEvT4_S4_T3_PKT5_S4_PS6_PKS5_PKS4_21rocsparse_index_base_
; %bb.0:
	s_load_dwordx2 s[4:5], s[0:1], 0x8
	v_lshrrev_b32_e32 v1, 6, v0
	v_lshl_or_b32 v4, s2, 3, v1
	v_mov_b32_e32 v5, 0
	s_waitcnt lgkmcnt(0)
	v_cmp_gt_i64_e32 vcc, s[4:5], v[4:5]
	s_and_saveexec_b64 s[2:3], vcc
	s_cbranch_execz .LBB214_4
; %bb.1:
	s_load_dwordx2 s[2:3], s[0:1], 0x30
	s_load_dword s6, s[0:1], 0x40
	v_add_u32_e32 v2, 1, v4
	v_mov_b32_e32 v3, v5
	v_and_b32_e32 v0, 63, v0
	s_waitcnt lgkmcnt(0)
	v_lshl_add_u64 v[6:7], v[4:5], 3, s[2:3]
	v_lshl_add_u64 v[2:3], v[2:3], 3, s[2:3]
	global_load_dwordx2 v[6:7], v[6:7], off
	v_subrev_co_u32_e32 v0, vcc, s6, v0
	global_load_dwordx2 v[2:3], v[2:3], off
	s_nop 0
	v_subb_co_u32_e64 v1, s[2:3], 0, 0, vcc
	s_waitcnt vmcnt(1)
	v_lshl_add_u64 v[0:1], v[0:1], 0, v[6:7]
	s_waitcnt vmcnt(0)
	v_subrev_co_u32_e32 v2, vcc, s6, v2
	s_nop 1
	v_subbrev_co_u32_e32 v3, vcc, 0, v3, vcc
	v_cmp_lt_i64_e32 vcc, v[0:1], v[2:3]
	s_and_b64 exec, exec, vcc
	s_cbranch_execz .LBB214_4
; %bb.2:
	s_load_dwordx4 s[8:11], s[0:1], 0x18
	s_load_dwordx2 s[2:3], s[0:1], 0x28
	s_load_dwordx2 s[4:5], s[0:1], 0x38
	s_waitcnt lgkmcnt(0)
	v_mad_u64_u32 v[6:7], s[0:1], s10, v4, 0
	v_mov_b32_e32 v8, v7
	v_mad_u64_u32 v[4:5], s[0:1], s11, v4, v[8:9]
	v_mov_b32_e32 v7, v4
	v_lshl_add_u64 v[4:5], v[6:7], 4, s[8:9]
	v_lshl_add_u64 v[6:7], v[0:1], 4, s[2:3]
	;; [unrolled: 1-line block ×3, first 2 shown]
	s_mov_b64 s[0:1], 0
	s_mov_b64 s[2:3], 0x400
	;; [unrolled: 1-line block ×3, first 2 shown]
.LBB214_3:                              ; =>This Inner Loop Header: Depth=1
	global_load_dwordx2 v[10:11], v[8:9], off
	v_lshl_add_u64 v[0:1], v[0:1], 0, 64
	v_lshl_add_u64 v[8:9], v[8:9], 0, s[4:5]
	s_waitcnt vmcnt(0)
	v_subrev_co_u32_e32 v10, vcc, s6, v10
	s_nop 1
	v_subbrev_co_u32_e32 v11, vcc, 0, v11, vcc
	v_lshl_add_u64 v[10:11], v[10:11], 4, v[4:5]
	global_load_dwordx4 v[10:13], v[10:11], off
	v_cmp_ge_i64_e32 vcc, v[0:1], v[2:3]
	s_or_b64 s[0:1], vcc, s[0:1]
	s_waitcnt vmcnt(0)
	global_store_dwordx4 v[6:7], v[10:13], off
	v_lshl_add_u64 v[6:7], v[6:7], 0, s[2:3]
	s_andn2_b64 exec, exec, s[0:1]
	s_cbranch_execnz .LBB214_3
.LBB214_4:
	s_endpgm
	.section	.rodata,"a",@progbits
	.p2align	6, 0x0
	.amdhsa_kernel _ZN9rocsparseL23sddmm_csx_sample_kernelILi512ELi64EL20rocsparse_direction_1E21rocsparse_complex_numIdEllS3_EEvT4_S4_T3_PKT5_S4_PS6_PKS5_PKS4_21rocsparse_index_base_
		.amdhsa_group_segment_fixed_size 0
		.amdhsa_private_segment_fixed_size 0
		.amdhsa_kernarg_size 68
		.amdhsa_user_sgpr_count 2
		.amdhsa_user_sgpr_dispatch_ptr 0
		.amdhsa_user_sgpr_queue_ptr 0
		.amdhsa_user_sgpr_kernarg_segment_ptr 1
		.amdhsa_user_sgpr_dispatch_id 0
		.amdhsa_user_sgpr_kernarg_preload_length 0
		.amdhsa_user_sgpr_kernarg_preload_offset 0
		.amdhsa_user_sgpr_private_segment_size 0
		.amdhsa_uses_dynamic_stack 0
		.amdhsa_enable_private_segment 0
		.amdhsa_system_sgpr_workgroup_id_x 1
		.amdhsa_system_sgpr_workgroup_id_y 0
		.amdhsa_system_sgpr_workgroup_id_z 0
		.amdhsa_system_sgpr_workgroup_info 0
		.amdhsa_system_vgpr_workitem_id 0
		.amdhsa_next_free_vgpr 14
		.amdhsa_next_free_sgpr 12
		.amdhsa_accum_offset 16
		.amdhsa_reserve_vcc 1
		.amdhsa_float_round_mode_32 0
		.amdhsa_float_round_mode_16_64 0
		.amdhsa_float_denorm_mode_32 3
		.amdhsa_float_denorm_mode_16_64 3
		.amdhsa_dx10_clamp 1
		.amdhsa_ieee_mode 1
		.amdhsa_fp16_overflow 0
		.amdhsa_tg_split 0
		.amdhsa_exception_fp_ieee_invalid_op 0
		.amdhsa_exception_fp_denorm_src 0
		.amdhsa_exception_fp_ieee_div_zero 0
		.amdhsa_exception_fp_ieee_overflow 0
		.amdhsa_exception_fp_ieee_underflow 0
		.amdhsa_exception_fp_ieee_inexact 0
		.amdhsa_exception_int_div_zero 0
	.end_amdhsa_kernel
	.section	.text._ZN9rocsparseL23sddmm_csx_sample_kernelILi512ELi64EL20rocsparse_direction_1E21rocsparse_complex_numIdEllS3_EEvT4_S4_T3_PKT5_S4_PS6_PKS5_PKS4_21rocsparse_index_base_,"axG",@progbits,_ZN9rocsparseL23sddmm_csx_sample_kernelILi512ELi64EL20rocsparse_direction_1E21rocsparse_complex_numIdEllS3_EEvT4_S4_T3_PKT5_S4_PS6_PKS5_PKS4_21rocsparse_index_base_,comdat
.Lfunc_end214:
	.size	_ZN9rocsparseL23sddmm_csx_sample_kernelILi512ELi64EL20rocsparse_direction_1E21rocsparse_complex_numIdEllS3_EEvT4_S4_T3_PKT5_S4_PS6_PKS5_PKS4_21rocsparse_index_base_, .Lfunc_end214-_ZN9rocsparseL23sddmm_csx_sample_kernelILi512ELi64EL20rocsparse_direction_1E21rocsparse_complex_numIdEllS3_EEvT4_S4_T3_PKT5_S4_PS6_PKS5_PKS4_21rocsparse_index_base_
                                        ; -- End function
	.set _ZN9rocsparseL23sddmm_csx_sample_kernelILi512ELi64EL20rocsparse_direction_1E21rocsparse_complex_numIdEllS3_EEvT4_S4_T3_PKT5_S4_PS6_PKS5_PKS4_21rocsparse_index_base_.num_vgpr, 14
	.set _ZN9rocsparseL23sddmm_csx_sample_kernelILi512ELi64EL20rocsparse_direction_1E21rocsparse_complex_numIdEllS3_EEvT4_S4_T3_PKT5_S4_PS6_PKS5_PKS4_21rocsparse_index_base_.num_agpr, 0
	.set _ZN9rocsparseL23sddmm_csx_sample_kernelILi512ELi64EL20rocsparse_direction_1E21rocsparse_complex_numIdEllS3_EEvT4_S4_T3_PKT5_S4_PS6_PKS5_PKS4_21rocsparse_index_base_.numbered_sgpr, 12
	.set _ZN9rocsparseL23sddmm_csx_sample_kernelILi512ELi64EL20rocsparse_direction_1E21rocsparse_complex_numIdEllS3_EEvT4_S4_T3_PKT5_S4_PS6_PKS5_PKS4_21rocsparse_index_base_.num_named_barrier, 0
	.set _ZN9rocsparseL23sddmm_csx_sample_kernelILi512ELi64EL20rocsparse_direction_1E21rocsparse_complex_numIdEllS3_EEvT4_S4_T3_PKT5_S4_PS6_PKS5_PKS4_21rocsparse_index_base_.private_seg_size, 0
	.set _ZN9rocsparseL23sddmm_csx_sample_kernelILi512ELi64EL20rocsparse_direction_1E21rocsparse_complex_numIdEllS3_EEvT4_S4_T3_PKT5_S4_PS6_PKS5_PKS4_21rocsparse_index_base_.uses_vcc, 1
	.set _ZN9rocsparseL23sddmm_csx_sample_kernelILi512ELi64EL20rocsparse_direction_1E21rocsparse_complex_numIdEllS3_EEvT4_S4_T3_PKT5_S4_PS6_PKS5_PKS4_21rocsparse_index_base_.uses_flat_scratch, 0
	.set _ZN9rocsparseL23sddmm_csx_sample_kernelILi512ELi64EL20rocsparse_direction_1E21rocsparse_complex_numIdEllS3_EEvT4_S4_T3_PKT5_S4_PS6_PKS5_PKS4_21rocsparse_index_base_.has_dyn_sized_stack, 0
	.set _ZN9rocsparseL23sddmm_csx_sample_kernelILi512ELi64EL20rocsparse_direction_1E21rocsparse_complex_numIdEllS3_EEvT4_S4_T3_PKT5_S4_PS6_PKS5_PKS4_21rocsparse_index_base_.has_recursion, 0
	.set _ZN9rocsparseL23sddmm_csx_sample_kernelILi512ELi64EL20rocsparse_direction_1E21rocsparse_complex_numIdEllS3_EEvT4_S4_T3_PKT5_S4_PS6_PKS5_PKS4_21rocsparse_index_base_.has_indirect_call, 0
	.section	.AMDGPU.csdata,"",@progbits
; Kernel info:
; codeLenInByte = 352
; TotalNumSgprs: 18
; NumVgprs: 14
; NumAgprs: 0
; TotalNumVgprs: 14
; ScratchSize: 0
; MemoryBound: 0
; FloatMode: 240
; IeeeMode: 1
; LDSByteSize: 0 bytes/workgroup (compile time only)
; SGPRBlocks: 2
; VGPRBlocks: 1
; NumSGPRsForWavesPerEU: 18
; NumVGPRsForWavesPerEU: 14
; AccumOffset: 16
; Occupancy: 8
; WaveLimiterHint : 0
; COMPUTE_PGM_RSRC2:SCRATCH_EN: 0
; COMPUTE_PGM_RSRC2:USER_SGPR: 2
; COMPUTE_PGM_RSRC2:TRAP_HANDLER: 0
; COMPUTE_PGM_RSRC2:TGID_X_EN: 1
; COMPUTE_PGM_RSRC2:TGID_Y_EN: 0
; COMPUTE_PGM_RSRC2:TGID_Z_EN: 0
; COMPUTE_PGM_RSRC2:TIDIG_COMP_CNT: 0
; COMPUTE_PGM_RSRC3_GFX90A:ACCUM_OFFSET: 3
; COMPUTE_PGM_RSRC3_GFX90A:TG_SPLIT: 0
	.section	.text._ZN9rocsparseL23sddmm_csx_sample_kernelILi512ELi32EL20rocsparse_direction_1E21rocsparse_complex_numIdEllS3_EEvT4_S4_T3_PKT5_S4_PS6_PKS5_PKS4_21rocsparse_index_base_,"axG",@progbits,_ZN9rocsparseL23sddmm_csx_sample_kernelILi512ELi32EL20rocsparse_direction_1E21rocsparse_complex_numIdEllS3_EEvT4_S4_T3_PKT5_S4_PS6_PKS5_PKS4_21rocsparse_index_base_,comdat
	.globl	_ZN9rocsparseL23sddmm_csx_sample_kernelILi512ELi32EL20rocsparse_direction_1E21rocsparse_complex_numIdEllS3_EEvT4_S4_T3_PKT5_S4_PS6_PKS5_PKS4_21rocsparse_index_base_ ; -- Begin function _ZN9rocsparseL23sddmm_csx_sample_kernelILi512ELi32EL20rocsparse_direction_1E21rocsparse_complex_numIdEllS3_EEvT4_S4_T3_PKT5_S4_PS6_PKS5_PKS4_21rocsparse_index_base_
	.p2align	8
	.type	_ZN9rocsparseL23sddmm_csx_sample_kernelILi512ELi32EL20rocsparse_direction_1E21rocsparse_complex_numIdEllS3_EEvT4_S4_T3_PKT5_S4_PS6_PKS5_PKS4_21rocsparse_index_base_,@function
_ZN9rocsparseL23sddmm_csx_sample_kernelILi512ELi32EL20rocsparse_direction_1E21rocsparse_complex_numIdEllS3_EEvT4_S4_T3_PKT5_S4_PS6_PKS5_PKS4_21rocsparse_index_base_: ; @_ZN9rocsparseL23sddmm_csx_sample_kernelILi512ELi32EL20rocsparse_direction_1E21rocsparse_complex_numIdEllS3_EEvT4_S4_T3_PKT5_S4_PS6_PKS5_PKS4_21rocsparse_index_base_
; %bb.0:
	s_load_dwordx2 s[4:5], s[0:1], 0x8
	v_lshrrev_b32_e32 v1, 5, v0
	v_lshl_or_b32 v4, s2, 4, v1
	v_mov_b32_e32 v5, 0
	s_waitcnt lgkmcnt(0)
	v_cmp_gt_i64_e32 vcc, s[4:5], v[4:5]
	s_and_saveexec_b64 s[2:3], vcc
	s_cbranch_execz .LBB215_4
; %bb.1:
	s_load_dwordx2 s[2:3], s[0:1], 0x30
	s_load_dword s6, s[0:1], 0x40
	v_add_u32_e32 v2, 1, v4
	v_mov_b32_e32 v3, v5
	v_and_b32_e32 v0, 31, v0
	s_waitcnt lgkmcnt(0)
	v_lshl_add_u64 v[6:7], v[4:5], 3, s[2:3]
	v_lshl_add_u64 v[2:3], v[2:3], 3, s[2:3]
	global_load_dwordx2 v[6:7], v[6:7], off
	v_subrev_co_u32_e32 v0, vcc, s6, v0
	global_load_dwordx2 v[2:3], v[2:3], off
	s_nop 0
	v_subb_co_u32_e64 v1, s[2:3], 0, 0, vcc
	s_waitcnt vmcnt(1)
	v_lshl_add_u64 v[0:1], v[0:1], 0, v[6:7]
	s_waitcnt vmcnt(0)
	v_subrev_co_u32_e32 v2, vcc, s6, v2
	s_nop 1
	v_subbrev_co_u32_e32 v3, vcc, 0, v3, vcc
	v_cmp_lt_i64_e32 vcc, v[0:1], v[2:3]
	s_and_b64 exec, exec, vcc
	s_cbranch_execz .LBB215_4
; %bb.2:
	s_load_dwordx4 s[8:11], s[0:1], 0x18
	s_load_dwordx2 s[2:3], s[0:1], 0x28
	s_load_dwordx2 s[4:5], s[0:1], 0x38
	s_waitcnt lgkmcnt(0)
	v_mad_u64_u32 v[6:7], s[0:1], s10, v4, 0
	v_mov_b32_e32 v8, v7
	v_mad_u64_u32 v[4:5], s[0:1], s11, v4, v[8:9]
	v_mov_b32_e32 v7, v4
	v_lshl_add_u64 v[4:5], v[6:7], 4, s[8:9]
	v_lshl_add_u64 v[6:7], v[0:1], 4, s[2:3]
	;; [unrolled: 1-line block ×3, first 2 shown]
	s_mov_b64 s[0:1], 0
	s_mov_b64 s[2:3], 0x200
	;; [unrolled: 1-line block ×3, first 2 shown]
.LBB215_3:                              ; =>This Inner Loop Header: Depth=1
	global_load_dwordx2 v[10:11], v[8:9], off
	v_lshl_add_u64 v[0:1], v[0:1], 0, 32
	v_lshl_add_u64 v[8:9], v[8:9], 0, s[4:5]
	s_waitcnt vmcnt(0)
	v_subrev_co_u32_e32 v10, vcc, s6, v10
	s_nop 1
	v_subbrev_co_u32_e32 v11, vcc, 0, v11, vcc
	v_lshl_add_u64 v[10:11], v[10:11], 4, v[4:5]
	global_load_dwordx4 v[10:13], v[10:11], off
	v_cmp_ge_i64_e32 vcc, v[0:1], v[2:3]
	s_or_b64 s[0:1], vcc, s[0:1]
	s_waitcnt vmcnt(0)
	global_store_dwordx4 v[6:7], v[10:13], off
	v_lshl_add_u64 v[6:7], v[6:7], 0, s[2:3]
	s_andn2_b64 exec, exec, s[0:1]
	s_cbranch_execnz .LBB215_3
.LBB215_4:
	s_endpgm
	.section	.rodata,"a",@progbits
	.p2align	6, 0x0
	.amdhsa_kernel _ZN9rocsparseL23sddmm_csx_sample_kernelILi512ELi32EL20rocsparse_direction_1E21rocsparse_complex_numIdEllS3_EEvT4_S4_T3_PKT5_S4_PS6_PKS5_PKS4_21rocsparse_index_base_
		.amdhsa_group_segment_fixed_size 0
		.amdhsa_private_segment_fixed_size 0
		.amdhsa_kernarg_size 68
		.amdhsa_user_sgpr_count 2
		.amdhsa_user_sgpr_dispatch_ptr 0
		.amdhsa_user_sgpr_queue_ptr 0
		.amdhsa_user_sgpr_kernarg_segment_ptr 1
		.amdhsa_user_sgpr_dispatch_id 0
		.amdhsa_user_sgpr_kernarg_preload_length 0
		.amdhsa_user_sgpr_kernarg_preload_offset 0
		.amdhsa_user_sgpr_private_segment_size 0
		.amdhsa_uses_dynamic_stack 0
		.amdhsa_enable_private_segment 0
		.amdhsa_system_sgpr_workgroup_id_x 1
		.amdhsa_system_sgpr_workgroup_id_y 0
		.amdhsa_system_sgpr_workgroup_id_z 0
		.amdhsa_system_sgpr_workgroup_info 0
		.amdhsa_system_vgpr_workitem_id 0
		.amdhsa_next_free_vgpr 14
		.amdhsa_next_free_sgpr 12
		.amdhsa_accum_offset 16
		.amdhsa_reserve_vcc 1
		.amdhsa_float_round_mode_32 0
		.amdhsa_float_round_mode_16_64 0
		.amdhsa_float_denorm_mode_32 3
		.amdhsa_float_denorm_mode_16_64 3
		.amdhsa_dx10_clamp 1
		.amdhsa_ieee_mode 1
		.amdhsa_fp16_overflow 0
		.amdhsa_tg_split 0
		.amdhsa_exception_fp_ieee_invalid_op 0
		.amdhsa_exception_fp_denorm_src 0
		.amdhsa_exception_fp_ieee_div_zero 0
		.amdhsa_exception_fp_ieee_overflow 0
		.amdhsa_exception_fp_ieee_underflow 0
		.amdhsa_exception_fp_ieee_inexact 0
		.amdhsa_exception_int_div_zero 0
	.end_amdhsa_kernel
	.section	.text._ZN9rocsparseL23sddmm_csx_sample_kernelILi512ELi32EL20rocsparse_direction_1E21rocsparse_complex_numIdEllS3_EEvT4_S4_T3_PKT5_S4_PS6_PKS5_PKS4_21rocsparse_index_base_,"axG",@progbits,_ZN9rocsparseL23sddmm_csx_sample_kernelILi512ELi32EL20rocsparse_direction_1E21rocsparse_complex_numIdEllS3_EEvT4_S4_T3_PKT5_S4_PS6_PKS5_PKS4_21rocsparse_index_base_,comdat
.Lfunc_end215:
	.size	_ZN9rocsparseL23sddmm_csx_sample_kernelILi512ELi32EL20rocsparse_direction_1E21rocsparse_complex_numIdEllS3_EEvT4_S4_T3_PKT5_S4_PS6_PKS5_PKS4_21rocsparse_index_base_, .Lfunc_end215-_ZN9rocsparseL23sddmm_csx_sample_kernelILi512ELi32EL20rocsparse_direction_1E21rocsparse_complex_numIdEllS3_EEvT4_S4_T3_PKT5_S4_PS6_PKS5_PKS4_21rocsparse_index_base_
                                        ; -- End function
	.set _ZN9rocsparseL23sddmm_csx_sample_kernelILi512ELi32EL20rocsparse_direction_1E21rocsparse_complex_numIdEllS3_EEvT4_S4_T3_PKT5_S4_PS6_PKS5_PKS4_21rocsparse_index_base_.num_vgpr, 14
	.set _ZN9rocsparseL23sddmm_csx_sample_kernelILi512ELi32EL20rocsparse_direction_1E21rocsparse_complex_numIdEllS3_EEvT4_S4_T3_PKT5_S4_PS6_PKS5_PKS4_21rocsparse_index_base_.num_agpr, 0
	.set _ZN9rocsparseL23sddmm_csx_sample_kernelILi512ELi32EL20rocsparse_direction_1E21rocsparse_complex_numIdEllS3_EEvT4_S4_T3_PKT5_S4_PS6_PKS5_PKS4_21rocsparse_index_base_.numbered_sgpr, 12
	.set _ZN9rocsparseL23sddmm_csx_sample_kernelILi512ELi32EL20rocsparse_direction_1E21rocsparse_complex_numIdEllS3_EEvT4_S4_T3_PKT5_S4_PS6_PKS5_PKS4_21rocsparse_index_base_.num_named_barrier, 0
	.set _ZN9rocsparseL23sddmm_csx_sample_kernelILi512ELi32EL20rocsparse_direction_1E21rocsparse_complex_numIdEllS3_EEvT4_S4_T3_PKT5_S4_PS6_PKS5_PKS4_21rocsparse_index_base_.private_seg_size, 0
	.set _ZN9rocsparseL23sddmm_csx_sample_kernelILi512ELi32EL20rocsparse_direction_1E21rocsparse_complex_numIdEllS3_EEvT4_S4_T3_PKT5_S4_PS6_PKS5_PKS4_21rocsparse_index_base_.uses_vcc, 1
	.set _ZN9rocsparseL23sddmm_csx_sample_kernelILi512ELi32EL20rocsparse_direction_1E21rocsparse_complex_numIdEllS3_EEvT4_S4_T3_PKT5_S4_PS6_PKS5_PKS4_21rocsparse_index_base_.uses_flat_scratch, 0
	.set _ZN9rocsparseL23sddmm_csx_sample_kernelILi512ELi32EL20rocsparse_direction_1E21rocsparse_complex_numIdEllS3_EEvT4_S4_T3_PKT5_S4_PS6_PKS5_PKS4_21rocsparse_index_base_.has_dyn_sized_stack, 0
	.set _ZN9rocsparseL23sddmm_csx_sample_kernelILi512ELi32EL20rocsparse_direction_1E21rocsparse_complex_numIdEllS3_EEvT4_S4_T3_PKT5_S4_PS6_PKS5_PKS4_21rocsparse_index_base_.has_recursion, 0
	.set _ZN9rocsparseL23sddmm_csx_sample_kernelILi512ELi32EL20rocsparse_direction_1E21rocsparse_complex_numIdEllS3_EEvT4_S4_T3_PKT5_S4_PS6_PKS5_PKS4_21rocsparse_index_base_.has_indirect_call, 0
	.section	.AMDGPU.csdata,"",@progbits
; Kernel info:
; codeLenInByte = 352
; TotalNumSgprs: 18
; NumVgprs: 14
; NumAgprs: 0
; TotalNumVgprs: 14
; ScratchSize: 0
; MemoryBound: 0
; FloatMode: 240
; IeeeMode: 1
; LDSByteSize: 0 bytes/workgroup (compile time only)
; SGPRBlocks: 2
; VGPRBlocks: 1
; NumSGPRsForWavesPerEU: 18
; NumVGPRsForWavesPerEU: 14
; AccumOffset: 16
; Occupancy: 8
; WaveLimiterHint : 0
; COMPUTE_PGM_RSRC2:SCRATCH_EN: 0
; COMPUTE_PGM_RSRC2:USER_SGPR: 2
; COMPUTE_PGM_RSRC2:TRAP_HANDLER: 0
; COMPUTE_PGM_RSRC2:TGID_X_EN: 1
; COMPUTE_PGM_RSRC2:TGID_Y_EN: 0
; COMPUTE_PGM_RSRC2:TGID_Z_EN: 0
; COMPUTE_PGM_RSRC2:TIDIG_COMP_CNT: 0
; COMPUTE_PGM_RSRC3_GFX90A:ACCUM_OFFSET: 3
; COMPUTE_PGM_RSRC3_GFX90A:TG_SPLIT: 0
	.section	.text._ZN9rocsparseL23sddmm_csx_sample_kernelILi512ELi16EL20rocsparse_direction_1E21rocsparse_complex_numIdEllS3_EEvT4_S4_T3_PKT5_S4_PS6_PKS5_PKS4_21rocsparse_index_base_,"axG",@progbits,_ZN9rocsparseL23sddmm_csx_sample_kernelILi512ELi16EL20rocsparse_direction_1E21rocsparse_complex_numIdEllS3_EEvT4_S4_T3_PKT5_S4_PS6_PKS5_PKS4_21rocsparse_index_base_,comdat
	.globl	_ZN9rocsparseL23sddmm_csx_sample_kernelILi512ELi16EL20rocsparse_direction_1E21rocsparse_complex_numIdEllS3_EEvT4_S4_T3_PKT5_S4_PS6_PKS5_PKS4_21rocsparse_index_base_ ; -- Begin function _ZN9rocsparseL23sddmm_csx_sample_kernelILi512ELi16EL20rocsparse_direction_1E21rocsparse_complex_numIdEllS3_EEvT4_S4_T3_PKT5_S4_PS6_PKS5_PKS4_21rocsparse_index_base_
	.p2align	8
	.type	_ZN9rocsparseL23sddmm_csx_sample_kernelILi512ELi16EL20rocsparse_direction_1E21rocsparse_complex_numIdEllS3_EEvT4_S4_T3_PKT5_S4_PS6_PKS5_PKS4_21rocsparse_index_base_,@function
_ZN9rocsparseL23sddmm_csx_sample_kernelILi512ELi16EL20rocsparse_direction_1E21rocsparse_complex_numIdEllS3_EEvT4_S4_T3_PKT5_S4_PS6_PKS5_PKS4_21rocsparse_index_base_: ; @_ZN9rocsparseL23sddmm_csx_sample_kernelILi512ELi16EL20rocsparse_direction_1E21rocsparse_complex_numIdEllS3_EEvT4_S4_T3_PKT5_S4_PS6_PKS5_PKS4_21rocsparse_index_base_
; %bb.0:
	s_load_dwordx2 s[4:5], s[0:1], 0x8
	v_lshrrev_b32_e32 v1, 4, v0
	v_lshl_or_b32 v4, s2, 5, v1
	v_mov_b32_e32 v5, 0
	s_waitcnt lgkmcnt(0)
	v_cmp_gt_i64_e32 vcc, s[4:5], v[4:5]
	s_and_saveexec_b64 s[2:3], vcc
	s_cbranch_execz .LBB216_4
; %bb.1:
	s_load_dwordx2 s[2:3], s[0:1], 0x30
	s_load_dword s6, s[0:1], 0x40
	v_add_u32_e32 v2, 1, v4
	v_mov_b32_e32 v3, v5
	v_and_b32_e32 v0, 15, v0
	s_waitcnt lgkmcnt(0)
	v_lshl_add_u64 v[6:7], v[4:5], 3, s[2:3]
	v_lshl_add_u64 v[2:3], v[2:3], 3, s[2:3]
	global_load_dwordx2 v[6:7], v[6:7], off
	v_subrev_co_u32_e32 v0, vcc, s6, v0
	global_load_dwordx2 v[2:3], v[2:3], off
	s_nop 0
	v_subb_co_u32_e64 v1, s[2:3], 0, 0, vcc
	s_waitcnt vmcnt(1)
	v_lshl_add_u64 v[0:1], v[0:1], 0, v[6:7]
	s_waitcnt vmcnt(0)
	v_subrev_co_u32_e32 v2, vcc, s6, v2
	s_nop 1
	v_subbrev_co_u32_e32 v3, vcc, 0, v3, vcc
	v_cmp_lt_i64_e32 vcc, v[0:1], v[2:3]
	s_and_b64 exec, exec, vcc
	s_cbranch_execz .LBB216_4
; %bb.2:
	s_load_dwordx4 s[8:11], s[0:1], 0x18
	s_load_dwordx2 s[2:3], s[0:1], 0x28
	s_load_dwordx2 s[4:5], s[0:1], 0x38
	s_waitcnt lgkmcnt(0)
	v_mad_u64_u32 v[6:7], s[0:1], s10, v4, 0
	v_mov_b32_e32 v8, v7
	v_mad_u64_u32 v[4:5], s[0:1], s11, v4, v[8:9]
	v_mov_b32_e32 v7, v4
	v_lshl_add_u64 v[4:5], v[6:7], 4, s[8:9]
	v_lshl_add_u64 v[6:7], v[0:1], 4, s[2:3]
	;; [unrolled: 1-line block ×3, first 2 shown]
	s_mov_b64 s[0:1], 0
	s_mov_b64 s[2:3], 0x100
	;; [unrolled: 1-line block ×3, first 2 shown]
.LBB216_3:                              ; =>This Inner Loop Header: Depth=1
	global_load_dwordx2 v[10:11], v[8:9], off
	v_lshl_add_u64 v[0:1], v[0:1], 0, 16
	v_lshl_add_u64 v[8:9], v[8:9], 0, s[4:5]
	s_waitcnt vmcnt(0)
	v_subrev_co_u32_e32 v10, vcc, s6, v10
	s_nop 1
	v_subbrev_co_u32_e32 v11, vcc, 0, v11, vcc
	v_lshl_add_u64 v[10:11], v[10:11], 4, v[4:5]
	global_load_dwordx4 v[10:13], v[10:11], off
	v_cmp_ge_i64_e32 vcc, v[0:1], v[2:3]
	s_or_b64 s[0:1], vcc, s[0:1]
	s_waitcnt vmcnt(0)
	global_store_dwordx4 v[6:7], v[10:13], off
	v_lshl_add_u64 v[6:7], v[6:7], 0, s[2:3]
	s_andn2_b64 exec, exec, s[0:1]
	s_cbranch_execnz .LBB216_3
.LBB216_4:
	s_endpgm
	.section	.rodata,"a",@progbits
	.p2align	6, 0x0
	.amdhsa_kernel _ZN9rocsparseL23sddmm_csx_sample_kernelILi512ELi16EL20rocsparse_direction_1E21rocsparse_complex_numIdEllS3_EEvT4_S4_T3_PKT5_S4_PS6_PKS5_PKS4_21rocsparse_index_base_
		.amdhsa_group_segment_fixed_size 0
		.amdhsa_private_segment_fixed_size 0
		.amdhsa_kernarg_size 68
		.amdhsa_user_sgpr_count 2
		.amdhsa_user_sgpr_dispatch_ptr 0
		.amdhsa_user_sgpr_queue_ptr 0
		.amdhsa_user_sgpr_kernarg_segment_ptr 1
		.amdhsa_user_sgpr_dispatch_id 0
		.amdhsa_user_sgpr_kernarg_preload_length 0
		.amdhsa_user_sgpr_kernarg_preload_offset 0
		.amdhsa_user_sgpr_private_segment_size 0
		.amdhsa_uses_dynamic_stack 0
		.amdhsa_enable_private_segment 0
		.amdhsa_system_sgpr_workgroup_id_x 1
		.amdhsa_system_sgpr_workgroup_id_y 0
		.amdhsa_system_sgpr_workgroup_id_z 0
		.amdhsa_system_sgpr_workgroup_info 0
		.amdhsa_system_vgpr_workitem_id 0
		.amdhsa_next_free_vgpr 14
		.amdhsa_next_free_sgpr 12
		.amdhsa_accum_offset 16
		.amdhsa_reserve_vcc 1
		.amdhsa_float_round_mode_32 0
		.amdhsa_float_round_mode_16_64 0
		.amdhsa_float_denorm_mode_32 3
		.amdhsa_float_denorm_mode_16_64 3
		.amdhsa_dx10_clamp 1
		.amdhsa_ieee_mode 1
		.amdhsa_fp16_overflow 0
		.amdhsa_tg_split 0
		.amdhsa_exception_fp_ieee_invalid_op 0
		.amdhsa_exception_fp_denorm_src 0
		.amdhsa_exception_fp_ieee_div_zero 0
		.amdhsa_exception_fp_ieee_overflow 0
		.amdhsa_exception_fp_ieee_underflow 0
		.amdhsa_exception_fp_ieee_inexact 0
		.amdhsa_exception_int_div_zero 0
	.end_amdhsa_kernel
	.section	.text._ZN9rocsparseL23sddmm_csx_sample_kernelILi512ELi16EL20rocsparse_direction_1E21rocsparse_complex_numIdEllS3_EEvT4_S4_T3_PKT5_S4_PS6_PKS5_PKS4_21rocsparse_index_base_,"axG",@progbits,_ZN9rocsparseL23sddmm_csx_sample_kernelILi512ELi16EL20rocsparse_direction_1E21rocsparse_complex_numIdEllS3_EEvT4_S4_T3_PKT5_S4_PS6_PKS5_PKS4_21rocsparse_index_base_,comdat
.Lfunc_end216:
	.size	_ZN9rocsparseL23sddmm_csx_sample_kernelILi512ELi16EL20rocsparse_direction_1E21rocsparse_complex_numIdEllS3_EEvT4_S4_T3_PKT5_S4_PS6_PKS5_PKS4_21rocsparse_index_base_, .Lfunc_end216-_ZN9rocsparseL23sddmm_csx_sample_kernelILi512ELi16EL20rocsparse_direction_1E21rocsparse_complex_numIdEllS3_EEvT4_S4_T3_PKT5_S4_PS6_PKS5_PKS4_21rocsparse_index_base_
                                        ; -- End function
	.set _ZN9rocsparseL23sddmm_csx_sample_kernelILi512ELi16EL20rocsparse_direction_1E21rocsparse_complex_numIdEllS3_EEvT4_S4_T3_PKT5_S4_PS6_PKS5_PKS4_21rocsparse_index_base_.num_vgpr, 14
	.set _ZN9rocsparseL23sddmm_csx_sample_kernelILi512ELi16EL20rocsparse_direction_1E21rocsparse_complex_numIdEllS3_EEvT4_S4_T3_PKT5_S4_PS6_PKS5_PKS4_21rocsparse_index_base_.num_agpr, 0
	.set _ZN9rocsparseL23sddmm_csx_sample_kernelILi512ELi16EL20rocsparse_direction_1E21rocsparse_complex_numIdEllS3_EEvT4_S4_T3_PKT5_S4_PS6_PKS5_PKS4_21rocsparse_index_base_.numbered_sgpr, 12
	.set _ZN9rocsparseL23sddmm_csx_sample_kernelILi512ELi16EL20rocsparse_direction_1E21rocsparse_complex_numIdEllS3_EEvT4_S4_T3_PKT5_S4_PS6_PKS5_PKS4_21rocsparse_index_base_.num_named_barrier, 0
	.set _ZN9rocsparseL23sddmm_csx_sample_kernelILi512ELi16EL20rocsparse_direction_1E21rocsparse_complex_numIdEllS3_EEvT4_S4_T3_PKT5_S4_PS6_PKS5_PKS4_21rocsparse_index_base_.private_seg_size, 0
	.set _ZN9rocsparseL23sddmm_csx_sample_kernelILi512ELi16EL20rocsparse_direction_1E21rocsparse_complex_numIdEllS3_EEvT4_S4_T3_PKT5_S4_PS6_PKS5_PKS4_21rocsparse_index_base_.uses_vcc, 1
	.set _ZN9rocsparseL23sddmm_csx_sample_kernelILi512ELi16EL20rocsparse_direction_1E21rocsparse_complex_numIdEllS3_EEvT4_S4_T3_PKT5_S4_PS6_PKS5_PKS4_21rocsparse_index_base_.uses_flat_scratch, 0
	.set _ZN9rocsparseL23sddmm_csx_sample_kernelILi512ELi16EL20rocsparse_direction_1E21rocsparse_complex_numIdEllS3_EEvT4_S4_T3_PKT5_S4_PS6_PKS5_PKS4_21rocsparse_index_base_.has_dyn_sized_stack, 0
	.set _ZN9rocsparseL23sddmm_csx_sample_kernelILi512ELi16EL20rocsparse_direction_1E21rocsparse_complex_numIdEllS3_EEvT4_S4_T3_PKT5_S4_PS6_PKS5_PKS4_21rocsparse_index_base_.has_recursion, 0
	.set _ZN9rocsparseL23sddmm_csx_sample_kernelILi512ELi16EL20rocsparse_direction_1E21rocsparse_complex_numIdEllS3_EEvT4_S4_T3_PKT5_S4_PS6_PKS5_PKS4_21rocsparse_index_base_.has_indirect_call, 0
	.section	.AMDGPU.csdata,"",@progbits
; Kernel info:
; codeLenInByte = 352
; TotalNumSgprs: 18
; NumVgprs: 14
; NumAgprs: 0
; TotalNumVgprs: 14
; ScratchSize: 0
; MemoryBound: 0
; FloatMode: 240
; IeeeMode: 1
; LDSByteSize: 0 bytes/workgroup (compile time only)
; SGPRBlocks: 2
; VGPRBlocks: 1
; NumSGPRsForWavesPerEU: 18
; NumVGPRsForWavesPerEU: 14
; AccumOffset: 16
; Occupancy: 8
; WaveLimiterHint : 0
; COMPUTE_PGM_RSRC2:SCRATCH_EN: 0
; COMPUTE_PGM_RSRC2:USER_SGPR: 2
; COMPUTE_PGM_RSRC2:TRAP_HANDLER: 0
; COMPUTE_PGM_RSRC2:TGID_X_EN: 1
; COMPUTE_PGM_RSRC2:TGID_Y_EN: 0
; COMPUTE_PGM_RSRC2:TGID_Z_EN: 0
; COMPUTE_PGM_RSRC2:TIDIG_COMP_CNT: 0
; COMPUTE_PGM_RSRC3_GFX90A:ACCUM_OFFSET: 3
; COMPUTE_PGM_RSRC3_GFX90A:TG_SPLIT: 0
	.section	.text._ZN9rocsparseL23sddmm_csx_sample_kernelILi512ELi8EL20rocsparse_direction_1E21rocsparse_complex_numIdEllS3_EEvT4_S4_T3_PKT5_S4_PS6_PKS5_PKS4_21rocsparse_index_base_,"axG",@progbits,_ZN9rocsparseL23sddmm_csx_sample_kernelILi512ELi8EL20rocsparse_direction_1E21rocsparse_complex_numIdEllS3_EEvT4_S4_T3_PKT5_S4_PS6_PKS5_PKS4_21rocsparse_index_base_,comdat
	.globl	_ZN9rocsparseL23sddmm_csx_sample_kernelILi512ELi8EL20rocsparse_direction_1E21rocsparse_complex_numIdEllS3_EEvT4_S4_T3_PKT5_S4_PS6_PKS5_PKS4_21rocsparse_index_base_ ; -- Begin function _ZN9rocsparseL23sddmm_csx_sample_kernelILi512ELi8EL20rocsparse_direction_1E21rocsparse_complex_numIdEllS3_EEvT4_S4_T3_PKT5_S4_PS6_PKS5_PKS4_21rocsparse_index_base_
	.p2align	8
	.type	_ZN9rocsparseL23sddmm_csx_sample_kernelILi512ELi8EL20rocsparse_direction_1E21rocsparse_complex_numIdEllS3_EEvT4_S4_T3_PKT5_S4_PS6_PKS5_PKS4_21rocsparse_index_base_,@function
_ZN9rocsparseL23sddmm_csx_sample_kernelILi512ELi8EL20rocsparse_direction_1E21rocsparse_complex_numIdEllS3_EEvT4_S4_T3_PKT5_S4_PS6_PKS5_PKS4_21rocsparse_index_base_: ; @_ZN9rocsparseL23sddmm_csx_sample_kernelILi512ELi8EL20rocsparse_direction_1E21rocsparse_complex_numIdEllS3_EEvT4_S4_T3_PKT5_S4_PS6_PKS5_PKS4_21rocsparse_index_base_
; %bb.0:
	s_load_dwordx2 s[4:5], s[0:1], 0x8
	v_lshrrev_b32_e32 v1, 3, v0
	v_lshl_or_b32 v4, s2, 6, v1
	v_mov_b32_e32 v5, 0
	s_waitcnt lgkmcnt(0)
	v_cmp_gt_i64_e32 vcc, s[4:5], v[4:5]
	s_and_saveexec_b64 s[2:3], vcc
	s_cbranch_execz .LBB217_4
; %bb.1:
	s_load_dwordx2 s[2:3], s[0:1], 0x30
	s_load_dword s4, s[0:1], 0x40
	v_add_u32_e32 v2, 1, v4
	v_mov_b32_e32 v3, v5
	v_and_b32_e32 v0, 7, v0
	s_waitcnt lgkmcnt(0)
	v_lshl_add_u64 v[6:7], v[4:5], 3, s[2:3]
	v_lshl_add_u64 v[2:3], v[2:3], 3, s[2:3]
	global_load_dwordx2 v[6:7], v[6:7], off
	v_subrev_co_u32_e32 v0, vcc, s4, v0
	global_load_dwordx2 v[2:3], v[2:3], off
	s_nop 0
	v_subb_co_u32_e64 v1, s[2:3], 0, 0, vcc
	s_waitcnt vmcnt(1)
	v_lshl_add_u64 v[0:1], v[0:1], 0, v[6:7]
	s_waitcnt vmcnt(0)
	v_subrev_co_u32_e32 v2, vcc, s4, v2
	s_nop 1
	v_subbrev_co_u32_e32 v3, vcc, 0, v3, vcc
	v_cmp_lt_i64_e32 vcc, v[0:1], v[2:3]
	s_and_b64 exec, exec, vcc
	s_cbranch_execz .LBB217_4
; %bb.2:
	s_load_dwordx4 s[8:11], s[0:1], 0x18
	s_load_dwordx2 s[2:3], s[0:1], 0x28
	s_load_dwordx2 s[6:7], s[0:1], 0x38
	s_waitcnt lgkmcnt(0)
	v_mad_u64_u32 v[6:7], s[0:1], s10, v4, 0
	v_mov_b32_e32 v8, v7
	v_mad_u64_u32 v[4:5], s[0:1], s11, v4, v[8:9]
	v_mov_b32_e32 v7, v4
	v_lshl_add_u64 v[4:5], v[6:7], 4, s[8:9]
	v_lshl_add_u64 v[6:7], v[0:1], 4, s[2:3]
	;; [unrolled: 1-line block ×3, first 2 shown]
	s_mov_b64 s[0:1], 0
	s_mov_b64 s[2:3], 0x80
.LBB217_3:                              ; =>This Inner Loop Header: Depth=1
	global_load_dwordx2 v[10:11], v[8:9], off
	v_lshl_add_u64 v[0:1], v[0:1], 0, 8
	v_lshl_add_u64 v[8:9], v[8:9], 0, 64
	s_waitcnt vmcnt(0)
	v_subrev_co_u32_e32 v10, vcc, s4, v10
	s_nop 1
	v_subbrev_co_u32_e32 v11, vcc, 0, v11, vcc
	v_lshl_add_u64 v[10:11], v[10:11], 4, v[4:5]
	global_load_dwordx4 v[10:13], v[10:11], off
	v_cmp_ge_i64_e32 vcc, v[0:1], v[2:3]
	s_or_b64 s[0:1], vcc, s[0:1]
	s_waitcnt vmcnt(0)
	global_store_dwordx4 v[6:7], v[10:13], off
	v_lshl_add_u64 v[6:7], v[6:7], 0, s[2:3]
	s_andn2_b64 exec, exec, s[0:1]
	s_cbranch_execnz .LBB217_3
.LBB217_4:
	s_endpgm
	.section	.rodata,"a",@progbits
	.p2align	6, 0x0
	.amdhsa_kernel _ZN9rocsparseL23sddmm_csx_sample_kernelILi512ELi8EL20rocsparse_direction_1E21rocsparse_complex_numIdEllS3_EEvT4_S4_T3_PKT5_S4_PS6_PKS5_PKS4_21rocsparse_index_base_
		.amdhsa_group_segment_fixed_size 0
		.amdhsa_private_segment_fixed_size 0
		.amdhsa_kernarg_size 68
		.amdhsa_user_sgpr_count 2
		.amdhsa_user_sgpr_dispatch_ptr 0
		.amdhsa_user_sgpr_queue_ptr 0
		.amdhsa_user_sgpr_kernarg_segment_ptr 1
		.amdhsa_user_sgpr_dispatch_id 0
		.amdhsa_user_sgpr_kernarg_preload_length 0
		.amdhsa_user_sgpr_kernarg_preload_offset 0
		.amdhsa_user_sgpr_private_segment_size 0
		.amdhsa_uses_dynamic_stack 0
		.amdhsa_enable_private_segment 0
		.amdhsa_system_sgpr_workgroup_id_x 1
		.amdhsa_system_sgpr_workgroup_id_y 0
		.amdhsa_system_sgpr_workgroup_id_z 0
		.amdhsa_system_sgpr_workgroup_info 0
		.amdhsa_system_vgpr_workitem_id 0
		.amdhsa_next_free_vgpr 14
		.amdhsa_next_free_sgpr 12
		.amdhsa_accum_offset 16
		.amdhsa_reserve_vcc 1
		.amdhsa_float_round_mode_32 0
		.amdhsa_float_round_mode_16_64 0
		.amdhsa_float_denorm_mode_32 3
		.amdhsa_float_denorm_mode_16_64 3
		.amdhsa_dx10_clamp 1
		.amdhsa_ieee_mode 1
		.amdhsa_fp16_overflow 0
		.amdhsa_tg_split 0
		.amdhsa_exception_fp_ieee_invalid_op 0
		.amdhsa_exception_fp_denorm_src 0
		.amdhsa_exception_fp_ieee_div_zero 0
		.amdhsa_exception_fp_ieee_overflow 0
		.amdhsa_exception_fp_ieee_underflow 0
		.amdhsa_exception_fp_ieee_inexact 0
		.amdhsa_exception_int_div_zero 0
	.end_amdhsa_kernel
	.section	.text._ZN9rocsparseL23sddmm_csx_sample_kernelILi512ELi8EL20rocsparse_direction_1E21rocsparse_complex_numIdEllS3_EEvT4_S4_T3_PKT5_S4_PS6_PKS5_PKS4_21rocsparse_index_base_,"axG",@progbits,_ZN9rocsparseL23sddmm_csx_sample_kernelILi512ELi8EL20rocsparse_direction_1E21rocsparse_complex_numIdEllS3_EEvT4_S4_T3_PKT5_S4_PS6_PKS5_PKS4_21rocsparse_index_base_,comdat
.Lfunc_end217:
	.size	_ZN9rocsparseL23sddmm_csx_sample_kernelILi512ELi8EL20rocsparse_direction_1E21rocsparse_complex_numIdEllS3_EEvT4_S4_T3_PKT5_S4_PS6_PKS5_PKS4_21rocsparse_index_base_, .Lfunc_end217-_ZN9rocsparseL23sddmm_csx_sample_kernelILi512ELi8EL20rocsparse_direction_1E21rocsparse_complex_numIdEllS3_EEvT4_S4_T3_PKT5_S4_PS6_PKS5_PKS4_21rocsparse_index_base_
                                        ; -- End function
	.set _ZN9rocsparseL23sddmm_csx_sample_kernelILi512ELi8EL20rocsparse_direction_1E21rocsparse_complex_numIdEllS3_EEvT4_S4_T3_PKT5_S4_PS6_PKS5_PKS4_21rocsparse_index_base_.num_vgpr, 14
	.set _ZN9rocsparseL23sddmm_csx_sample_kernelILi512ELi8EL20rocsparse_direction_1E21rocsparse_complex_numIdEllS3_EEvT4_S4_T3_PKT5_S4_PS6_PKS5_PKS4_21rocsparse_index_base_.num_agpr, 0
	.set _ZN9rocsparseL23sddmm_csx_sample_kernelILi512ELi8EL20rocsparse_direction_1E21rocsparse_complex_numIdEllS3_EEvT4_S4_T3_PKT5_S4_PS6_PKS5_PKS4_21rocsparse_index_base_.numbered_sgpr, 12
	.set _ZN9rocsparseL23sddmm_csx_sample_kernelILi512ELi8EL20rocsparse_direction_1E21rocsparse_complex_numIdEllS3_EEvT4_S4_T3_PKT5_S4_PS6_PKS5_PKS4_21rocsparse_index_base_.num_named_barrier, 0
	.set _ZN9rocsparseL23sddmm_csx_sample_kernelILi512ELi8EL20rocsparse_direction_1E21rocsparse_complex_numIdEllS3_EEvT4_S4_T3_PKT5_S4_PS6_PKS5_PKS4_21rocsparse_index_base_.private_seg_size, 0
	.set _ZN9rocsparseL23sddmm_csx_sample_kernelILi512ELi8EL20rocsparse_direction_1E21rocsparse_complex_numIdEllS3_EEvT4_S4_T3_PKT5_S4_PS6_PKS5_PKS4_21rocsparse_index_base_.uses_vcc, 1
	.set _ZN9rocsparseL23sddmm_csx_sample_kernelILi512ELi8EL20rocsparse_direction_1E21rocsparse_complex_numIdEllS3_EEvT4_S4_T3_PKT5_S4_PS6_PKS5_PKS4_21rocsparse_index_base_.uses_flat_scratch, 0
	.set _ZN9rocsparseL23sddmm_csx_sample_kernelILi512ELi8EL20rocsparse_direction_1E21rocsparse_complex_numIdEllS3_EEvT4_S4_T3_PKT5_S4_PS6_PKS5_PKS4_21rocsparse_index_base_.has_dyn_sized_stack, 0
	.set _ZN9rocsparseL23sddmm_csx_sample_kernelILi512ELi8EL20rocsparse_direction_1E21rocsparse_complex_numIdEllS3_EEvT4_S4_T3_PKT5_S4_PS6_PKS5_PKS4_21rocsparse_index_base_.has_recursion, 0
	.set _ZN9rocsparseL23sddmm_csx_sample_kernelILi512ELi8EL20rocsparse_direction_1E21rocsparse_complex_numIdEllS3_EEvT4_S4_T3_PKT5_S4_PS6_PKS5_PKS4_21rocsparse_index_base_.has_indirect_call, 0
	.section	.AMDGPU.csdata,"",@progbits
; Kernel info:
; codeLenInByte = 344
; TotalNumSgprs: 18
; NumVgprs: 14
; NumAgprs: 0
; TotalNumVgprs: 14
; ScratchSize: 0
; MemoryBound: 0
; FloatMode: 240
; IeeeMode: 1
; LDSByteSize: 0 bytes/workgroup (compile time only)
; SGPRBlocks: 2
; VGPRBlocks: 1
; NumSGPRsForWavesPerEU: 18
; NumVGPRsForWavesPerEU: 14
; AccumOffset: 16
; Occupancy: 8
; WaveLimiterHint : 0
; COMPUTE_PGM_RSRC2:SCRATCH_EN: 0
; COMPUTE_PGM_RSRC2:USER_SGPR: 2
; COMPUTE_PGM_RSRC2:TRAP_HANDLER: 0
; COMPUTE_PGM_RSRC2:TGID_X_EN: 1
; COMPUTE_PGM_RSRC2:TGID_Y_EN: 0
; COMPUTE_PGM_RSRC2:TGID_Z_EN: 0
; COMPUTE_PGM_RSRC2:TIDIG_COMP_CNT: 0
; COMPUTE_PGM_RSRC3_GFX90A:ACCUM_OFFSET: 3
; COMPUTE_PGM_RSRC3_GFX90A:TG_SPLIT: 0
	.section	.text._ZN9rocsparseL23sddmm_csx_sample_kernelILi512ELi4EL20rocsparse_direction_1E21rocsparse_complex_numIdEllS3_EEvT4_S4_T3_PKT5_S4_PS6_PKS5_PKS4_21rocsparse_index_base_,"axG",@progbits,_ZN9rocsparseL23sddmm_csx_sample_kernelILi512ELi4EL20rocsparse_direction_1E21rocsparse_complex_numIdEllS3_EEvT4_S4_T3_PKT5_S4_PS6_PKS5_PKS4_21rocsparse_index_base_,comdat
	.globl	_ZN9rocsparseL23sddmm_csx_sample_kernelILi512ELi4EL20rocsparse_direction_1E21rocsparse_complex_numIdEllS3_EEvT4_S4_T3_PKT5_S4_PS6_PKS5_PKS4_21rocsparse_index_base_ ; -- Begin function _ZN9rocsparseL23sddmm_csx_sample_kernelILi512ELi4EL20rocsparse_direction_1E21rocsparse_complex_numIdEllS3_EEvT4_S4_T3_PKT5_S4_PS6_PKS5_PKS4_21rocsparse_index_base_
	.p2align	8
	.type	_ZN9rocsparseL23sddmm_csx_sample_kernelILi512ELi4EL20rocsparse_direction_1E21rocsparse_complex_numIdEllS3_EEvT4_S4_T3_PKT5_S4_PS6_PKS5_PKS4_21rocsparse_index_base_,@function
_ZN9rocsparseL23sddmm_csx_sample_kernelILi512ELi4EL20rocsparse_direction_1E21rocsparse_complex_numIdEllS3_EEvT4_S4_T3_PKT5_S4_PS6_PKS5_PKS4_21rocsparse_index_base_: ; @_ZN9rocsparseL23sddmm_csx_sample_kernelILi512ELi4EL20rocsparse_direction_1E21rocsparse_complex_numIdEllS3_EEvT4_S4_T3_PKT5_S4_PS6_PKS5_PKS4_21rocsparse_index_base_
; %bb.0:
	s_load_dwordx2 s[4:5], s[0:1], 0x8
	v_lshrrev_b32_e32 v1, 2, v0
	v_lshl_or_b32 v4, s2, 7, v1
	v_mov_b32_e32 v5, 0
	s_waitcnt lgkmcnt(0)
	v_cmp_gt_i64_e32 vcc, s[4:5], v[4:5]
	s_and_saveexec_b64 s[2:3], vcc
	s_cbranch_execz .LBB218_4
; %bb.1:
	s_load_dwordx2 s[4:5], s[0:1], 0x30
	s_load_dword s2, s[0:1], 0x40
	v_add_u32_e32 v2, 1, v4
	v_mov_b32_e32 v3, v5
	v_and_b32_e32 v0, 3, v0
	s_waitcnt lgkmcnt(0)
	v_lshl_add_u64 v[6:7], v[4:5], 3, s[4:5]
	v_lshl_add_u64 v[2:3], v[2:3], 3, s[4:5]
	global_load_dwordx2 v[6:7], v[6:7], off
	v_subrev_co_u32_e32 v0, vcc, s2, v0
	global_load_dwordx2 v[2:3], v[2:3], off
	s_nop 0
	v_subb_co_u32_e64 v1, s[4:5], 0, 0, vcc
	s_waitcnt vmcnt(1)
	v_lshl_add_u64 v[0:1], v[0:1], 0, v[6:7]
	s_waitcnt vmcnt(0)
	v_subrev_co_u32_e32 v2, vcc, s2, v2
	s_nop 1
	v_subbrev_co_u32_e32 v3, vcc, 0, v3, vcc
	v_cmp_lt_i64_e32 vcc, v[0:1], v[2:3]
	s_and_b64 exec, exec, vcc
	s_cbranch_execz .LBB218_4
; %bb.2:
	s_load_dwordx4 s[4:7], s[0:1], 0x18
	s_load_dwordx2 s[8:9], s[0:1], 0x28
	s_load_dwordx2 s[10:11], s[0:1], 0x38
	s_waitcnt lgkmcnt(0)
	v_mad_u64_u32 v[6:7], s[0:1], s6, v4, 0
	v_mov_b32_e32 v8, v7
	v_mad_u64_u32 v[4:5], s[0:1], s7, v4, v[8:9]
	v_mov_b32_e32 v7, v4
	v_lshl_add_u64 v[4:5], v[6:7], 4, s[4:5]
	v_lshl_add_u64 v[6:7], v[0:1], 4, s[8:9]
	;; [unrolled: 1-line block ×3, first 2 shown]
	s_mov_b64 s[0:1], 0
.LBB218_3:                              ; =>This Inner Loop Header: Depth=1
	global_load_dwordx2 v[10:11], v[8:9], off
	v_lshl_add_u64 v[0:1], v[0:1], 0, 4
	v_lshl_add_u64 v[8:9], v[8:9], 0, 32
	s_waitcnt vmcnt(0)
	v_subrev_co_u32_e32 v10, vcc, s2, v10
	s_nop 1
	v_subbrev_co_u32_e32 v11, vcc, 0, v11, vcc
	v_lshl_add_u64 v[10:11], v[10:11], 4, v[4:5]
	global_load_dwordx4 v[10:13], v[10:11], off
	v_cmp_ge_i64_e32 vcc, v[0:1], v[2:3]
	s_or_b64 s[0:1], vcc, s[0:1]
	s_waitcnt vmcnt(0)
	global_store_dwordx4 v[6:7], v[10:13], off
	v_lshl_add_u64 v[6:7], v[6:7], 0, 64
	s_andn2_b64 exec, exec, s[0:1]
	s_cbranch_execnz .LBB218_3
.LBB218_4:
	s_endpgm
	.section	.rodata,"a",@progbits
	.p2align	6, 0x0
	.amdhsa_kernel _ZN9rocsparseL23sddmm_csx_sample_kernelILi512ELi4EL20rocsparse_direction_1E21rocsparse_complex_numIdEllS3_EEvT4_S4_T3_PKT5_S4_PS6_PKS5_PKS4_21rocsparse_index_base_
		.amdhsa_group_segment_fixed_size 0
		.amdhsa_private_segment_fixed_size 0
		.amdhsa_kernarg_size 68
		.amdhsa_user_sgpr_count 2
		.amdhsa_user_sgpr_dispatch_ptr 0
		.amdhsa_user_sgpr_queue_ptr 0
		.amdhsa_user_sgpr_kernarg_segment_ptr 1
		.amdhsa_user_sgpr_dispatch_id 0
		.amdhsa_user_sgpr_kernarg_preload_length 0
		.amdhsa_user_sgpr_kernarg_preload_offset 0
		.amdhsa_user_sgpr_private_segment_size 0
		.amdhsa_uses_dynamic_stack 0
		.amdhsa_enable_private_segment 0
		.amdhsa_system_sgpr_workgroup_id_x 1
		.amdhsa_system_sgpr_workgroup_id_y 0
		.amdhsa_system_sgpr_workgroup_id_z 0
		.amdhsa_system_sgpr_workgroup_info 0
		.amdhsa_system_vgpr_workitem_id 0
		.amdhsa_next_free_vgpr 14
		.amdhsa_next_free_sgpr 12
		.amdhsa_accum_offset 16
		.amdhsa_reserve_vcc 1
		.amdhsa_float_round_mode_32 0
		.amdhsa_float_round_mode_16_64 0
		.amdhsa_float_denorm_mode_32 3
		.amdhsa_float_denorm_mode_16_64 3
		.amdhsa_dx10_clamp 1
		.amdhsa_ieee_mode 1
		.amdhsa_fp16_overflow 0
		.amdhsa_tg_split 0
		.amdhsa_exception_fp_ieee_invalid_op 0
		.amdhsa_exception_fp_denorm_src 0
		.amdhsa_exception_fp_ieee_div_zero 0
		.amdhsa_exception_fp_ieee_overflow 0
		.amdhsa_exception_fp_ieee_underflow 0
		.amdhsa_exception_fp_ieee_inexact 0
		.amdhsa_exception_int_div_zero 0
	.end_amdhsa_kernel
	.section	.text._ZN9rocsparseL23sddmm_csx_sample_kernelILi512ELi4EL20rocsparse_direction_1E21rocsparse_complex_numIdEllS3_EEvT4_S4_T3_PKT5_S4_PS6_PKS5_PKS4_21rocsparse_index_base_,"axG",@progbits,_ZN9rocsparseL23sddmm_csx_sample_kernelILi512ELi4EL20rocsparse_direction_1E21rocsparse_complex_numIdEllS3_EEvT4_S4_T3_PKT5_S4_PS6_PKS5_PKS4_21rocsparse_index_base_,comdat
.Lfunc_end218:
	.size	_ZN9rocsparseL23sddmm_csx_sample_kernelILi512ELi4EL20rocsparse_direction_1E21rocsparse_complex_numIdEllS3_EEvT4_S4_T3_PKT5_S4_PS6_PKS5_PKS4_21rocsparse_index_base_, .Lfunc_end218-_ZN9rocsparseL23sddmm_csx_sample_kernelILi512ELi4EL20rocsparse_direction_1E21rocsparse_complex_numIdEllS3_EEvT4_S4_T3_PKT5_S4_PS6_PKS5_PKS4_21rocsparse_index_base_
                                        ; -- End function
	.set _ZN9rocsparseL23sddmm_csx_sample_kernelILi512ELi4EL20rocsparse_direction_1E21rocsparse_complex_numIdEllS3_EEvT4_S4_T3_PKT5_S4_PS6_PKS5_PKS4_21rocsparse_index_base_.num_vgpr, 14
	.set _ZN9rocsparseL23sddmm_csx_sample_kernelILi512ELi4EL20rocsparse_direction_1E21rocsparse_complex_numIdEllS3_EEvT4_S4_T3_PKT5_S4_PS6_PKS5_PKS4_21rocsparse_index_base_.num_agpr, 0
	.set _ZN9rocsparseL23sddmm_csx_sample_kernelILi512ELi4EL20rocsparse_direction_1E21rocsparse_complex_numIdEllS3_EEvT4_S4_T3_PKT5_S4_PS6_PKS5_PKS4_21rocsparse_index_base_.numbered_sgpr, 12
	.set _ZN9rocsparseL23sddmm_csx_sample_kernelILi512ELi4EL20rocsparse_direction_1E21rocsparse_complex_numIdEllS3_EEvT4_S4_T3_PKT5_S4_PS6_PKS5_PKS4_21rocsparse_index_base_.num_named_barrier, 0
	.set _ZN9rocsparseL23sddmm_csx_sample_kernelILi512ELi4EL20rocsparse_direction_1E21rocsparse_complex_numIdEllS3_EEvT4_S4_T3_PKT5_S4_PS6_PKS5_PKS4_21rocsparse_index_base_.private_seg_size, 0
	.set _ZN9rocsparseL23sddmm_csx_sample_kernelILi512ELi4EL20rocsparse_direction_1E21rocsparse_complex_numIdEllS3_EEvT4_S4_T3_PKT5_S4_PS6_PKS5_PKS4_21rocsparse_index_base_.uses_vcc, 1
	.set _ZN9rocsparseL23sddmm_csx_sample_kernelILi512ELi4EL20rocsparse_direction_1E21rocsparse_complex_numIdEllS3_EEvT4_S4_T3_PKT5_S4_PS6_PKS5_PKS4_21rocsparse_index_base_.uses_flat_scratch, 0
	.set _ZN9rocsparseL23sddmm_csx_sample_kernelILi512ELi4EL20rocsparse_direction_1E21rocsparse_complex_numIdEllS3_EEvT4_S4_T3_PKT5_S4_PS6_PKS5_PKS4_21rocsparse_index_base_.has_dyn_sized_stack, 0
	.set _ZN9rocsparseL23sddmm_csx_sample_kernelILi512ELi4EL20rocsparse_direction_1E21rocsparse_complex_numIdEllS3_EEvT4_S4_T3_PKT5_S4_PS6_PKS5_PKS4_21rocsparse_index_base_.has_recursion, 0
	.set _ZN9rocsparseL23sddmm_csx_sample_kernelILi512ELi4EL20rocsparse_direction_1E21rocsparse_complex_numIdEllS3_EEvT4_S4_T3_PKT5_S4_PS6_PKS5_PKS4_21rocsparse_index_base_.has_indirect_call, 0
	.section	.AMDGPU.csdata,"",@progbits
; Kernel info:
; codeLenInByte = 336
; TotalNumSgprs: 18
; NumVgprs: 14
; NumAgprs: 0
; TotalNumVgprs: 14
; ScratchSize: 0
; MemoryBound: 0
; FloatMode: 240
; IeeeMode: 1
; LDSByteSize: 0 bytes/workgroup (compile time only)
; SGPRBlocks: 2
; VGPRBlocks: 1
; NumSGPRsForWavesPerEU: 18
; NumVGPRsForWavesPerEU: 14
; AccumOffset: 16
; Occupancy: 8
; WaveLimiterHint : 0
; COMPUTE_PGM_RSRC2:SCRATCH_EN: 0
; COMPUTE_PGM_RSRC2:USER_SGPR: 2
; COMPUTE_PGM_RSRC2:TRAP_HANDLER: 0
; COMPUTE_PGM_RSRC2:TGID_X_EN: 1
; COMPUTE_PGM_RSRC2:TGID_Y_EN: 0
; COMPUTE_PGM_RSRC2:TGID_Z_EN: 0
; COMPUTE_PGM_RSRC2:TIDIG_COMP_CNT: 0
; COMPUTE_PGM_RSRC3_GFX90A:ACCUM_OFFSET: 3
; COMPUTE_PGM_RSRC3_GFX90A:TG_SPLIT: 0
	.section	.text._ZN9rocsparseL23sddmm_csx_sample_kernelILi512ELi2EL20rocsparse_direction_1E21rocsparse_complex_numIdEllS3_EEvT4_S4_T3_PKT5_S4_PS6_PKS5_PKS4_21rocsparse_index_base_,"axG",@progbits,_ZN9rocsparseL23sddmm_csx_sample_kernelILi512ELi2EL20rocsparse_direction_1E21rocsparse_complex_numIdEllS3_EEvT4_S4_T3_PKT5_S4_PS6_PKS5_PKS4_21rocsparse_index_base_,comdat
	.globl	_ZN9rocsparseL23sddmm_csx_sample_kernelILi512ELi2EL20rocsparse_direction_1E21rocsparse_complex_numIdEllS3_EEvT4_S4_T3_PKT5_S4_PS6_PKS5_PKS4_21rocsparse_index_base_ ; -- Begin function _ZN9rocsparseL23sddmm_csx_sample_kernelILi512ELi2EL20rocsparse_direction_1E21rocsparse_complex_numIdEllS3_EEvT4_S4_T3_PKT5_S4_PS6_PKS5_PKS4_21rocsparse_index_base_
	.p2align	8
	.type	_ZN9rocsparseL23sddmm_csx_sample_kernelILi512ELi2EL20rocsparse_direction_1E21rocsparse_complex_numIdEllS3_EEvT4_S4_T3_PKT5_S4_PS6_PKS5_PKS4_21rocsparse_index_base_,@function
_ZN9rocsparseL23sddmm_csx_sample_kernelILi512ELi2EL20rocsparse_direction_1E21rocsparse_complex_numIdEllS3_EEvT4_S4_T3_PKT5_S4_PS6_PKS5_PKS4_21rocsparse_index_base_: ; @_ZN9rocsparseL23sddmm_csx_sample_kernelILi512ELi2EL20rocsparse_direction_1E21rocsparse_complex_numIdEllS3_EEvT4_S4_T3_PKT5_S4_PS6_PKS5_PKS4_21rocsparse_index_base_
; %bb.0:
	s_load_dwordx2 s[4:5], s[0:1], 0x8
	v_lshrrev_b32_e32 v1, 1, v0
	v_lshl_or_b32 v4, s2, 8, v1
	v_mov_b32_e32 v5, 0
	s_waitcnt lgkmcnt(0)
	v_cmp_gt_i64_e32 vcc, s[4:5], v[4:5]
	s_and_saveexec_b64 s[2:3], vcc
	s_cbranch_execz .LBB219_4
; %bb.1:
	s_load_dwordx2 s[4:5], s[0:1], 0x30
	s_load_dword s2, s[0:1], 0x40
	v_add_u32_e32 v2, 1, v4
	v_mov_b32_e32 v3, v5
	v_and_b32_e32 v0, 1, v0
	s_waitcnt lgkmcnt(0)
	v_lshl_add_u64 v[6:7], v[4:5], 3, s[4:5]
	v_lshl_add_u64 v[2:3], v[2:3], 3, s[4:5]
	global_load_dwordx2 v[6:7], v[6:7], off
	v_subrev_co_u32_e32 v0, vcc, s2, v0
	global_load_dwordx2 v[2:3], v[2:3], off
	s_nop 0
	v_subb_co_u32_e64 v1, s[4:5], 0, 0, vcc
	s_waitcnt vmcnt(1)
	v_lshl_add_u64 v[0:1], v[0:1], 0, v[6:7]
	s_waitcnt vmcnt(0)
	v_subrev_co_u32_e32 v2, vcc, s2, v2
	s_nop 1
	v_subbrev_co_u32_e32 v3, vcc, 0, v3, vcc
	v_cmp_lt_i64_e32 vcc, v[0:1], v[2:3]
	s_and_b64 exec, exec, vcc
	s_cbranch_execz .LBB219_4
; %bb.2:
	s_load_dwordx4 s[4:7], s[0:1], 0x18
	s_load_dwordx2 s[8:9], s[0:1], 0x28
	s_load_dwordx2 s[10:11], s[0:1], 0x38
	s_waitcnt lgkmcnt(0)
	v_mad_u64_u32 v[6:7], s[0:1], s6, v4, 0
	v_mov_b32_e32 v8, v7
	v_mad_u64_u32 v[4:5], s[0:1], s7, v4, v[8:9]
	v_mov_b32_e32 v7, v4
	v_lshl_add_u64 v[4:5], v[6:7], 4, s[4:5]
	v_lshl_add_u64 v[6:7], v[0:1], 4, s[8:9]
	;; [unrolled: 1-line block ×3, first 2 shown]
	s_mov_b64 s[0:1], 0
.LBB219_3:                              ; =>This Inner Loop Header: Depth=1
	global_load_dwordx2 v[10:11], v[8:9], off
	v_lshl_add_u64 v[0:1], v[0:1], 0, 2
	v_lshl_add_u64 v[8:9], v[8:9], 0, 16
	s_waitcnt vmcnt(0)
	v_subrev_co_u32_e32 v10, vcc, s2, v10
	s_nop 1
	v_subbrev_co_u32_e32 v11, vcc, 0, v11, vcc
	v_lshl_add_u64 v[10:11], v[10:11], 4, v[4:5]
	global_load_dwordx4 v[10:13], v[10:11], off
	v_cmp_ge_i64_e32 vcc, v[0:1], v[2:3]
	s_or_b64 s[0:1], vcc, s[0:1]
	s_waitcnt vmcnt(0)
	global_store_dwordx4 v[6:7], v[10:13], off
	v_lshl_add_u64 v[6:7], v[6:7], 0, 32
	s_andn2_b64 exec, exec, s[0:1]
	s_cbranch_execnz .LBB219_3
.LBB219_4:
	s_endpgm
	.section	.rodata,"a",@progbits
	.p2align	6, 0x0
	.amdhsa_kernel _ZN9rocsparseL23sddmm_csx_sample_kernelILi512ELi2EL20rocsparse_direction_1E21rocsparse_complex_numIdEllS3_EEvT4_S4_T3_PKT5_S4_PS6_PKS5_PKS4_21rocsparse_index_base_
		.amdhsa_group_segment_fixed_size 0
		.amdhsa_private_segment_fixed_size 0
		.amdhsa_kernarg_size 68
		.amdhsa_user_sgpr_count 2
		.amdhsa_user_sgpr_dispatch_ptr 0
		.amdhsa_user_sgpr_queue_ptr 0
		.amdhsa_user_sgpr_kernarg_segment_ptr 1
		.amdhsa_user_sgpr_dispatch_id 0
		.amdhsa_user_sgpr_kernarg_preload_length 0
		.amdhsa_user_sgpr_kernarg_preload_offset 0
		.amdhsa_user_sgpr_private_segment_size 0
		.amdhsa_uses_dynamic_stack 0
		.amdhsa_enable_private_segment 0
		.amdhsa_system_sgpr_workgroup_id_x 1
		.amdhsa_system_sgpr_workgroup_id_y 0
		.amdhsa_system_sgpr_workgroup_id_z 0
		.amdhsa_system_sgpr_workgroup_info 0
		.amdhsa_system_vgpr_workitem_id 0
		.amdhsa_next_free_vgpr 14
		.amdhsa_next_free_sgpr 12
		.amdhsa_accum_offset 16
		.amdhsa_reserve_vcc 1
		.amdhsa_float_round_mode_32 0
		.amdhsa_float_round_mode_16_64 0
		.amdhsa_float_denorm_mode_32 3
		.amdhsa_float_denorm_mode_16_64 3
		.amdhsa_dx10_clamp 1
		.amdhsa_ieee_mode 1
		.amdhsa_fp16_overflow 0
		.amdhsa_tg_split 0
		.amdhsa_exception_fp_ieee_invalid_op 0
		.amdhsa_exception_fp_denorm_src 0
		.amdhsa_exception_fp_ieee_div_zero 0
		.amdhsa_exception_fp_ieee_overflow 0
		.amdhsa_exception_fp_ieee_underflow 0
		.amdhsa_exception_fp_ieee_inexact 0
		.amdhsa_exception_int_div_zero 0
	.end_amdhsa_kernel
	.section	.text._ZN9rocsparseL23sddmm_csx_sample_kernelILi512ELi2EL20rocsparse_direction_1E21rocsparse_complex_numIdEllS3_EEvT4_S4_T3_PKT5_S4_PS6_PKS5_PKS4_21rocsparse_index_base_,"axG",@progbits,_ZN9rocsparseL23sddmm_csx_sample_kernelILi512ELi2EL20rocsparse_direction_1E21rocsparse_complex_numIdEllS3_EEvT4_S4_T3_PKT5_S4_PS6_PKS5_PKS4_21rocsparse_index_base_,comdat
.Lfunc_end219:
	.size	_ZN9rocsparseL23sddmm_csx_sample_kernelILi512ELi2EL20rocsparse_direction_1E21rocsparse_complex_numIdEllS3_EEvT4_S4_T3_PKT5_S4_PS6_PKS5_PKS4_21rocsparse_index_base_, .Lfunc_end219-_ZN9rocsparseL23sddmm_csx_sample_kernelILi512ELi2EL20rocsparse_direction_1E21rocsparse_complex_numIdEllS3_EEvT4_S4_T3_PKT5_S4_PS6_PKS5_PKS4_21rocsparse_index_base_
                                        ; -- End function
	.set _ZN9rocsparseL23sddmm_csx_sample_kernelILi512ELi2EL20rocsparse_direction_1E21rocsparse_complex_numIdEllS3_EEvT4_S4_T3_PKT5_S4_PS6_PKS5_PKS4_21rocsparse_index_base_.num_vgpr, 14
	.set _ZN9rocsparseL23sddmm_csx_sample_kernelILi512ELi2EL20rocsparse_direction_1E21rocsparse_complex_numIdEllS3_EEvT4_S4_T3_PKT5_S4_PS6_PKS5_PKS4_21rocsparse_index_base_.num_agpr, 0
	.set _ZN9rocsparseL23sddmm_csx_sample_kernelILi512ELi2EL20rocsparse_direction_1E21rocsparse_complex_numIdEllS3_EEvT4_S4_T3_PKT5_S4_PS6_PKS5_PKS4_21rocsparse_index_base_.numbered_sgpr, 12
	.set _ZN9rocsparseL23sddmm_csx_sample_kernelILi512ELi2EL20rocsparse_direction_1E21rocsparse_complex_numIdEllS3_EEvT4_S4_T3_PKT5_S4_PS6_PKS5_PKS4_21rocsparse_index_base_.num_named_barrier, 0
	.set _ZN9rocsparseL23sddmm_csx_sample_kernelILi512ELi2EL20rocsparse_direction_1E21rocsparse_complex_numIdEllS3_EEvT4_S4_T3_PKT5_S4_PS6_PKS5_PKS4_21rocsparse_index_base_.private_seg_size, 0
	.set _ZN9rocsparseL23sddmm_csx_sample_kernelILi512ELi2EL20rocsparse_direction_1E21rocsparse_complex_numIdEllS3_EEvT4_S4_T3_PKT5_S4_PS6_PKS5_PKS4_21rocsparse_index_base_.uses_vcc, 1
	.set _ZN9rocsparseL23sddmm_csx_sample_kernelILi512ELi2EL20rocsparse_direction_1E21rocsparse_complex_numIdEllS3_EEvT4_S4_T3_PKT5_S4_PS6_PKS5_PKS4_21rocsparse_index_base_.uses_flat_scratch, 0
	.set _ZN9rocsparseL23sddmm_csx_sample_kernelILi512ELi2EL20rocsparse_direction_1E21rocsparse_complex_numIdEllS3_EEvT4_S4_T3_PKT5_S4_PS6_PKS5_PKS4_21rocsparse_index_base_.has_dyn_sized_stack, 0
	.set _ZN9rocsparseL23sddmm_csx_sample_kernelILi512ELi2EL20rocsparse_direction_1E21rocsparse_complex_numIdEllS3_EEvT4_S4_T3_PKT5_S4_PS6_PKS5_PKS4_21rocsparse_index_base_.has_recursion, 0
	.set _ZN9rocsparseL23sddmm_csx_sample_kernelILi512ELi2EL20rocsparse_direction_1E21rocsparse_complex_numIdEllS3_EEvT4_S4_T3_PKT5_S4_PS6_PKS5_PKS4_21rocsparse_index_base_.has_indirect_call, 0
	.section	.AMDGPU.csdata,"",@progbits
; Kernel info:
; codeLenInByte = 336
; TotalNumSgprs: 18
; NumVgprs: 14
; NumAgprs: 0
; TotalNumVgprs: 14
; ScratchSize: 0
; MemoryBound: 0
; FloatMode: 240
; IeeeMode: 1
; LDSByteSize: 0 bytes/workgroup (compile time only)
; SGPRBlocks: 2
; VGPRBlocks: 1
; NumSGPRsForWavesPerEU: 18
; NumVGPRsForWavesPerEU: 14
; AccumOffset: 16
; Occupancy: 8
; WaveLimiterHint : 0
; COMPUTE_PGM_RSRC2:SCRATCH_EN: 0
; COMPUTE_PGM_RSRC2:USER_SGPR: 2
; COMPUTE_PGM_RSRC2:TRAP_HANDLER: 0
; COMPUTE_PGM_RSRC2:TGID_X_EN: 1
; COMPUTE_PGM_RSRC2:TGID_Y_EN: 0
; COMPUTE_PGM_RSRC2:TGID_Z_EN: 0
; COMPUTE_PGM_RSRC2:TIDIG_COMP_CNT: 0
; COMPUTE_PGM_RSRC3_GFX90A:ACCUM_OFFSET: 3
; COMPUTE_PGM_RSRC3_GFX90A:TG_SPLIT: 0
	.section	.text._ZN9rocsparseL23sddmm_csx_sample_kernelILi512ELi1EL20rocsparse_direction_1E21rocsparse_complex_numIdEllS3_EEvT4_S4_T3_PKT5_S4_PS6_PKS5_PKS4_21rocsparse_index_base_,"axG",@progbits,_ZN9rocsparseL23sddmm_csx_sample_kernelILi512ELi1EL20rocsparse_direction_1E21rocsparse_complex_numIdEllS3_EEvT4_S4_T3_PKT5_S4_PS6_PKS5_PKS4_21rocsparse_index_base_,comdat
	.globl	_ZN9rocsparseL23sddmm_csx_sample_kernelILi512ELi1EL20rocsparse_direction_1E21rocsparse_complex_numIdEllS3_EEvT4_S4_T3_PKT5_S4_PS6_PKS5_PKS4_21rocsparse_index_base_ ; -- Begin function _ZN9rocsparseL23sddmm_csx_sample_kernelILi512ELi1EL20rocsparse_direction_1E21rocsparse_complex_numIdEllS3_EEvT4_S4_T3_PKT5_S4_PS6_PKS5_PKS4_21rocsparse_index_base_
	.p2align	8
	.type	_ZN9rocsparseL23sddmm_csx_sample_kernelILi512ELi1EL20rocsparse_direction_1E21rocsparse_complex_numIdEllS3_EEvT4_S4_T3_PKT5_S4_PS6_PKS5_PKS4_21rocsparse_index_base_,@function
_ZN9rocsparseL23sddmm_csx_sample_kernelILi512ELi1EL20rocsparse_direction_1E21rocsparse_complex_numIdEllS3_EEvT4_S4_T3_PKT5_S4_PS6_PKS5_PKS4_21rocsparse_index_base_: ; @_ZN9rocsparseL23sddmm_csx_sample_kernelILi512ELi1EL20rocsparse_direction_1E21rocsparse_complex_numIdEllS3_EEvT4_S4_T3_PKT5_S4_PS6_PKS5_PKS4_21rocsparse_index_base_
; %bb.0:
	s_load_dwordx2 s[4:5], s[0:1], 0x8
	v_lshl_or_b32 v4, s2, 9, v0
	v_mov_b32_e32 v5, 0
	s_waitcnt lgkmcnt(0)
	v_cmp_gt_i64_e32 vcc, s[4:5], v[4:5]
	s_and_saveexec_b64 s[2:3], vcc
	s_cbranch_execz .LBB220_4
; %bb.1:
	s_load_dwordx2 s[2:3], s[0:1], 0x30
	v_add_u32_e32 v0, 1, v4
	v_mov_b32_e32 v1, v5
	s_waitcnt lgkmcnt(0)
	v_lshl_add_u64 v[2:3], v[4:5], 3, s[2:3]
	v_lshl_add_u64 v[8:9], v[0:1], 3, s[2:3]
	global_load_dwordx2 v[6:7], v[2:3], off
	global_load_dwordx2 v[0:1], v[8:9], off
	s_waitcnt vmcnt(0)
	v_cmp_lt_i64_e32 vcc, v[6:7], v[0:1]
	s_and_b64 exec, exec, vcc
	s_cbranch_execz .LBB220_4
; %bb.2:
	s_load_dwordx2 s[8:9], s[0:1], 0x38
	s_load_dword s2, s[0:1], 0x40
	s_load_dwordx4 s[4:7], s[0:1], 0x18
	s_load_dwordx2 s[10:11], s[0:1], 0x28
	s_mov_b32 s3, 0
	s_waitcnt lgkmcnt(0)
	v_subrev_co_u32_e32 v0, vcc, s2, v0
	v_mad_u64_u32 v[8:9], s[0:1], s6, v4, 0
	v_mov_b32_e32 v10, v9
	v_subbrev_co_u32_e32 v1, vcc, 0, v1, vcc
	v_mad_u64_u32 v[4:5], s[0:1], s7, v4, v[10:11]
	v_subrev_co_u32_e32 v2, vcc, s2, v6
	v_mov_b32_e32 v9, v4
	s_nop 0
	v_subbrev_co_u32_e32 v3, vcc, 0, v7, vcc
	v_lshl_add_u64 v[4:5], v[8:9], 4, s[4:5]
	v_lshlrev_b64 v[8:9], 4, v[6:7]
	s_lshl_b64 s[0:1], s[2:3], 4
	v_mov_b32_e32 v10, s1
	v_subrev_co_u32_e32 v8, vcc, s0, v8
	v_lshlrev_b64 v[6:7], 3, v[6:7]
	s_nop 0
	v_subb_co_u32_e32 v9, vcc, v9, v10, vcc
	s_lshl_b64 s[0:1], s[2:3], 3
	v_mov_b32_e32 v10, s1
	v_subrev_co_u32_e32 v6, vcc, s0, v6
	v_lshl_add_u64 v[8:9], s[10:11], 0, v[8:9]
	s_nop 0
	v_subb_co_u32_e32 v7, vcc, v7, v10, vcc
	v_lshl_add_u64 v[6:7], s[8:9], 0, v[6:7]
	s_mov_b64 s[0:1], 0
.LBB220_3:                              ; =>This Inner Loop Header: Depth=1
	global_load_dwordx2 v[10:11], v[6:7], off
	v_lshl_add_u64 v[2:3], v[2:3], 0, 1
	v_lshl_add_u64 v[6:7], v[6:7], 0, 8
	s_waitcnt vmcnt(0)
	v_subrev_co_u32_e32 v10, vcc, s2, v10
	s_nop 1
	v_subbrev_co_u32_e32 v11, vcc, 0, v11, vcc
	v_lshl_add_u64 v[10:11], v[10:11], 4, v[4:5]
	global_load_dwordx4 v[10:13], v[10:11], off
	v_cmp_ge_i64_e32 vcc, v[2:3], v[0:1]
	s_or_b64 s[0:1], vcc, s[0:1]
	s_waitcnt vmcnt(0)
	global_store_dwordx4 v[8:9], v[10:13], off
	v_lshl_add_u64 v[8:9], v[8:9], 0, 16
	s_andn2_b64 exec, exec, s[0:1]
	s_cbranch_execnz .LBB220_3
.LBB220_4:
	s_endpgm
	.section	.rodata,"a",@progbits
	.p2align	6, 0x0
	.amdhsa_kernel _ZN9rocsparseL23sddmm_csx_sample_kernelILi512ELi1EL20rocsparse_direction_1E21rocsparse_complex_numIdEllS3_EEvT4_S4_T3_PKT5_S4_PS6_PKS5_PKS4_21rocsparse_index_base_
		.amdhsa_group_segment_fixed_size 0
		.amdhsa_private_segment_fixed_size 0
		.amdhsa_kernarg_size 68
		.amdhsa_user_sgpr_count 2
		.amdhsa_user_sgpr_dispatch_ptr 0
		.amdhsa_user_sgpr_queue_ptr 0
		.amdhsa_user_sgpr_kernarg_segment_ptr 1
		.amdhsa_user_sgpr_dispatch_id 0
		.amdhsa_user_sgpr_kernarg_preload_length 0
		.amdhsa_user_sgpr_kernarg_preload_offset 0
		.amdhsa_user_sgpr_private_segment_size 0
		.amdhsa_uses_dynamic_stack 0
		.amdhsa_enable_private_segment 0
		.amdhsa_system_sgpr_workgroup_id_x 1
		.amdhsa_system_sgpr_workgroup_id_y 0
		.amdhsa_system_sgpr_workgroup_id_z 0
		.amdhsa_system_sgpr_workgroup_info 0
		.amdhsa_system_vgpr_workitem_id 0
		.amdhsa_next_free_vgpr 14
		.amdhsa_next_free_sgpr 12
		.amdhsa_accum_offset 16
		.amdhsa_reserve_vcc 1
		.amdhsa_float_round_mode_32 0
		.amdhsa_float_round_mode_16_64 0
		.amdhsa_float_denorm_mode_32 3
		.amdhsa_float_denorm_mode_16_64 3
		.amdhsa_dx10_clamp 1
		.amdhsa_ieee_mode 1
		.amdhsa_fp16_overflow 0
		.amdhsa_tg_split 0
		.amdhsa_exception_fp_ieee_invalid_op 0
		.amdhsa_exception_fp_denorm_src 0
		.amdhsa_exception_fp_ieee_div_zero 0
		.amdhsa_exception_fp_ieee_overflow 0
		.amdhsa_exception_fp_ieee_underflow 0
		.amdhsa_exception_fp_ieee_inexact 0
		.amdhsa_exception_int_div_zero 0
	.end_amdhsa_kernel
	.section	.text._ZN9rocsparseL23sddmm_csx_sample_kernelILi512ELi1EL20rocsparse_direction_1E21rocsparse_complex_numIdEllS3_EEvT4_S4_T3_PKT5_S4_PS6_PKS5_PKS4_21rocsparse_index_base_,"axG",@progbits,_ZN9rocsparseL23sddmm_csx_sample_kernelILi512ELi1EL20rocsparse_direction_1E21rocsparse_complex_numIdEllS3_EEvT4_S4_T3_PKT5_S4_PS6_PKS5_PKS4_21rocsparse_index_base_,comdat
.Lfunc_end220:
	.size	_ZN9rocsparseL23sddmm_csx_sample_kernelILi512ELi1EL20rocsparse_direction_1E21rocsparse_complex_numIdEllS3_EEvT4_S4_T3_PKT5_S4_PS6_PKS5_PKS4_21rocsparse_index_base_, .Lfunc_end220-_ZN9rocsparseL23sddmm_csx_sample_kernelILi512ELi1EL20rocsparse_direction_1E21rocsparse_complex_numIdEllS3_EEvT4_S4_T3_PKT5_S4_PS6_PKS5_PKS4_21rocsparse_index_base_
                                        ; -- End function
	.set _ZN9rocsparseL23sddmm_csx_sample_kernelILi512ELi1EL20rocsparse_direction_1E21rocsparse_complex_numIdEllS3_EEvT4_S4_T3_PKT5_S4_PS6_PKS5_PKS4_21rocsparse_index_base_.num_vgpr, 14
	.set _ZN9rocsparseL23sddmm_csx_sample_kernelILi512ELi1EL20rocsparse_direction_1E21rocsparse_complex_numIdEllS3_EEvT4_S4_T3_PKT5_S4_PS6_PKS5_PKS4_21rocsparse_index_base_.num_agpr, 0
	.set _ZN9rocsparseL23sddmm_csx_sample_kernelILi512ELi1EL20rocsparse_direction_1E21rocsparse_complex_numIdEllS3_EEvT4_S4_T3_PKT5_S4_PS6_PKS5_PKS4_21rocsparse_index_base_.numbered_sgpr, 12
	.set _ZN9rocsparseL23sddmm_csx_sample_kernelILi512ELi1EL20rocsparse_direction_1E21rocsparse_complex_numIdEllS3_EEvT4_S4_T3_PKT5_S4_PS6_PKS5_PKS4_21rocsparse_index_base_.num_named_barrier, 0
	.set _ZN9rocsparseL23sddmm_csx_sample_kernelILi512ELi1EL20rocsparse_direction_1E21rocsparse_complex_numIdEllS3_EEvT4_S4_T3_PKT5_S4_PS6_PKS5_PKS4_21rocsparse_index_base_.private_seg_size, 0
	.set _ZN9rocsparseL23sddmm_csx_sample_kernelILi512ELi1EL20rocsparse_direction_1E21rocsparse_complex_numIdEllS3_EEvT4_S4_T3_PKT5_S4_PS6_PKS5_PKS4_21rocsparse_index_base_.uses_vcc, 1
	.set _ZN9rocsparseL23sddmm_csx_sample_kernelILi512ELi1EL20rocsparse_direction_1E21rocsparse_complex_numIdEllS3_EEvT4_S4_T3_PKT5_S4_PS6_PKS5_PKS4_21rocsparse_index_base_.uses_flat_scratch, 0
	.set _ZN9rocsparseL23sddmm_csx_sample_kernelILi512ELi1EL20rocsparse_direction_1E21rocsparse_complex_numIdEllS3_EEvT4_S4_T3_PKT5_S4_PS6_PKS5_PKS4_21rocsparse_index_base_.has_dyn_sized_stack, 0
	.set _ZN9rocsparseL23sddmm_csx_sample_kernelILi512ELi1EL20rocsparse_direction_1E21rocsparse_complex_numIdEllS3_EEvT4_S4_T3_PKT5_S4_PS6_PKS5_PKS4_21rocsparse_index_base_.has_recursion, 0
	.set _ZN9rocsparseL23sddmm_csx_sample_kernelILi512ELi1EL20rocsparse_direction_1E21rocsparse_complex_numIdEllS3_EEvT4_S4_T3_PKT5_S4_PS6_PKS5_PKS4_21rocsparse_index_base_.has_indirect_call, 0
	.section	.AMDGPU.csdata,"",@progbits
; Kernel info:
; codeLenInByte = 368
; TotalNumSgprs: 18
; NumVgprs: 14
; NumAgprs: 0
; TotalNumVgprs: 14
; ScratchSize: 0
; MemoryBound: 0
; FloatMode: 240
; IeeeMode: 1
; LDSByteSize: 0 bytes/workgroup (compile time only)
; SGPRBlocks: 2
; VGPRBlocks: 1
; NumSGPRsForWavesPerEU: 18
; NumVGPRsForWavesPerEU: 14
; AccumOffset: 16
; Occupancy: 8
; WaveLimiterHint : 0
; COMPUTE_PGM_RSRC2:SCRATCH_EN: 0
; COMPUTE_PGM_RSRC2:USER_SGPR: 2
; COMPUTE_PGM_RSRC2:TRAP_HANDLER: 0
; COMPUTE_PGM_RSRC2:TGID_X_EN: 1
; COMPUTE_PGM_RSRC2:TGID_Y_EN: 0
; COMPUTE_PGM_RSRC2:TGID_Z_EN: 0
; COMPUTE_PGM_RSRC2:TIDIG_COMP_CNT: 0
; COMPUTE_PGM_RSRC3_GFX90A:ACCUM_OFFSET: 3
; COMPUTE_PGM_RSRC3_GFX90A:TG_SPLIT: 0
	.section	.text._ZN9rocsparseL16sddmm_csx_kernelILi512ELi8EL20rocsparse_direction_0E21rocsparse_complex_numIdEllS3_S3_S3_EEv20rocsparse_operation_S4_16rocsparse_order_S5_T4_S6_S6_T3_NS_24const_host_device_scalarIT2_EEPKT5_lPKT6_lSA_PT7_PKS7_PKS6_21rocsparse_index_base_b,"axG",@progbits,_ZN9rocsparseL16sddmm_csx_kernelILi512ELi8EL20rocsparse_direction_0E21rocsparse_complex_numIdEllS3_S3_S3_EEv20rocsparse_operation_S4_16rocsparse_order_S5_T4_S6_S6_T3_NS_24const_host_device_scalarIT2_EEPKT5_lPKT6_lSA_PT7_PKS7_PKS6_21rocsparse_index_base_b,comdat
	.globl	_ZN9rocsparseL16sddmm_csx_kernelILi512ELi8EL20rocsparse_direction_0E21rocsparse_complex_numIdEllS3_S3_S3_EEv20rocsparse_operation_S4_16rocsparse_order_S5_T4_S6_S6_T3_NS_24const_host_device_scalarIT2_EEPKT5_lPKT6_lSA_PT7_PKS7_PKS6_21rocsparse_index_base_b ; -- Begin function _ZN9rocsparseL16sddmm_csx_kernelILi512ELi8EL20rocsparse_direction_0E21rocsparse_complex_numIdEllS3_S3_S3_EEv20rocsparse_operation_S4_16rocsparse_order_S5_T4_S6_S6_T3_NS_24const_host_device_scalarIT2_EEPKT5_lPKT6_lSA_PT7_PKS7_PKS6_21rocsparse_index_base_b
	.p2align	8
	.type	_ZN9rocsparseL16sddmm_csx_kernelILi512ELi8EL20rocsparse_direction_0E21rocsparse_complex_numIdEllS3_S3_S3_EEv20rocsparse_operation_S4_16rocsparse_order_S5_T4_S6_S6_T3_NS_24const_host_device_scalarIT2_EEPKT5_lPKT6_lSA_PT7_PKS7_PKS6_21rocsparse_index_base_b,@function
_ZN9rocsparseL16sddmm_csx_kernelILi512ELi8EL20rocsparse_direction_0E21rocsparse_complex_numIdEllS3_S3_S3_EEv20rocsparse_operation_S4_16rocsparse_order_S5_T4_S6_S6_T3_NS_24const_host_device_scalarIT2_EEPKT5_lPKT6_lSA_PT7_PKS7_PKS6_21rocsparse_index_base_b: ; @_ZN9rocsparseL16sddmm_csx_kernelILi512ELi8EL20rocsparse_direction_0E21rocsparse_complex_numIdEllS3_S3_S3_EEv20rocsparse_operation_S4_16rocsparse_order_S5_T4_S6_S6_T3_NS_24const_host_device_scalarIT2_EEPKT5_lPKT6_lSA_PT7_PKS7_PKS6_21rocsparse_index_base_b
; %bb.0:
	s_load_dwordx2 s[4:5], s[0:1], 0x30
	s_load_dwordx4 s[16:19], s[0:1], 0x58
	s_load_dwordx2 s[14:15], s[0:1], 0x88
	s_add_u32 s3, s0, 48
	s_addc_u32 s6, s1, 0
	s_add_u32 s7, s0, 0x60
	s_addc_u32 s8, s1, 0
	s_waitcnt lgkmcnt(0)
	s_bitcmp1_b32 s15, 0
	s_cselect_b32 s5, s6, s5
	s_cselect_b32 s3, s3, s4
	v_mov_b32_e32 v2, s3
	v_mov_b32_e32 v3, s5
	flat_load_dwordx4 v[2:5], v[2:3]
	s_cselect_b32 s3, s8, s19
	s_cselect_b32 s4, s7, s18
	v_mov_b32_e32 v6, s4
	v_mov_b32_e32 v7, s3
	flat_load_dwordx4 v[6:9], v[6:7]
	s_waitcnt vmcnt(0) lgkmcnt(0)
	v_cmp_eq_f64_e32 vcc, 0, v[2:3]
	v_cmp_eq_f64_e64 s[4:5], 0, v[4:5]
	s_and_b64 s[8:9], vcc, s[4:5]
	s_mov_b64 s[4:5], -1
	s_and_saveexec_b64 s[6:7], s[8:9]
; %bb.1:
	v_cmp_neq_f64_e32 vcc, 1.0, v[6:7]
	v_cmp_neq_f64_e64 s[4:5], 0, v[8:9]
	s_or_b64 s[4:5], vcc, s[4:5]
	s_orn2_b64 s[4:5], s[4:5], exec
; %bb.2:
	s_or_b64 exec, exec, s[6:7]
	s_and_saveexec_b64 s[6:7], s[4:5]
	s_cbranch_execz .LBB221_34
; %bb.3:
	s_load_dwordx2 s[4:5], s[0:1], 0x10
	v_lshrrev_b32_e32 v16, 3, v0
	v_lshl_or_b32 v10, s2, 6, v16
	v_mov_b32_e32 v11, 0
	s_waitcnt lgkmcnt(0)
	v_cmp_gt_i64_e32 vcc, s[4:5], v[10:11]
	s_and_b64 exec, exec, vcc
	s_cbranch_execz .LBB221_34
; %bb.4:
	s_load_dwordx4 s[4:7], s[0:1], 0x0
	s_load_dwordx2 s[12:13], s[0:1], 0x78
	s_load_dwordx2 s[2:3], s[0:1], 0x48
	s_waitcnt lgkmcnt(0)
	s_cmp_eq_u32 s6, 1
	s_cselect_b64 s[8:9], -1, 0
	s_cmpk_eq_i32 s4, 0x6f
	s_cselect_b64 s[10:11], -1, 0
	s_cmpk_lg_i32 s4, 0x6f
	s_cselect_b64 s[18:19], -1, 0
	s_cmp_lg_u32 s6, 1
	s_cbranch_scc0 .LBB221_8
; %bb.5:
	s_andn2_b64 vcc, exec, s[10:11]
	v_mov_b64_e32 v[18:19], v[10:11]
	s_cbranch_vccnz .LBB221_7
; %bb.6:
	v_mad_u64_u32 v[18:19], s[20:21], s2, v10, 0
	v_mov_b32_e32 v12, v19
	v_mad_u64_u32 v[12:13], s[20:21], s3, v10, v[12:13]
	v_mov_b32_e32 v19, v12
.LBB221_7:
	s_cbranch_execz .LBB221_9
	s_branch .LBB221_11
.LBB221_8:
                                        ; implicit-def: $vgpr18_vgpr19
.LBB221_9:
	s_andn2_b64 vcc, exec, s[18:19]
	v_mov_b64_e32 v[18:19], v[10:11]
	s_cbranch_vccnz .LBB221_11
; %bb.10:
	v_mad_u64_u32 v[18:19], s[18:19], s2, v10, 0
	v_mov_b32_e32 v12, v19
	v_mad_u64_u32 v[12:13], s[18:19], s3, v10, v[12:13]
	v_mov_b32_e32 v19, v12
.LBB221_11:
	v_lshl_add_u64 v[10:11], v[10:11], 3, s[12:13]
	global_load_dwordx4 v[10:13], v[10:11], off
	s_waitcnt vmcnt(0)
	v_cmp_lt_i64_e32 vcc, v[10:11], v[12:13]
	s_and_b64 exec, exec, vcc
	s_cbranch_execz .LBB221_34
; %bb.12:
	s_xor_b64 s[8:9], s[10:11], s[8:9]
	s_and_b64 s[8:9], s[8:9], exec
	s_cselect_b32 s9, 0, s3
	s_cselect_b32 s8, 1, s2
	s_cmp_lg_u32 s7, 1
	v_and_b32_e32 v0, 7, v0
	v_subrev_co_u32_e32 v14, vcc, s14, v10
	s_cselect_b64 s[20:21], -1, 0
	s_cmp_eq_u32 s7, 1
	v_subbrev_co_u32_e32 v15, vcc, 0, v11, vcc
	v_mad_u64_u32 v[10:11], s[30:31], s8, v0, 0
	s_cselect_b64 s[2:3], -1, 0
	s_cmpk_eq_i32 s5, 0x6f
	s_load_dwordx2 s[22:23], s[0:1], 0x70
	s_load_dwordx2 s[28:29], s[0:1], 0x50
	;; [unrolled: 1-line block ×4, first 2 shown]
	v_lshlrev_b32_e32 v28, 7, v16
	v_subrev_co_u32_e32 v16, vcc, s14, v12
	v_mov_b32_e32 v12, v11
	s_cselect_b64 s[6:7], -1, 0
	s_cmpk_lg_i32 s5, 0x6f
	v_subbrev_co_u32_e32 v17, vcc, 0, v13, vcc
	v_mad_u64_u32 v[12:13], s[30:31], s9, v0, v[12:13]
	s_cselect_b64 s[10:11], -1, 0
	s_xor_b64 s[2:3], s[6:7], s[2:3]
	v_mov_b32_e32 v11, v12
	v_lshlrev_b64 v[12:13], 4, v[18:19]
	s_and_b64 s[2:3], s[2:3], exec
	v_lshl_add_u64 v[10:11], v[10:11], 4, v[12:13]
	s_cselect_b32 s12, s16, 1
	s_waitcnt lgkmcnt(0)
	v_lshl_add_u64 v[10:11], s[26:27], 0, v[10:11]
	s_cselect_b32 s13, s17, 0
	v_lshl_add_u64 v[18:19], v[10:11], 0, 8
	s_lshl_b64 s[26:27], s[8:9], 7
	v_mad_u64_u32 v[10:11], s[8:9], s12, v0, 0
	v_mov_b32_e32 v12, v11
	s_load_dwordx2 s[18:19], s[0:1], 0x80
	v_mad_u64_u32 v[12:13], s[8:9], s13, v0, v[12:13]
	v_mov_b32_e32 v11, v12
	v_lshl_add_u64 v[10:11], v[10:11], 4, s[28:29]
	v_cndmask_b32_e64 v22, 0, 1, s[6:7]
	v_mov_b32_e32 v1, 0
	v_lshl_add_u64 v[20:21], v[10:11], 0, 8
	v_cndmask_b32_e64 v10, 0, 1, s[10:11]
	v_cmp_gt_i64_e64 s[0:1], s[24:25], v[0:1]
	v_lshl_or_b32 v29, v0, 4, v28
	v_cmp_eq_u32_e64 s[2:3], 0, v0
	v_cmp_gt_u32_e64 s[4:5], 4, v0
	v_cmp_gt_u32_e64 s[6:7], 2, v0
	s_lshl_b64 s[28:29], s[12:13], 7
	s_mov_b64 s[30:31], 0
	v_cmp_ne_u32_e64 s[8:9], 1, v10
	v_cmp_ne_u32_e64 s[10:11], 1, v22
	s_branch .LBB221_14
.LBB221_13:                             ;   in Loop: Header=BB221_14 Depth=1
	s_or_b64 exec, exec, s[12:13]
	v_lshl_add_u64 v[14:15], v[14:15], 0, 1
	v_cmp_ge_i64_e32 vcc, v[14:15], v[16:17]
	s_or_b64 s[30:31], vcc, s[30:31]
	s_andn2_b64 exec, exec, s[30:31]
	s_cbranch_execz .LBB221_34
.LBB221_14:                             ; =>This Loop Header: Depth=1
                                        ;     Child Loop BB221_24 Depth 2
	s_waitcnt lgkmcnt(0)
	v_lshl_add_u64 v[10:11], v[14:15], 3, s[18:19]
	global_load_dwordx2 v[10:11], v[10:11], off
	s_mov_b64 s[34:35], -1
	s_and_b64 vcc, exec, s[20:21]
                                        ; implicit-def: $vgpr22_vgpr23
	s_waitcnt vmcnt(0)
	v_subrev_co_u32_e64 v10, s[12:13], s14, v10
	s_nop 1
	v_subbrev_co_u32_e64 v11, s[12:13], 0, v11, s[12:13]
	s_cbranch_vccnz .LBB221_17
; %bb.15:                               ;   in Loop: Header=BB221_14 Depth=1
	s_andn2_b64 vcc, exec, s[34:35]
	s_cbranch_vccz .LBB221_20
.LBB221_16:                             ;   in Loop: Header=BB221_14 Depth=1
	v_mov_b64_e32 v[12:13], 0
	v_mov_b64_e32 v[10:11], 0
	s_and_saveexec_b64 s[12:13], s[0:1]
	s_cbranch_execnz .LBB221_23
	s_branch .LBB221_26
.LBB221_17:                             ;   in Loop: Header=BB221_14 Depth=1
	s_and_b64 vcc, exec, s[8:9]
	v_mov_b64_e32 v[22:23], v[10:11]
	s_cbranch_vccnz .LBB221_19
; %bb.18:                               ;   in Loop: Header=BB221_14 Depth=1
	v_mul_lo_u32 v12, v11, s16
	v_mul_lo_u32 v13, v10, s17
	v_mad_u64_u32 v[22:23], s[12:13], v10, s16, 0
	v_add3_u32 v23, v23, v13, v12
.LBB221_19:                             ;   in Loop: Header=BB221_14 Depth=1
	s_cbranch_execnz .LBB221_16
.LBB221_20:                             ;   in Loop: Header=BB221_14 Depth=1
	s_and_b64 vcc, exec, s[10:11]
	s_cbranch_vccnz .LBB221_22
; %bb.21:                               ;   in Loop: Header=BB221_14 Depth=1
	v_mul_lo_u32 v12, v11, s16
	v_mul_lo_u32 v13, v10, s17
	v_mad_u64_u32 v[10:11], s[12:13], v10, s16, 0
	v_add3_u32 v11, v11, v13, v12
.LBB221_22:                             ;   in Loop: Header=BB221_14 Depth=1
	v_mov_b64_e32 v[22:23], v[10:11]
	v_mov_b64_e32 v[12:13], 0
	;; [unrolled: 1-line block ×3, first 2 shown]
	s_and_saveexec_b64 s[12:13], s[0:1]
	s_cbranch_execz .LBB221_26
.LBB221_23:                             ;   in Loop: Header=BB221_14 Depth=1
	v_mov_b64_e32 v[12:13], 0
	v_lshl_add_u64 v[22:23], v[22:23], 4, v[20:21]
	s_mov_b64 s[34:35], 0
	v_mov_b64_e32 v[24:25], v[18:19]
	v_mov_b64_e32 v[26:27], v[0:1]
	;; [unrolled: 1-line block ×3, first 2 shown]
.LBB221_24:                             ;   Parent Loop BB221_14 Depth=1
                                        ; =>  This Inner Loop Header: Depth=2
	global_load_dwordx4 v[30:33], v[22:23], off offset:-8
	global_load_dwordx4 v[34:37], v[24:25], off offset:-8
	v_lshl_add_u64 v[26:27], v[26:27], 0, 8
	v_cmp_le_i64_e32 vcc, s[24:25], v[26:27]
	v_lshl_add_u64 v[24:25], v[24:25], 0, s[26:27]
	v_lshl_add_u64 v[22:23], v[22:23], 0, s[28:29]
	s_or_b64 s[34:35], vcc, s[34:35]
	s_waitcnt vmcnt(0)
	v_mul_f64 v[38:39], v[32:33], -v[36:37]
	v_mul_f64 v[32:33], v[32:33], v[34:35]
	v_fmac_f64_e32 v[38:39], v[34:35], v[30:31]
	v_fmac_f64_e32 v[32:33], v[36:37], v[30:31]
	v_add_f64 v[10:11], v[10:11], v[38:39]
	v_add_f64 v[12:13], v[12:13], v[32:33]
	s_andn2_b64 exec, exec, s[34:35]
	s_cbranch_execnz .LBB221_24
; %bb.25:                               ;   in Loop: Header=BB221_14 Depth=1
	s_or_b64 exec, exec, s[34:35]
.LBB221_26:                             ;   in Loop: Header=BB221_14 Depth=1
	s_or_b64 exec, exec, s[12:13]
	ds_write_b128 v29, v[10:13]
	s_waitcnt lgkmcnt(0)
	s_barrier
	s_and_saveexec_b64 s[12:13], s[4:5]
	s_cbranch_execz .LBB221_28
; %bb.27:                               ;   in Loop: Header=BB221_14 Depth=1
	ds_read_b128 v[10:13], v29 offset:64
	ds_read_b128 v[22:25], v29
	s_waitcnt lgkmcnt(0)
	v_add_f64 v[10:11], v[10:11], v[22:23]
	v_add_f64 v[12:13], v[12:13], v[24:25]
	ds_write_b128 v29, v[10:13]
.LBB221_28:                             ;   in Loop: Header=BB221_14 Depth=1
	s_or_b64 exec, exec, s[12:13]
	s_waitcnt lgkmcnt(0)
	s_barrier
	s_and_saveexec_b64 s[12:13], s[6:7]
	s_cbranch_execz .LBB221_30
; %bb.29:                               ;   in Loop: Header=BB221_14 Depth=1
	ds_read_b128 v[10:13], v29
	ds_read_b128 v[22:25], v29 offset:32
	s_waitcnt lgkmcnt(0)
	v_add_f64 v[10:11], v[22:23], v[10:11]
	v_add_f64 v[12:13], v[24:25], v[12:13]
	ds_write_b128 v29, v[10:13]
.LBB221_30:                             ;   in Loop: Header=BB221_14 Depth=1
	s_or_b64 exec, exec, s[12:13]
	s_waitcnt lgkmcnt(0)
	s_barrier
	s_and_saveexec_b64 s[12:13], s[2:3]
	s_cbranch_execz .LBB221_32
; %bb.31:                               ;   in Loop: Header=BB221_14 Depth=1
	ds_read_b128 v[10:13], v29
	ds_read_b128 v[22:25], v29 offset:16
	s_waitcnt lgkmcnt(0)
	v_add_f64 v[10:11], v[22:23], v[10:11]
	v_add_f64 v[12:13], v[24:25], v[12:13]
	ds_write_b128 v29, v[10:13]
.LBB221_32:                             ;   in Loop: Header=BB221_14 Depth=1
	s_or_b64 exec, exec, s[12:13]
	s_waitcnt lgkmcnt(0)
	s_barrier
	s_and_saveexec_b64 s[12:13], s[2:3]
	s_cbranch_execz .LBB221_13
; %bb.33:                               ;   in Loop: Header=BB221_14 Depth=1
	v_lshl_add_u64 v[26:27], v[14:15], 4, s[22:23]
	global_load_dwordx4 v[10:13], v[26:27], off
	ds_read_b128 v[22:25], v28
	s_waitcnt lgkmcnt(0)
	v_mul_f64 v[30:31], v[24:25], -v[4:5]
	v_mul_f64 v[24:25], v[2:3], v[24:25]
	v_fmac_f64_e32 v[30:31], v[2:3], v[22:23]
	v_fmac_f64_e32 v[24:25], v[4:5], v[22:23]
	s_waitcnt vmcnt(0)
	v_mul_f64 v[22:23], v[8:9], -v[12:13]
	v_mul_f64 v[32:33], v[8:9], v[10:11]
	v_fmac_f64_e32 v[22:23], v[10:11], v[6:7]
	v_fmac_f64_e32 v[32:33], v[12:13], v[6:7]
	v_add_f64 v[10:11], v[22:23], v[30:31]
	v_add_f64 v[12:13], v[32:33], v[24:25]
	global_store_dwordx4 v[26:27], v[10:13], off
	s_branch .LBB221_13
.LBB221_34:
	s_endpgm
	.section	.rodata,"a",@progbits
	.p2align	6, 0x0
	.amdhsa_kernel _ZN9rocsparseL16sddmm_csx_kernelILi512ELi8EL20rocsparse_direction_0E21rocsparse_complex_numIdEllS3_S3_S3_EEv20rocsparse_operation_S4_16rocsparse_order_S5_T4_S6_S6_T3_NS_24const_host_device_scalarIT2_EEPKT5_lPKT6_lSA_PT7_PKS7_PKS6_21rocsparse_index_base_b
		.amdhsa_group_segment_fixed_size 8192
		.amdhsa_private_segment_fixed_size 0
		.amdhsa_kernarg_size 144
		.amdhsa_user_sgpr_count 2
		.amdhsa_user_sgpr_dispatch_ptr 0
		.amdhsa_user_sgpr_queue_ptr 0
		.amdhsa_user_sgpr_kernarg_segment_ptr 1
		.amdhsa_user_sgpr_dispatch_id 0
		.amdhsa_user_sgpr_kernarg_preload_length 0
		.amdhsa_user_sgpr_kernarg_preload_offset 0
		.amdhsa_user_sgpr_private_segment_size 0
		.amdhsa_uses_dynamic_stack 0
		.amdhsa_enable_private_segment 0
		.amdhsa_system_sgpr_workgroup_id_x 1
		.amdhsa_system_sgpr_workgroup_id_y 0
		.amdhsa_system_sgpr_workgroup_id_z 0
		.amdhsa_system_sgpr_workgroup_info 0
		.amdhsa_system_vgpr_workitem_id 0
		.amdhsa_next_free_vgpr 40
		.amdhsa_next_free_sgpr 36
		.amdhsa_accum_offset 40
		.amdhsa_reserve_vcc 1
		.amdhsa_float_round_mode_32 0
		.amdhsa_float_round_mode_16_64 0
		.amdhsa_float_denorm_mode_32 3
		.amdhsa_float_denorm_mode_16_64 3
		.amdhsa_dx10_clamp 1
		.amdhsa_ieee_mode 1
		.amdhsa_fp16_overflow 0
		.amdhsa_tg_split 0
		.amdhsa_exception_fp_ieee_invalid_op 0
		.amdhsa_exception_fp_denorm_src 0
		.amdhsa_exception_fp_ieee_div_zero 0
		.amdhsa_exception_fp_ieee_overflow 0
		.amdhsa_exception_fp_ieee_underflow 0
		.amdhsa_exception_fp_ieee_inexact 0
		.amdhsa_exception_int_div_zero 0
	.end_amdhsa_kernel
	.section	.text._ZN9rocsparseL16sddmm_csx_kernelILi512ELi8EL20rocsparse_direction_0E21rocsparse_complex_numIdEllS3_S3_S3_EEv20rocsparse_operation_S4_16rocsparse_order_S5_T4_S6_S6_T3_NS_24const_host_device_scalarIT2_EEPKT5_lPKT6_lSA_PT7_PKS7_PKS6_21rocsparse_index_base_b,"axG",@progbits,_ZN9rocsparseL16sddmm_csx_kernelILi512ELi8EL20rocsparse_direction_0E21rocsparse_complex_numIdEllS3_S3_S3_EEv20rocsparse_operation_S4_16rocsparse_order_S5_T4_S6_S6_T3_NS_24const_host_device_scalarIT2_EEPKT5_lPKT6_lSA_PT7_PKS7_PKS6_21rocsparse_index_base_b,comdat
.Lfunc_end221:
	.size	_ZN9rocsparseL16sddmm_csx_kernelILi512ELi8EL20rocsparse_direction_0E21rocsparse_complex_numIdEllS3_S3_S3_EEv20rocsparse_operation_S4_16rocsparse_order_S5_T4_S6_S6_T3_NS_24const_host_device_scalarIT2_EEPKT5_lPKT6_lSA_PT7_PKS7_PKS6_21rocsparse_index_base_b, .Lfunc_end221-_ZN9rocsparseL16sddmm_csx_kernelILi512ELi8EL20rocsparse_direction_0E21rocsparse_complex_numIdEllS3_S3_S3_EEv20rocsparse_operation_S4_16rocsparse_order_S5_T4_S6_S6_T3_NS_24const_host_device_scalarIT2_EEPKT5_lPKT6_lSA_PT7_PKS7_PKS6_21rocsparse_index_base_b
                                        ; -- End function
	.set _ZN9rocsparseL16sddmm_csx_kernelILi512ELi8EL20rocsparse_direction_0E21rocsparse_complex_numIdEllS3_S3_S3_EEv20rocsparse_operation_S4_16rocsparse_order_S5_T4_S6_S6_T3_NS_24const_host_device_scalarIT2_EEPKT5_lPKT6_lSA_PT7_PKS7_PKS6_21rocsparse_index_base_b.num_vgpr, 40
	.set _ZN9rocsparseL16sddmm_csx_kernelILi512ELi8EL20rocsparse_direction_0E21rocsparse_complex_numIdEllS3_S3_S3_EEv20rocsparse_operation_S4_16rocsparse_order_S5_T4_S6_S6_T3_NS_24const_host_device_scalarIT2_EEPKT5_lPKT6_lSA_PT7_PKS7_PKS6_21rocsparse_index_base_b.num_agpr, 0
	.set _ZN9rocsparseL16sddmm_csx_kernelILi512ELi8EL20rocsparse_direction_0E21rocsparse_complex_numIdEllS3_S3_S3_EEv20rocsparse_operation_S4_16rocsparse_order_S5_T4_S6_S6_T3_NS_24const_host_device_scalarIT2_EEPKT5_lPKT6_lSA_PT7_PKS7_PKS6_21rocsparse_index_base_b.numbered_sgpr, 36
	.set _ZN9rocsparseL16sddmm_csx_kernelILi512ELi8EL20rocsparse_direction_0E21rocsparse_complex_numIdEllS3_S3_S3_EEv20rocsparse_operation_S4_16rocsparse_order_S5_T4_S6_S6_T3_NS_24const_host_device_scalarIT2_EEPKT5_lPKT6_lSA_PT7_PKS7_PKS6_21rocsparse_index_base_b.num_named_barrier, 0
	.set _ZN9rocsparseL16sddmm_csx_kernelILi512ELi8EL20rocsparse_direction_0E21rocsparse_complex_numIdEllS3_S3_S3_EEv20rocsparse_operation_S4_16rocsparse_order_S5_T4_S6_S6_T3_NS_24const_host_device_scalarIT2_EEPKT5_lPKT6_lSA_PT7_PKS7_PKS6_21rocsparse_index_base_b.private_seg_size, 0
	.set _ZN9rocsparseL16sddmm_csx_kernelILi512ELi8EL20rocsparse_direction_0E21rocsparse_complex_numIdEllS3_S3_S3_EEv20rocsparse_operation_S4_16rocsparse_order_S5_T4_S6_S6_T3_NS_24const_host_device_scalarIT2_EEPKT5_lPKT6_lSA_PT7_PKS7_PKS6_21rocsparse_index_base_b.uses_vcc, 1
	.set _ZN9rocsparseL16sddmm_csx_kernelILi512ELi8EL20rocsparse_direction_0E21rocsparse_complex_numIdEllS3_S3_S3_EEv20rocsparse_operation_S4_16rocsparse_order_S5_T4_S6_S6_T3_NS_24const_host_device_scalarIT2_EEPKT5_lPKT6_lSA_PT7_PKS7_PKS6_21rocsparse_index_base_b.uses_flat_scratch, 0
	.set _ZN9rocsparseL16sddmm_csx_kernelILi512ELi8EL20rocsparse_direction_0E21rocsparse_complex_numIdEllS3_S3_S3_EEv20rocsparse_operation_S4_16rocsparse_order_S5_T4_S6_S6_T3_NS_24const_host_device_scalarIT2_EEPKT5_lPKT6_lSA_PT7_PKS7_PKS6_21rocsparse_index_base_b.has_dyn_sized_stack, 0
	.set _ZN9rocsparseL16sddmm_csx_kernelILi512ELi8EL20rocsparse_direction_0E21rocsparse_complex_numIdEllS3_S3_S3_EEv20rocsparse_operation_S4_16rocsparse_order_S5_T4_S6_S6_T3_NS_24const_host_device_scalarIT2_EEPKT5_lPKT6_lSA_PT7_PKS7_PKS6_21rocsparse_index_base_b.has_recursion, 0
	.set _ZN9rocsparseL16sddmm_csx_kernelILi512ELi8EL20rocsparse_direction_0E21rocsparse_complex_numIdEllS3_S3_S3_EEv20rocsparse_operation_S4_16rocsparse_order_S5_T4_S6_S6_T3_NS_24const_host_device_scalarIT2_EEPKT5_lPKT6_lSA_PT7_PKS7_PKS6_21rocsparse_index_base_b.has_indirect_call, 0
	.section	.AMDGPU.csdata,"",@progbits
; Kernel info:
; codeLenInByte = 1376
; TotalNumSgprs: 42
; NumVgprs: 40
; NumAgprs: 0
; TotalNumVgprs: 40
; ScratchSize: 0
; MemoryBound: 0
; FloatMode: 240
; IeeeMode: 1
; LDSByteSize: 8192 bytes/workgroup (compile time only)
; SGPRBlocks: 5
; VGPRBlocks: 4
; NumSGPRsForWavesPerEU: 42
; NumVGPRsForWavesPerEU: 40
; AccumOffset: 40
; Occupancy: 8
; WaveLimiterHint : 1
; COMPUTE_PGM_RSRC2:SCRATCH_EN: 0
; COMPUTE_PGM_RSRC2:USER_SGPR: 2
; COMPUTE_PGM_RSRC2:TRAP_HANDLER: 0
; COMPUTE_PGM_RSRC2:TGID_X_EN: 1
; COMPUTE_PGM_RSRC2:TGID_Y_EN: 0
; COMPUTE_PGM_RSRC2:TGID_Z_EN: 0
; COMPUTE_PGM_RSRC2:TIDIG_COMP_CNT: 0
; COMPUTE_PGM_RSRC3_GFX90A:ACCUM_OFFSET: 9
; COMPUTE_PGM_RSRC3_GFX90A:TG_SPLIT: 0
	.section	.text._ZN9rocsparseL16sddmm_csx_kernelILi512ELi4EL20rocsparse_direction_0E21rocsparse_complex_numIdEllS3_S3_S3_EEv20rocsparse_operation_S4_16rocsparse_order_S5_T4_S6_S6_T3_NS_24const_host_device_scalarIT2_EEPKT5_lPKT6_lSA_PT7_PKS7_PKS6_21rocsparse_index_base_b,"axG",@progbits,_ZN9rocsparseL16sddmm_csx_kernelILi512ELi4EL20rocsparse_direction_0E21rocsparse_complex_numIdEllS3_S3_S3_EEv20rocsparse_operation_S4_16rocsparse_order_S5_T4_S6_S6_T3_NS_24const_host_device_scalarIT2_EEPKT5_lPKT6_lSA_PT7_PKS7_PKS6_21rocsparse_index_base_b,comdat
	.globl	_ZN9rocsparseL16sddmm_csx_kernelILi512ELi4EL20rocsparse_direction_0E21rocsparse_complex_numIdEllS3_S3_S3_EEv20rocsparse_operation_S4_16rocsparse_order_S5_T4_S6_S6_T3_NS_24const_host_device_scalarIT2_EEPKT5_lPKT6_lSA_PT7_PKS7_PKS6_21rocsparse_index_base_b ; -- Begin function _ZN9rocsparseL16sddmm_csx_kernelILi512ELi4EL20rocsparse_direction_0E21rocsparse_complex_numIdEllS3_S3_S3_EEv20rocsparse_operation_S4_16rocsparse_order_S5_T4_S6_S6_T3_NS_24const_host_device_scalarIT2_EEPKT5_lPKT6_lSA_PT7_PKS7_PKS6_21rocsparse_index_base_b
	.p2align	8
	.type	_ZN9rocsparseL16sddmm_csx_kernelILi512ELi4EL20rocsparse_direction_0E21rocsparse_complex_numIdEllS3_S3_S3_EEv20rocsparse_operation_S4_16rocsparse_order_S5_T4_S6_S6_T3_NS_24const_host_device_scalarIT2_EEPKT5_lPKT6_lSA_PT7_PKS7_PKS6_21rocsparse_index_base_b,@function
_ZN9rocsparseL16sddmm_csx_kernelILi512ELi4EL20rocsparse_direction_0E21rocsparse_complex_numIdEllS3_S3_S3_EEv20rocsparse_operation_S4_16rocsparse_order_S5_T4_S6_S6_T3_NS_24const_host_device_scalarIT2_EEPKT5_lPKT6_lSA_PT7_PKS7_PKS6_21rocsparse_index_base_b: ; @_ZN9rocsparseL16sddmm_csx_kernelILi512ELi4EL20rocsparse_direction_0E21rocsparse_complex_numIdEllS3_S3_S3_EEv20rocsparse_operation_S4_16rocsparse_order_S5_T4_S6_S6_T3_NS_24const_host_device_scalarIT2_EEPKT5_lPKT6_lSA_PT7_PKS7_PKS6_21rocsparse_index_base_b
; %bb.0:
	s_load_dwordx2 s[4:5], s[0:1], 0x30
	s_load_dwordx4 s[12:15], s[0:1], 0x58
	s_load_dwordx2 s[16:17], s[0:1], 0x88
	s_add_u32 s3, s0, 48
	s_addc_u32 s6, s1, 0
	s_add_u32 s7, s0, 0x60
	s_addc_u32 s8, s1, 0
	s_waitcnt lgkmcnt(0)
	s_bitcmp1_b32 s17, 0
	s_cselect_b32 s5, s6, s5
	s_cselect_b32 s3, s3, s4
	v_mov_b32_e32 v2, s3
	v_mov_b32_e32 v3, s5
	flat_load_dwordx4 v[2:5], v[2:3]
	s_cselect_b32 s3, s8, s15
	s_cselect_b32 s4, s7, s14
	v_mov_b32_e32 v6, s4
	v_mov_b32_e32 v7, s3
	flat_load_dwordx4 v[6:9], v[6:7]
	s_waitcnt vmcnt(0) lgkmcnt(0)
	v_cmp_eq_f64_e32 vcc, 0, v[2:3]
	v_cmp_eq_f64_e64 s[4:5], 0, v[4:5]
	s_and_b64 s[8:9], vcc, s[4:5]
	s_mov_b64 s[4:5], -1
	s_and_saveexec_b64 s[6:7], s[8:9]
; %bb.1:
	v_cmp_neq_f64_e32 vcc, 1.0, v[6:7]
	v_cmp_neq_f64_e64 s[4:5], 0, v[8:9]
	s_or_b64 s[4:5], vcc, s[4:5]
	s_orn2_b64 s[4:5], s[4:5], exec
; %bb.2:
	s_or_b64 exec, exec, s[6:7]
	s_and_saveexec_b64 s[6:7], s[4:5]
	s_cbranch_execz .LBB222_32
; %bb.3:
	s_load_dwordx2 s[4:5], s[0:1], 0x10
	v_lshrrev_b32_e32 v16, 2, v0
	v_lshl_or_b32 v10, s2, 7, v16
	v_mov_b32_e32 v11, 0
	s_waitcnt lgkmcnt(0)
	v_cmp_gt_i64_e32 vcc, s[4:5], v[10:11]
	s_and_b64 exec, exec, vcc
	s_cbranch_execz .LBB222_32
; %bb.4:
	s_load_dwordx4 s[4:7], s[0:1], 0x0
	s_load_dwordx2 s[14:15], s[0:1], 0x78
	s_load_dwordx2 s[2:3], s[0:1], 0x48
	s_waitcnt lgkmcnt(0)
	s_cmp_eq_u32 s6, 1
	s_cselect_b64 s[8:9], -1, 0
	s_cmpk_eq_i32 s4, 0x6f
	s_cselect_b64 s[10:11], -1, 0
	s_cmpk_lg_i32 s4, 0x6f
	s_cselect_b64 s[18:19], -1, 0
	s_cmp_lg_u32 s6, 1
	s_cbranch_scc0 .LBB222_8
; %bb.5:
	s_andn2_b64 vcc, exec, s[10:11]
	v_mov_b64_e32 v[18:19], v[10:11]
	s_cbranch_vccnz .LBB222_7
; %bb.6:
	v_mad_u64_u32 v[18:19], s[20:21], s2, v10, 0
	v_mov_b32_e32 v12, v19
	v_mad_u64_u32 v[12:13], s[20:21], s3, v10, v[12:13]
	v_mov_b32_e32 v19, v12
.LBB222_7:
	s_cbranch_execz .LBB222_9
	s_branch .LBB222_11
.LBB222_8:
                                        ; implicit-def: $vgpr18_vgpr19
.LBB222_9:
	s_andn2_b64 vcc, exec, s[18:19]
	v_mov_b64_e32 v[18:19], v[10:11]
	s_cbranch_vccnz .LBB222_11
; %bb.10:
	v_mad_u64_u32 v[18:19], s[18:19], s2, v10, 0
	v_mov_b32_e32 v12, v19
	v_mad_u64_u32 v[12:13], s[18:19], s3, v10, v[12:13]
	v_mov_b32_e32 v19, v12
.LBB222_11:
	v_lshl_add_u64 v[10:11], v[10:11], 3, s[14:15]
	global_load_dwordx4 v[10:13], v[10:11], off
	s_waitcnt vmcnt(0)
	v_cmp_lt_i64_e32 vcc, v[10:11], v[12:13]
	s_and_b64 exec, exec, vcc
	s_cbranch_execz .LBB222_32
; %bb.12:
	s_xor_b64 s[8:9], s[10:11], s[8:9]
	s_and_b64 s[8:9], s[8:9], exec
	s_cselect_b32 s9, 0, s3
	s_cselect_b32 s8, 1, s2
	s_cmp_lg_u32 s7, 1
	v_and_b32_e32 v0, 3, v0
	v_subrev_co_u32_e32 v14, vcc, s16, v10
	s_cselect_b64 s[18:19], -1, 0
	s_cmp_eq_u32 s7, 1
	v_subbrev_co_u32_e32 v15, vcc, 0, v11, vcc
	v_mad_u64_u32 v[10:11], s[28:29], s8, v0, 0
	s_cselect_b64 s[2:3], -1, 0
	s_cmpk_eq_i32 s5, 0x6f
	s_load_dwordx2 s[20:21], s[0:1], 0x70
	s_load_dwordx2 s[26:27], s[0:1], 0x50
	;; [unrolled: 1-line block ×4, first 2 shown]
	v_lshlrev_b32_e32 v28, 6, v16
	v_subrev_co_u32_e32 v16, vcc, s16, v12
	v_mov_b32_e32 v12, v11
	s_cselect_b64 s[6:7], -1, 0
	s_cmpk_lg_i32 s5, 0x6f
	v_subbrev_co_u32_e32 v17, vcc, 0, v13, vcc
	v_mad_u64_u32 v[12:13], s[28:29], s9, v0, v[12:13]
	s_cselect_b64 s[10:11], -1, 0
	s_xor_b64 s[2:3], s[6:7], s[2:3]
	v_mov_b32_e32 v11, v12
	v_lshlrev_b64 v[12:13], 4, v[18:19]
	s_and_b64 s[2:3], s[2:3], exec
	v_lshl_add_u64 v[10:11], v[10:11], 4, v[12:13]
	v_cndmask_b32_e64 v22, 0, 1, s[6:7]
	s_cselect_b32 s6, s12, 1
	s_waitcnt lgkmcnt(0)
	v_lshl_add_u64 v[10:11], s[24:25], 0, v[10:11]
	s_cselect_b32 s7, s13, 0
	v_lshl_add_u64 v[18:19], v[10:11], 0, 8
	s_lshl_b64 s[24:25], s[8:9], 6
	v_mad_u64_u32 v[10:11], s[8:9], s6, v0, 0
	v_mov_b32_e32 v12, v11
	s_load_dwordx2 s[14:15], s[0:1], 0x80
	v_mad_u64_u32 v[12:13], s[8:9], s7, v0, v[12:13]
	v_mov_b32_e32 v11, v12
	v_lshl_add_u64 v[10:11], v[10:11], 4, s[26:27]
	v_mov_b32_e32 v1, 0
	v_lshl_add_u64 v[20:21], v[10:11], 0, 8
	v_cndmask_b32_e64 v10, 0, 1, s[10:11]
	v_cmp_gt_i64_e64 s[0:1], s[22:23], v[0:1]
	v_lshl_or_b32 v29, v0, 4, v28
	v_cmp_eq_u32_e64 s[2:3], 0, v0
	v_cmp_gt_u32_e64 s[4:5], 2, v0
	s_lshl_b64 s[26:27], s[6:7], 6
	s_mov_b64 s[28:29], 0
	v_cmp_ne_u32_e64 s[6:7], 1, v10
	v_cmp_ne_u32_e64 s[8:9], 1, v22
	s_branch .LBB222_14
.LBB222_13:                             ;   in Loop: Header=BB222_14 Depth=1
	s_or_b64 exec, exec, s[10:11]
	v_lshl_add_u64 v[14:15], v[14:15], 0, 1
	v_cmp_ge_i64_e32 vcc, v[14:15], v[16:17]
	s_or_b64 s[28:29], vcc, s[28:29]
	s_andn2_b64 exec, exec, s[28:29]
	s_cbranch_execz .LBB222_32
.LBB222_14:                             ; =>This Loop Header: Depth=1
                                        ;     Child Loop BB222_24 Depth 2
	s_waitcnt lgkmcnt(0)
	v_lshl_add_u64 v[10:11], v[14:15], 3, s[14:15]
	global_load_dwordx2 v[10:11], v[10:11], off
	s_mov_b64 s[30:31], -1
	s_and_b64 vcc, exec, s[18:19]
                                        ; implicit-def: $vgpr22_vgpr23
	s_waitcnt vmcnt(0)
	v_subrev_co_u32_e64 v10, s[10:11], s16, v10
	s_nop 1
	v_subbrev_co_u32_e64 v11, s[10:11], 0, v11, s[10:11]
	s_cbranch_vccnz .LBB222_17
; %bb.15:                               ;   in Loop: Header=BB222_14 Depth=1
	s_andn2_b64 vcc, exec, s[30:31]
	s_cbranch_vccz .LBB222_20
.LBB222_16:                             ;   in Loop: Header=BB222_14 Depth=1
	v_mov_b64_e32 v[12:13], 0
	v_mov_b64_e32 v[10:11], 0
	s_and_saveexec_b64 s[10:11], s[0:1]
	s_cbranch_execnz .LBB222_23
	s_branch .LBB222_26
.LBB222_17:                             ;   in Loop: Header=BB222_14 Depth=1
	s_and_b64 vcc, exec, s[6:7]
	v_mov_b64_e32 v[22:23], v[10:11]
	s_cbranch_vccnz .LBB222_19
; %bb.18:                               ;   in Loop: Header=BB222_14 Depth=1
	v_mul_lo_u32 v12, v11, s12
	v_mul_lo_u32 v13, v10, s13
	v_mad_u64_u32 v[22:23], s[10:11], v10, s12, 0
	v_add3_u32 v23, v23, v13, v12
.LBB222_19:                             ;   in Loop: Header=BB222_14 Depth=1
	s_cbranch_execnz .LBB222_16
.LBB222_20:                             ;   in Loop: Header=BB222_14 Depth=1
	s_and_b64 vcc, exec, s[8:9]
	s_cbranch_vccnz .LBB222_22
; %bb.21:                               ;   in Loop: Header=BB222_14 Depth=1
	v_mul_lo_u32 v12, v11, s12
	v_mul_lo_u32 v13, v10, s13
	v_mad_u64_u32 v[10:11], s[10:11], v10, s12, 0
	v_add3_u32 v11, v11, v13, v12
.LBB222_22:                             ;   in Loop: Header=BB222_14 Depth=1
	v_mov_b64_e32 v[22:23], v[10:11]
	v_mov_b64_e32 v[12:13], 0
	;; [unrolled: 1-line block ×3, first 2 shown]
	s_and_saveexec_b64 s[10:11], s[0:1]
	s_cbranch_execz .LBB222_26
.LBB222_23:                             ;   in Loop: Header=BB222_14 Depth=1
	v_mov_b64_e32 v[12:13], 0
	v_lshl_add_u64 v[22:23], v[22:23], 4, v[20:21]
	s_mov_b64 s[30:31], 0
	v_mov_b64_e32 v[24:25], v[18:19]
	v_mov_b64_e32 v[26:27], v[0:1]
	;; [unrolled: 1-line block ×3, first 2 shown]
.LBB222_24:                             ;   Parent Loop BB222_14 Depth=1
                                        ; =>  This Inner Loop Header: Depth=2
	global_load_dwordx4 v[30:33], v[22:23], off offset:-8
	global_load_dwordx4 v[34:37], v[24:25], off offset:-8
	v_lshl_add_u64 v[26:27], v[26:27], 0, 4
	v_cmp_le_i64_e32 vcc, s[22:23], v[26:27]
	v_lshl_add_u64 v[24:25], v[24:25], 0, s[24:25]
	v_lshl_add_u64 v[22:23], v[22:23], 0, s[26:27]
	s_or_b64 s[30:31], vcc, s[30:31]
	s_waitcnt vmcnt(0)
	v_mul_f64 v[38:39], v[32:33], -v[36:37]
	v_mul_f64 v[32:33], v[32:33], v[34:35]
	v_fmac_f64_e32 v[38:39], v[34:35], v[30:31]
	v_fmac_f64_e32 v[32:33], v[36:37], v[30:31]
	v_add_f64 v[10:11], v[10:11], v[38:39]
	v_add_f64 v[12:13], v[12:13], v[32:33]
	s_andn2_b64 exec, exec, s[30:31]
	s_cbranch_execnz .LBB222_24
; %bb.25:                               ;   in Loop: Header=BB222_14 Depth=1
	s_or_b64 exec, exec, s[30:31]
.LBB222_26:                             ;   in Loop: Header=BB222_14 Depth=1
	s_or_b64 exec, exec, s[10:11]
	ds_write_b128 v29, v[10:13]
	s_waitcnt lgkmcnt(0)
	s_barrier
	s_and_saveexec_b64 s[10:11], s[4:5]
	s_cbranch_execz .LBB222_28
; %bb.27:                               ;   in Loop: Header=BB222_14 Depth=1
	ds_read_b128 v[10:13], v29
	ds_read_b128 v[22:25], v29 offset:32
	s_waitcnt lgkmcnt(0)
	v_add_f64 v[10:11], v[22:23], v[10:11]
	v_add_f64 v[12:13], v[24:25], v[12:13]
	ds_write_b128 v29, v[10:13]
.LBB222_28:                             ;   in Loop: Header=BB222_14 Depth=1
	s_or_b64 exec, exec, s[10:11]
	s_waitcnt lgkmcnt(0)
	s_barrier
	s_and_saveexec_b64 s[10:11], s[2:3]
	s_cbranch_execz .LBB222_30
; %bb.29:                               ;   in Loop: Header=BB222_14 Depth=1
	ds_read_b128 v[10:13], v29
	ds_read_b128 v[22:25], v29 offset:16
	s_waitcnt lgkmcnt(0)
	v_add_f64 v[10:11], v[22:23], v[10:11]
	v_add_f64 v[12:13], v[24:25], v[12:13]
	ds_write_b128 v29, v[10:13]
.LBB222_30:                             ;   in Loop: Header=BB222_14 Depth=1
	s_or_b64 exec, exec, s[10:11]
	s_waitcnt lgkmcnt(0)
	s_barrier
	s_and_saveexec_b64 s[10:11], s[2:3]
	s_cbranch_execz .LBB222_13
; %bb.31:                               ;   in Loop: Header=BB222_14 Depth=1
	v_lshl_add_u64 v[26:27], v[14:15], 4, s[20:21]
	global_load_dwordx4 v[10:13], v[26:27], off
	ds_read_b128 v[22:25], v28
	s_waitcnt lgkmcnt(0)
	v_mul_f64 v[30:31], v[24:25], -v[4:5]
	v_mul_f64 v[24:25], v[2:3], v[24:25]
	v_fmac_f64_e32 v[30:31], v[2:3], v[22:23]
	v_fmac_f64_e32 v[24:25], v[4:5], v[22:23]
	s_waitcnt vmcnt(0)
	v_mul_f64 v[22:23], v[8:9], -v[12:13]
	v_mul_f64 v[32:33], v[8:9], v[10:11]
	v_fmac_f64_e32 v[22:23], v[10:11], v[6:7]
	v_fmac_f64_e32 v[32:33], v[12:13], v[6:7]
	v_add_f64 v[10:11], v[22:23], v[30:31]
	v_add_f64 v[12:13], v[32:33], v[24:25]
	global_store_dwordx4 v[26:27], v[10:13], off
	s_branch .LBB222_13
.LBB222_32:
	s_endpgm
	.section	.rodata,"a",@progbits
	.p2align	6, 0x0
	.amdhsa_kernel _ZN9rocsparseL16sddmm_csx_kernelILi512ELi4EL20rocsparse_direction_0E21rocsparse_complex_numIdEllS3_S3_S3_EEv20rocsparse_operation_S4_16rocsparse_order_S5_T4_S6_S6_T3_NS_24const_host_device_scalarIT2_EEPKT5_lPKT6_lSA_PT7_PKS7_PKS6_21rocsparse_index_base_b
		.amdhsa_group_segment_fixed_size 8192
		.amdhsa_private_segment_fixed_size 0
		.amdhsa_kernarg_size 144
		.amdhsa_user_sgpr_count 2
		.amdhsa_user_sgpr_dispatch_ptr 0
		.amdhsa_user_sgpr_queue_ptr 0
		.amdhsa_user_sgpr_kernarg_segment_ptr 1
		.amdhsa_user_sgpr_dispatch_id 0
		.amdhsa_user_sgpr_kernarg_preload_length 0
		.amdhsa_user_sgpr_kernarg_preload_offset 0
		.amdhsa_user_sgpr_private_segment_size 0
		.amdhsa_uses_dynamic_stack 0
		.amdhsa_enable_private_segment 0
		.amdhsa_system_sgpr_workgroup_id_x 1
		.amdhsa_system_sgpr_workgroup_id_y 0
		.amdhsa_system_sgpr_workgroup_id_z 0
		.amdhsa_system_sgpr_workgroup_info 0
		.amdhsa_system_vgpr_workitem_id 0
		.amdhsa_next_free_vgpr 40
		.amdhsa_next_free_sgpr 32
		.amdhsa_accum_offset 40
		.amdhsa_reserve_vcc 1
		.amdhsa_float_round_mode_32 0
		.amdhsa_float_round_mode_16_64 0
		.amdhsa_float_denorm_mode_32 3
		.amdhsa_float_denorm_mode_16_64 3
		.amdhsa_dx10_clamp 1
		.amdhsa_ieee_mode 1
		.amdhsa_fp16_overflow 0
		.amdhsa_tg_split 0
		.amdhsa_exception_fp_ieee_invalid_op 0
		.amdhsa_exception_fp_denorm_src 0
		.amdhsa_exception_fp_ieee_div_zero 0
		.amdhsa_exception_fp_ieee_overflow 0
		.amdhsa_exception_fp_ieee_underflow 0
		.amdhsa_exception_fp_ieee_inexact 0
		.amdhsa_exception_int_div_zero 0
	.end_amdhsa_kernel
	.section	.text._ZN9rocsparseL16sddmm_csx_kernelILi512ELi4EL20rocsparse_direction_0E21rocsparse_complex_numIdEllS3_S3_S3_EEv20rocsparse_operation_S4_16rocsparse_order_S5_T4_S6_S6_T3_NS_24const_host_device_scalarIT2_EEPKT5_lPKT6_lSA_PT7_PKS7_PKS6_21rocsparse_index_base_b,"axG",@progbits,_ZN9rocsparseL16sddmm_csx_kernelILi512ELi4EL20rocsparse_direction_0E21rocsparse_complex_numIdEllS3_S3_S3_EEv20rocsparse_operation_S4_16rocsparse_order_S5_T4_S6_S6_T3_NS_24const_host_device_scalarIT2_EEPKT5_lPKT6_lSA_PT7_PKS7_PKS6_21rocsparse_index_base_b,comdat
.Lfunc_end222:
	.size	_ZN9rocsparseL16sddmm_csx_kernelILi512ELi4EL20rocsparse_direction_0E21rocsparse_complex_numIdEllS3_S3_S3_EEv20rocsparse_operation_S4_16rocsparse_order_S5_T4_S6_S6_T3_NS_24const_host_device_scalarIT2_EEPKT5_lPKT6_lSA_PT7_PKS7_PKS6_21rocsparse_index_base_b, .Lfunc_end222-_ZN9rocsparseL16sddmm_csx_kernelILi512ELi4EL20rocsparse_direction_0E21rocsparse_complex_numIdEllS3_S3_S3_EEv20rocsparse_operation_S4_16rocsparse_order_S5_T4_S6_S6_T3_NS_24const_host_device_scalarIT2_EEPKT5_lPKT6_lSA_PT7_PKS7_PKS6_21rocsparse_index_base_b
                                        ; -- End function
	.set _ZN9rocsparseL16sddmm_csx_kernelILi512ELi4EL20rocsparse_direction_0E21rocsparse_complex_numIdEllS3_S3_S3_EEv20rocsparse_operation_S4_16rocsparse_order_S5_T4_S6_S6_T3_NS_24const_host_device_scalarIT2_EEPKT5_lPKT6_lSA_PT7_PKS7_PKS6_21rocsparse_index_base_b.num_vgpr, 40
	.set _ZN9rocsparseL16sddmm_csx_kernelILi512ELi4EL20rocsparse_direction_0E21rocsparse_complex_numIdEllS3_S3_S3_EEv20rocsparse_operation_S4_16rocsparse_order_S5_T4_S6_S6_T3_NS_24const_host_device_scalarIT2_EEPKT5_lPKT6_lSA_PT7_PKS7_PKS6_21rocsparse_index_base_b.num_agpr, 0
	.set _ZN9rocsparseL16sddmm_csx_kernelILi512ELi4EL20rocsparse_direction_0E21rocsparse_complex_numIdEllS3_S3_S3_EEv20rocsparse_operation_S4_16rocsparse_order_S5_T4_S6_S6_T3_NS_24const_host_device_scalarIT2_EEPKT5_lPKT6_lSA_PT7_PKS7_PKS6_21rocsparse_index_base_b.numbered_sgpr, 32
	.set _ZN9rocsparseL16sddmm_csx_kernelILi512ELi4EL20rocsparse_direction_0E21rocsparse_complex_numIdEllS3_S3_S3_EEv20rocsparse_operation_S4_16rocsparse_order_S5_T4_S6_S6_T3_NS_24const_host_device_scalarIT2_EEPKT5_lPKT6_lSA_PT7_PKS7_PKS6_21rocsparse_index_base_b.num_named_barrier, 0
	.set _ZN9rocsparseL16sddmm_csx_kernelILi512ELi4EL20rocsparse_direction_0E21rocsparse_complex_numIdEllS3_S3_S3_EEv20rocsparse_operation_S4_16rocsparse_order_S5_T4_S6_S6_T3_NS_24const_host_device_scalarIT2_EEPKT5_lPKT6_lSA_PT7_PKS7_PKS6_21rocsparse_index_base_b.private_seg_size, 0
	.set _ZN9rocsparseL16sddmm_csx_kernelILi512ELi4EL20rocsparse_direction_0E21rocsparse_complex_numIdEllS3_S3_S3_EEv20rocsparse_operation_S4_16rocsparse_order_S5_T4_S6_S6_T3_NS_24const_host_device_scalarIT2_EEPKT5_lPKT6_lSA_PT7_PKS7_PKS6_21rocsparse_index_base_b.uses_vcc, 1
	.set _ZN9rocsparseL16sddmm_csx_kernelILi512ELi4EL20rocsparse_direction_0E21rocsparse_complex_numIdEllS3_S3_S3_EEv20rocsparse_operation_S4_16rocsparse_order_S5_T4_S6_S6_T3_NS_24const_host_device_scalarIT2_EEPKT5_lPKT6_lSA_PT7_PKS7_PKS6_21rocsparse_index_base_b.uses_flat_scratch, 0
	.set _ZN9rocsparseL16sddmm_csx_kernelILi512ELi4EL20rocsparse_direction_0E21rocsparse_complex_numIdEllS3_S3_S3_EEv20rocsparse_operation_S4_16rocsparse_order_S5_T4_S6_S6_T3_NS_24const_host_device_scalarIT2_EEPKT5_lPKT6_lSA_PT7_PKS7_PKS6_21rocsparse_index_base_b.has_dyn_sized_stack, 0
	.set _ZN9rocsparseL16sddmm_csx_kernelILi512ELi4EL20rocsparse_direction_0E21rocsparse_complex_numIdEllS3_S3_S3_EEv20rocsparse_operation_S4_16rocsparse_order_S5_T4_S6_S6_T3_NS_24const_host_device_scalarIT2_EEPKT5_lPKT6_lSA_PT7_PKS7_PKS6_21rocsparse_index_base_b.has_recursion, 0
	.set _ZN9rocsparseL16sddmm_csx_kernelILi512ELi4EL20rocsparse_direction_0E21rocsparse_complex_numIdEllS3_S3_S3_EEv20rocsparse_operation_S4_16rocsparse_order_S5_T4_S6_S6_T3_NS_24const_host_device_scalarIT2_EEPKT5_lPKT6_lSA_PT7_PKS7_PKS6_21rocsparse_index_base_b.has_indirect_call, 0
	.section	.AMDGPU.csdata,"",@progbits
; Kernel info:
; codeLenInByte = 1304
; TotalNumSgprs: 38
; NumVgprs: 40
; NumAgprs: 0
; TotalNumVgprs: 40
; ScratchSize: 0
; MemoryBound: 0
; FloatMode: 240
; IeeeMode: 1
; LDSByteSize: 8192 bytes/workgroup (compile time only)
; SGPRBlocks: 4
; VGPRBlocks: 4
; NumSGPRsForWavesPerEU: 38
; NumVGPRsForWavesPerEU: 40
; AccumOffset: 40
; Occupancy: 8
; WaveLimiterHint : 1
; COMPUTE_PGM_RSRC2:SCRATCH_EN: 0
; COMPUTE_PGM_RSRC2:USER_SGPR: 2
; COMPUTE_PGM_RSRC2:TRAP_HANDLER: 0
; COMPUTE_PGM_RSRC2:TGID_X_EN: 1
; COMPUTE_PGM_RSRC2:TGID_Y_EN: 0
; COMPUTE_PGM_RSRC2:TGID_Z_EN: 0
; COMPUTE_PGM_RSRC2:TIDIG_COMP_CNT: 0
; COMPUTE_PGM_RSRC3_GFX90A:ACCUM_OFFSET: 9
; COMPUTE_PGM_RSRC3_GFX90A:TG_SPLIT: 0
	.section	.text._ZN9rocsparseL16sddmm_csx_kernelILi512ELi2EL20rocsparse_direction_0E21rocsparse_complex_numIdEllS3_S3_S3_EEv20rocsparse_operation_S4_16rocsparse_order_S5_T4_S6_S6_T3_NS_24const_host_device_scalarIT2_EEPKT5_lPKT6_lSA_PT7_PKS7_PKS6_21rocsparse_index_base_b,"axG",@progbits,_ZN9rocsparseL16sddmm_csx_kernelILi512ELi2EL20rocsparse_direction_0E21rocsparse_complex_numIdEllS3_S3_S3_EEv20rocsparse_operation_S4_16rocsparse_order_S5_T4_S6_S6_T3_NS_24const_host_device_scalarIT2_EEPKT5_lPKT6_lSA_PT7_PKS7_PKS6_21rocsparse_index_base_b,comdat
	.globl	_ZN9rocsparseL16sddmm_csx_kernelILi512ELi2EL20rocsparse_direction_0E21rocsparse_complex_numIdEllS3_S3_S3_EEv20rocsparse_operation_S4_16rocsparse_order_S5_T4_S6_S6_T3_NS_24const_host_device_scalarIT2_EEPKT5_lPKT6_lSA_PT7_PKS7_PKS6_21rocsparse_index_base_b ; -- Begin function _ZN9rocsparseL16sddmm_csx_kernelILi512ELi2EL20rocsparse_direction_0E21rocsparse_complex_numIdEllS3_S3_S3_EEv20rocsparse_operation_S4_16rocsparse_order_S5_T4_S6_S6_T3_NS_24const_host_device_scalarIT2_EEPKT5_lPKT6_lSA_PT7_PKS7_PKS6_21rocsparse_index_base_b
	.p2align	8
	.type	_ZN9rocsparseL16sddmm_csx_kernelILi512ELi2EL20rocsparse_direction_0E21rocsparse_complex_numIdEllS3_S3_S3_EEv20rocsparse_operation_S4_16rocsparse_order_S5_T4_S6_S6_T3_NS_24const_host_device_scalarIT2_EEPKT5_lPKT6_lSA_PT7_PKS7_PKS6_21rocsparse_index_base_b,@function
_ZN9rocsparseL16sddmm_csx_kernelILi512ELi2EL20rocsparse_direction_0E21rocsparse_complex_numIdEllS3_S3_S3_EEv20rocsparse_operation_S4_16rocsparse_order_S5_T4_S6_S6_T3_NS_24const_host_device_scalarIT2_EEPKT5_lPKT6_lSA_PT7_PKS7_PKS6_21rocsparse_index_base_b: ; @_ZN9rocsparseL16sddmm_csx_kernelILi512ELi2EL20rocsparse_direction_0E21rocsparse_complex_numIdEllS3_S3_S3_EEv20rocsparse_operation_S4_16rocsparse_order_S5_T4_S6_S6_T3_NS_24const_host_device_scalarIT2_EEPKT5_lPKT6_lSA_PT7_PKS7_PKS6_21rocsparse_index_base_b
; %bb.0:
	s_load_dwordx2 s[4:5], s[0:1], 0x30
	s_load_dwordx4 s[12:15], s[0:1], 0x58
	s_load_dwordx2 s[10:11], s[0:1], 0x88
	s_add_u32 s3, s0, 48
	s_addc_u32 s6, s1, 0
	s_add_u32 s7, s0, 0x60
	s_addc_u32 s8, s1, 0
	s_waitcnt lgkmcnt(0)
	s_bitcmp1_b32 s11, 0
	s_cselect_b32 s5, s6, s5
	s_cselect_b32 s3, s3, s4
	v_mov_b32_e32 v2, s3
	v_mov_b32_e32 v3, s5
	flat_load_dwordx4 v[2:5], v[2:3]
	s_cselect_b32 s3, s8, s15
	s_cselect_b32 s4, s7, s14
	v_mov_b32_e32 v6, s4
	v_mov_b32_e32 v7, s3
	flat_load_dwordx4 v[6:9], v[6:7]
	s_waitcnt vmcnt(0) lgkmcnt(0)
	v_cmp_eq_f64_e32 vcc, 0, v[2:3]
	v_cmp_eq_f64_e64 s[4:5], 0, v[4:5]
	s_and_b64 s[8:9], vcc, s[4:5]
	s_mov_b64 s[4:5], -1
	s_and_saveexec_b64 s[6:7], s[8:9]
; %bb.1:
	v_cmp_neq_f64_e32 vcc, 1.0, v[6:7]
	v_cmp_neq_f64_e64 s[4:5], 0, v[8:9]
	s_or_b64 s[4:5], vcc, s[4:5]
	s_orn2_b64 s[4:5], s[4:5], exec
; %bb.2:
	s_or_b64 exec, exec, s[6:7]
	s_and_saveexec_b64 s[6:7], s[4:5]
	s_cbranch_execz .LBB223_30
; %bb.3:
	s_load_dwordx2 s[4:5], s[0:1], 0x10
	v_lshrrev_b32_e32 v16, 1, v0
	v_lshl_or_b32 v10, s2, 8, v16
	v_mov_b32_e32 v11, 0
	s_waitcnt lgkmcnt(0)
	v_cmp_gt_i64_e32 vcc, s[4:5], v[10:11]
	s_and_b64 exec, exec, vcc
	s_cbranch_execz .LBB223_30
; %bb.4:
	s_load_dwordx4 s[4:7], s[0:1], 0x0
	s_load_dwordx2 s[14:15], s[0:1], 0x78
	s_load_dwordx2 s[2:3], s[0:1], 0x48
	s_waitcnt lgkmcnt(0)
	s_cmp_eq_u32 s6, 1
	s_cselect_b64 s[8:9], -1, 0
	s_cmpk_eq_i32 s4, 0x6f
	s_cselect_b64 s[16:17], -1, 0
	s_cmpk_lg_i32 s4, 0x6f
	s_cselect_b64 s[18:19], -1, 0
	s_cmp_lg_u32 s6, 1
	s_cbranch_scc0 .LBB223_8
; %bb.5:
	s_andn2_b64 vcc, exec, s[16:17]
	v_mov_b64_e32 v[18:19], v[10:11]
	s_cbranch_vccnz .LBB223_7
; %bb.6:
	v_mad_u64_u32 v[18:19], s[20:21], s2, v10, 0
	v_mov_b32_e32 v12, v19
	v_mad_u64_u32 v[12:13], s[20:21], s3, v10, v[12:13]
	v_mov_b32_e32 v19, v12
.LBB223_7:
	s_cbranch_execz .LBB223_9
	s_branch .LBB223_11
.LBB223_8:
                                        ; implicit-def: $vgpr18_vgpr19
.LBB223_9:
	s_andn2_b64 vcc, exec, s[18:19]
	v_mov_b64_e32 v[18:19], v[10:11]
	s_cbranch_vccnz .LBB223_11
; %bb.10:
	v_mad_u64_u32 v[18:19], s[18:19], s2, v10, 0
	v_mov_b32_e32 v12, v19
	v_mad_u64_u32 v[12:13], s[18:19], s3, v10, v[12:13]
	v_mov_b32_e32 v19, v12
.LBB223_11:
	v_lshl_add_u64 v[10:11], v[10:11], 3, s[14:15]
	global_load_dwordx4 v[10:13], v[10:11], off
	s_waitcnt vmcnt(0)
	v_cmp_lt_i64_e32 vcc, v[10:11], v[12:13]
	s_and_b64 exec, exec, vcc
	s_cbranch_execz .LBB223_30
; %bb.12:
	s_xor_b64 s[8:9], s[16:17], s[8:9]
	s_and_b64 s[8:9], s[8:9], exec
	s_cselect_b32 s9, 0, s3
	s_cselect_b32 s8, 1, s2
	s_cmp_lg_u32 s7, 1
	s_cselect_b64 s[16:17], -1, 0
	s_cmp_eq_u32 s7, 1
	v_subrev_co_u32_e32 v14, vcc, s10, v10
	s_cselect_b64 s[2:3], -1, 0
	s_cmpk_eq_i32 s5, 0x6f
	s_load_dwordx2 s[18:19], s[0:1], 0x70
	s_load_dwordx2 s[24:25], s[0:1], 0x50
	;; [unrolled: 1-line block ×4, first 2 shown]
	v_subbrev_co_u32_e32 v15, vcc, 0, v11, vcc
	s_cselect_b64 s[6:7], -1, 0
	s_cmpk_lg_i32 s5, 0x6f
	v_and_b32_e32 v0, 1, v0
	v_lshlrev_b32_e32 v28, 5, v16
	v_subrev_co_u32_e32 v16, vcc, s10, v12
	s_cselect_b64 s[4:5], -1, 0
	s_xor_b64 s[2:3], s[6:7], s[2:3]
	v_subbrev_co_u32_e32 v17, vcc, 0, v13, vcc
	v_mul_lo_u32 v11, s9, v0
	v_mul_lo_u32 v10, s8, v0
	v_lshlrev_b64 v[12:13], 4, v[18:19]
	s_and_b64 s[2:3], s[2:3], exec
	v_lshl_add_u64 v[10:11], v[10:11], 4, v[12:13]
	s_load_dwordx2 s[14:15], s[0:1], 0x80
	v_cndmask_b32_e64 v22, 0, 1, s[6:7]
	s_cselect_b32 s7, s13, 0
	s_cselect_b32 s6, s12, 1
	s_waitcnt lgkmcnt(0)
	v_lshl_add_u64 v[10:11], s[22:23], 0, v[10:11]
	v_lshl_add_u64 v[18:19], v[10:11], 0, 8
	v_mul_lo_u32 v11, s7, v0
	v_mul_lo_u32 v10, s6, v0
	v_lshl_add_u64 v[10:11], v[10:11], 4, s[24:25]
	v_mov_b32_e32 v1, 0
	v_lshl_add_u64 v[20:21], v[10:11], 0, 8
	v_cndmask_b32_e64 v10, 0, 1, s[4:5]
	v_cmp_gt_i64_e64 s[0:1], s[20:21], v[0:1]
	v_lshl_or_b32 v29, v0, 4, v28
	v_cmp_eq_u32_e64 s[2:3], 0, v0
	s_lshl_b64 s[22:23], s[8:9], 5
	s_lshl_b64 s[24:25], s[6:7], 5
	s_mov_b64 s[26:27], 0
	v_cmp_ne_u32_e64 s[4:5], 1, v10
	v_cmp_ne_u32_e64 s[6:7], 1, v22
	s_branch .LBB223_14
.LBB223_13:                             ;   in Loop: Header=BB223_14 Depth=1
	s_or_b64 exec, exec, s[8:9]
	v_lshl_add_u64 v[14:15], v[14:15], 0, 1
	v_cmp_ge_i64_e32 vcc, v[14:15], v[16:17]
	s_or_b64 s[26:27], vcc, s[26:27]
	s_andn2_b64 exec, exec, s[26:27]
	s_cbranch_execz .LBB223_30
.LBB223_14:                             ; =>This Loop Header: Depth=1
                                        ;     Child Loop BB223_24 Depth 2
	v_lshl_add_u64 v[10:11], v[14:15], 3, s[14:15]
	global_load_dwordx2 v[10:11], v[10:11], off
	s_mov_b64 s[28:29], -1
	s_and_b64 vcc, exec, s[16:17]
                                        ; implicit-def: $vgpr22_vgpr23
	s_waitcnt vmcnt(0)
	v_subrev_co_u32_e64 v10, s[8:9], s10, v10
	s_nop 1
	v_subbrev_co_u32_e64 v11, s[8:9], 0, v11, s[8:9]
	s_cbranch_vccnz .LBB223_17
; %bb.15:                               ;   in Loop: Header=BB223_14 Depth=1
	s_andn2_b64 vcc, exec, s[28:29]
	s_cbranch_vccz .LBB223_20
.LBB223_16:                             ;   in Loop: Header=BB223_14 Depth=1
	v_mov_b64_e32 v[12:13], 0
	v_mov_b64_e32 v[10:11], 0
	s_and_saveexec_b64 s[8:9], s[0:1]
	s_cbranch_execnz .LBB223_23
	s_branch .LBB223_26
.LBB223_17:                             ;   in Loop: Header=BB223_14 Depth=1
	s_and_b64 vcc, exec, s[4:5]
	v_mov_b64_e32 v[22:23], v[10:11]
	s_cbranch_vccnz .LBB223_19
; %bb.18:                               ;   in Loop: Header=BB223_14 Depth=1
	v_mul_lo_u32 v12, v11, s12
	v_mul_lo_u32 v13, v10, s13
	v_mad_u64_u32 v[22:23], s[8:9], v10, s12, 0
	v_add3_u32 v23, v23, v13, v12
.LBB223_19:                             ;   in Loop: Header=BB223_14 Depth=1
	s_cbranch_execnz .LBB223_16
.LBB223_20:                             ;   in Loop: Header=BB223_14 Depth=1
	s_and_b64 vcc, exec, s[6:7]
	s_cbranch_vccnz .LBB223_22
; %bb.21:                               ;   in Loop: Header=BB223_14 Depth=1
	v_mul_lo_u32 v12, v11, s12
	v_mul_lo_u32 v13, v10, s13
	v_mad_u64_u32 v[10:11], s[8:9], v10, s12, 0
	v_add3_u32 v11, v11, v13, v12
.LBB223_22:                             ;   in Loop: Header=BB223_14 Depth=1
	v_mov_b64_e32 v[22:23], v[10:11]
	v_mov_b64_e32 v[12:13], 0
	;; [unrolled: 1-line block ×3, first 2 shown]
	s_and_saveexec_b64 s[8:9], s[0:1]
	s_cbranch_execz .LBB223_26
.LBB223_23:                             ;   in Loop: Header=BB223_14 Depth=1
	v_mov_b64_e32 v[12:13], 0
	v_lshl_add_u64 v[22:23], v[22:23], 4, v[20:21]
	s_mov_b64 s[28:29], 0
	v_mov_b64_e32 v[24:25], v[18:19]
	v_mov_b64_e32 v[26:27], v[0:1]
	;; [unrolled: 1-line block ×3, first 2 shown]
.LBB223_24:                             ;   Parent Loop BB223_14 Depth=1
                                        ; =>  This Inner Loop Header: Depth=2
	global_load_dwordx4 v[30:33], v[22:23], off offset:-8
	global_load_dwordx4 v[34:37], v[24:25], off offset:-8
	v_lshl_add_u64 v[26:27], v[26:27], 0, 2
	v_cmp_le_i64_e32 vcc, s[20:21], v[26:27]
	v_lshl_add_u64 v[24:25], v[24:25], 0, s[22:23]
	v_lshl_add_u64 v[22:23], v[22:23], 0, s[24:25]
	s_or_b64 s[28:29], vcc, s[28:29]
	s_waitcnt vmcnt(0)
	v_mul_f64 v[38:39], v[32:33], -v[36:37]
	v_mul_f64 v[32:33], v[32:33], v[34:35]
	v_fmac_f64_e32 v[38:39], v[34:35], v[30:31]
	v_fmac_f64_e32 v[32:33], v[36:37], v[30:31]
	v_add_f64 v[10:11], v[10:11], v[38:39]
	v_add_f64 v[12:13], v[12:13], v[32:33]
	s_andn2_b64 exec, exec, s[28:29]
	s_cbranch_execnz .LBB223_24
; %bb.25:                               ;   in Loop: Header=BB223_14 Depth=1
	s_or_b64 exec, exec, s[28:29]
.LBB223_26:                             ;   in Loop: Header=BB223_14 Depth=1
	s_or_b64 exec, exec, s[8:9]
	ds_write_b128 v29, v[10:13]
	s_waitcnt lgkmcnt(0)
	s_barrier
	s_and_saveexec_b64 s[8:9], s[2:3]
	s_cbranch_execz .LBB223_28
; %bb.27:                               ;   in Loop: Header=BB223_14 Depth=1
	ds_read_b128 v[10:13], v28 offset:16
	ds_read_b128 v[22:25], v29
	s_waitcnt lgkmcnt(0)
	v_add_f64 v[10:11], v[10:11], v[22:23]
	v_add_f64 v[12:13], v[12:13], v[24:25]
	ds_write_b128 v29, v[10:13]
.LBB223_28:                             ;   in Loop: Header=BB223_14 Depth=1
	s_or_b64 exec, exec, s[8:9]
	s_waitcnt lgkmcnt(0)
	s_barrier
	s_and_saveexec_b64 s[8:9], s[2:3]
	s_cbranch_execz .LBB223_13
; %bb.29:                               ;   in Loop: Header=BB223_14 Depth=1
	v_lshl_add_u64 v[26:27], v[14:15], 4, s[18:19]
	global_load_dwordx4 v[10:13], v[26:27], off
	ds_read_b128 v[22:25], v28
	s_waitcnt lgkmcnt(0)
	v_mul_f64 v[30:31], v[24:25], -v[4:5]
	v_mul_f64 v[24:25], v[2:3], v[24:25]
	v_fmac_f64_e32 v[30:31], v[2:3], v[22:23]
	v_fmac_f64_e32 v[24:25], v[4:5], v[22:23]
	s_waitcnt vmcnt(0)
	v_mul_f64 v[22:23], v[8:9], -v[12:13]
	v_mul_f64 v[32:33], v[8:9], v[10:11]
	v_fmac_f64_e32 v[22:23], v[10:11], v[6:7]
	v_fmac_f64_e32 v[32:33], v[12:13], v[6:7]
	v_add_f64 v[10:11], v[22:23], v[30:31]
	v_add_f64 v[12:13], v[32:33], v[24:25]
	global_store_dwordx4 v[26:27], v[10:13], off
	s_branch .LBB223_13
.LBB223_30:
	s_endpgm
	.section	.rodata,"a",@progbits
	.p2align	6, 0x0
	.amdhsa_kernel _ZN9rocsparseL16sddmm_csx_kernelILi512ELi2EL20rocsparse_direction_0E21rocsparse_complex_numIdEllS3_S3_S3_EEv20rocsparse_operation_S4_16rocsparse_order_S5_T4_S6_S6_T3_NS_24const_host_device_scalarIT2_EEPKT5_lPKT6_lSA_PT7_PKS7_PKS6_21rocsparse_index_base_b
		.amdhsa_group_segment_fixed_size 8192
		.amdhsa_private_segment_fixed_size 0
		.amdhsa_kernarg_size 144
		.amdhsa_user_sgpr_count 2
		.amdhsa_user_sgpr_dispatch_ptr 0
		.amdhsa_user_sgpr_queue_ptr 0
		.amdhsa_user_sgpr_kernarg_segment_ptr 1
		.amdhsa_user_sgpr_dispatch_id 0
		.amdhsa_user_sgpr_kernarg_preload_length 0
		.amdhsa_user_sgpr_kernarg_preload_offset 0
		.amdhsa_user_sgpr_private_segment_size 0
		.amdhsa_uses_dynamic_stack 0
		.amdhsa_enable_private_segment 0
		.amdhsa_system_sgpr_workgroup_id_x 1
		.amdhsa_system_sgpr_workgroup_id_y 0
		.amdhsa_system_sgpr_workgroup_id_z 0
		.amdhsa_system_sgpr_workgroup_info 0
		.amdhsa_system_vgpr_workitem_id 0
		.amdhsa_next_free_vgpr 40
		.amdhsa_next_free_sgpr 30
		.amdhsa_accum_offset 40
		.amdhsa_reserve_vcc 1
		.amdhsa_float_round_mode_32 0
		.amdhsa_float_round_mode_16_64 0
		.amdhsa_float_denorm_mode_32 3
		.amdhsa_float_denorm_mode_16_64 3
		.amdhsa_dx10_clamp 1
		.amdhsa_ieee_mode 1
		.amdhsa_fp16_overflow 0
		.amdhsa_tg_split 0
		.amdhsa_exception_fp_ieee_invalid_op 0
		.amdhsa_exception_fp_denorm_src 0
		.amdhsa_exception_fp_ieee_div_zero 0
		.amdhsa_exception_fp_ieee_overflow 0
		.amdhsa_exception_fp_ieee_underflow 0
		.amdhsa_exception_fp_ieee_inexact 0
		.amdhsa_exception_int_div_zero 0
	.end_amdhsa_kernel
	.section	.text._ZN9rocsparseL16sddmm_csx_kernelILi512ELi2EL20rocsparse_direction_0E21rocsparse_complex_numIdEllS3_S3_S3_EEv20rocsparse_operation_S4_16rocsparse_order_S5_T4_S6_S6_T3_NS_24const_host_device_scalarIT2_EEPKT5_lPKT6_lSA_PT7_PKS7_PKS6_21rocsparse_index_base_b,"axG",@progbits,_ZN9rocsparseL16sddmm_csx_kernelILi512ELi2EL20rocsparse_direction_0E21rocsparse_complex_numIdEllS3_S3_S3_EEv20rocsparse_operation_S4_16rocsparse_order_S5_T4_S6_S6_T3_NS_24const_host_device_scalarIT2_EEPKT5_lPKT6_lSA_PT7_PKS7_PKS6_21rocsparse_index_base_b,comdat
.Lfunc_end223:
	.size	_ZN9rocsparseL16sddmm_csx_kernelILi512ELi2EL20rocsparse_direction_0E21rocsparse_complex_numIdEllS3_S3_S3_EEv20rocsparse_operation_S4_16rocsparse_order_S5_T4_S6_S6_T3_NS_24const_host_device_scalarIT2_EEPKT5_lPKT6_lSA_PT7_PKS7_PKS6_21rocsparse_index_base_b, .Lfunc_end223-_ZN9rocsparseL16sddmm_csx_kernelILi512ELi2EL20rocsparse_direction_0E21rocsparse_complex_numIdEllS3_S3_S3_EEv20rocsparse_operation_S4_16rocsparse_order_S5_T4_S6_S6_T3_NS_24const_host_device_scalarIT2_EEPKT5_lPKT6_lSA_PT7_PKS7_PKS6_21rocsparse_index_base_b
                                        ; -- End function
	.set _ZN9rocsparseL16sddmm_csx_kernelILi512ELi2EL20rocsparse_direction_0E21rocsparse_complex_numIdEllS3_S3_S3_EEv20rocsparse_operation_S4_16rocsparse_order_S5_T4_S6_S6_T3_NS_24const_host_device_scalarIT2_EEPKT5_lPKT6_lSA_PT7_PKS7_PKS6_21rocsparse_index_base_b.num_vgpr, 40
	.set _ZN9rocsparseL16sddmm_csx_kernelILi512ELi2EL20rocsparse_direction_0E21rocsparse_complex_numIdEllS3_S3_S3_EEv20rocsparse_operation_S4_16rocsparse_order_S5_T4_S6_S6_T3_NS_24const_host_device_scalarIT2_EEPKT5_lPKT6_lSA_PT7_PKS7_PKS6_21rocsparse_index_base_b.num_agpr, 0
	.set _ZN9rocsparseL16sddmm_csx_kernelILi512ELi2EL20rocsparse_direction_0E21rocsparse_complex_numIdEllS3_S3_S3_EEv20rocsparse_operation_S4_16rocsparse_order_S5_T4_S6_S6_T3_NS_24const_host_device_scalarIT2_EEPKT5_lPKT6_lSA_PT7_PKS7_PKS6_21rocsparse_index_base_b.numbered_sgpr, 30
	.set _ZN9rocsparseL16sddmm_csx_kernelILi512ELi2EL20rocsparse_direction_0E21rocsparse_complex_numIdEllS3_S3_S3_EEv20rocsparse_operation_S4_16rocsparse_order_S5_T4_S6_S6_T3_NS_24const_host_device_scalarIT2_EEPKT5_lPKT6_lSA_PT7_PKS7_PKS6_21rocsparse_index_base_b.num_named_barrier, 0
	.set _ZN9rocsparseL16sddmm_csx_kernelILi512ELi2EL20rocsparse_direction_0E21rocsparse_complex_numIdEllS3_S3_S3_EEv20rocsparse_operation_S4_16rocsparse_order_S5_T4_S6_S6_T3_NS_24const_host_device_scalarIT2_EEPKT5_lPKT6_lSA_PT7_PKS7_PKS6_21rocsparse_index_base_b.private_seg_size, 0
	.set _ZN9rocsparseL16sddmm_csx_kernelILi512ELi2EL20rocsparse_direction_0E21rocsparse_complex_numIdEllS3_S3_S3_EEv20rocsparse_operation_S4_16rocsparse_order_S5_T4_S6_S6_T3_NS_24const_host_device_scalarIT2_EEPKT5_lPKT6_lSA_PT7_PKS7_PKS6_21rocsparse_index_base_b.uses_vcc, 1
	.set _ZN9rocsparseL16sddmm_csx_kernelILi512ELi2EL20rocsparse_direction_0E21rocsparse_complex_numIdEllS3_S3_S3_EEv20rocsparse_operation_S4_16rocsparse_order_S5_T4_S6_S6_T3_NS_24const_host_device_scalarIT2_EEPKT5_lPKT6_lSA_PT7_PKS7_PKS6_21rocsparse_index_base_b.uses_flat_scratch, 0
	.set _ZN9rocsparseL16sddmm_csx_kernelILi512ELi2EL20rocsparse_direction_0E21rocsparse_complex_numIdEllS3_S3_S3_EEv20rocsparse_operation_S4_16rocsparse_order_S5_T4_S6_S6_T3_NS_24const_host_device_scalarIT2_EEPKT5_lPKT6_lSA_PT7_PKS7_PKS6_21rocsparse_index_base_b.has_dyn_sized_stack, 0
	.set _ZN9rocsparseL16sddmm_csx_kernelILi512ELi2EL20rocsparse_direction_0E21rocsparse_complex_numIdEllS3_S3_S3_EEv20rocsparse_operation_S4_16rocsparse_order_S5_T4_S6_S6_T3_NS_24const_host_device_scalarIT2_EEPKT5_lPKT6_lSA_PT7_PKS7_PKS6_21rocsparse_index_base_b.has_recursion, 0
	.set _ZN9rocsparseL16sddmm_csx_kernelILi512ELi2EL20rocsparse_direction_0E21rocsparse_complex_numIdEllS3_S3_S3_EEv20rocsparse_operation_S4_16rocsparse_order_S5_T4_S6_S6_T3_NS_24const_host_device_scalarIT2_EEPKT5_lPKT6_lSA_PT7_PKS7_PKS6_21rocsparse_index_base_b.has_indirect_call, 0
	.section	.AMDGPU.csdata,"",@progbits
; Kernel info:
; codeLenInByte = 1212
; TotalNumSgprs: 36
; NumVgprs: 40
; NumAgprs: 0
; TotalNumVgprs: 40
; ScratchSize: 0
; MemoryBound: 0
; FloatMode: 240
; IeeeMode: 1
; LDSByteSize: 8192 bytes/workgroup (compile time only)
; SGPRBlocks: 4
; VGPRBlocks: 4
; NumSGPRsForWavesPerEU: 36
; NumVGPRsForWavesPerEU: 40
; AccumOffset: 40
; Occupancy: 8
; WaveLimiterHint : 1
; COMPUTE_PGM_RSRC2:SCRATCH_EN: 0
; COMPUTE_PGM_RSRC2:USER_SGPR: 2
; COMPUTE_PGM_RSRC2:TRAP_HANDLER: 0
; COMPUTE_PGM_RSRC2:TGID_X_EN: 1
; COMPUTE_PGM_RSRC2:TGID_Y_EN: 0
; COMPUTE_PGM_RSRC2:TGID_Z_EN: 0
; COMPUTE_PGM_RSRC2:TIDIG_COMP_CNT: 0
; COMPUTE_PGM_RSRC3_GFX90A:ACCUM_OFFSET: 9
; COMPUTE_PGM_RSRC3_GFX90A:TG_SPLIT: 0
	.section	.text._ZN9rocsparseL16sddmm_csx_kernelILi512ELi1EL20rocsparse_direction_0E21rocsparse_complex_numIdEllS3_S3_S3_EEv20rocsparse_operation_S4_16rocsparse_order_S5_T4_S6_S6_T3_NS_24const_host_device_scalarIT2_EEPKT5_lPKT6_lSA_PT7_PKS7_PKS6_21rocsparse_index_base_b,"axG",@progbits,_ZN9rocsparseL16sddmm_csx_kernelILi512ELi1EL20rocsparse_direction_0E21rocsparse_complex_numIdEllS3_S3_S3_EEv20rocsparse_operation_S4_16rocsparse_order_S5_T4_S6_S6_T3_NS_24const_host_device_scalarIT2_EEPKT5_lPKT6_lSA_PT7_PKS7_PKS6_21rocsparse_index_base_b,comdat
	.globl	_ZN9rocsparseL16sddmm_csx_kernelILi512ELi1EL20rocsparse_direction_0E21rocsparse_complex_numIdEllS3_S3_S3_EEv20rocsparse_operation_S4_16rocsparse_order_S5_T4_S6_S6_T3_NS_24const_host_device_scalarIT2_EEPKT5_lPKT6_lSA_PT7_PKS7_PKS6_21rocsparse_index_base_b ; -- Begin function _ZN9rocsparseL16sddmm_csx_kernelILi512ELi1EL20rocsparse_direction_0E21rocsparse_complex_numIdEllS3_S3_S3_EEv20rocsparse_operation_S4_16rocsparse_order_S5_T4_S6_S6_T3_NS_24const_host_device_scalarIT2_EEPKT5_lPKT6_lSA_PT7_PKS7_PKS6_21rocsparse_index_base_b
	.p2align	8
	.type	_ZN9rocsparseL16sddmm_csx_kernelILi512ELi1EL20rocsparse_direction_0E21rocsparse_complex_numIdEllS3_S3_S3_EEv20rocsparse_operation_S4_16rocsparse_order_S5_T4_S6_S6_T3_NS_24const_host_device_scalarIT2_EEPKT5_lPKT6_lSA_PT7_PKS7_PKS6_21rocsparse_index_base_b,@function
_ZN9rocsparseL16sddmm_csx_kernelILi512ELi1EL20rocsparse_direction_0E21rocsparse_complex_numIdEllS3_S3_S3_EEv20rocsparse_operation_S4_16rocsparse_order_S5_T4_S6_S6_T3_NS_24const_host_device_scalarIT2_EEPKT5_lPKT6_lSA_PT7_PKS7_PKS6_21rocsparse_index_base_b: ; @_ZN9rocsparseL16sddmm_csx_kernelILi512ELi1EL20rocsparse_direction_0E21rocsparse_complex_numIdEllS3_S3_S3_EEv20rocsparse_operation_S4_16rocsparse_order_S5_T4_S6_S6_T3_NS_24const_host_device_scalarIT2_EEPKT5_lPKT6_lSA_PT7_PKS7_PKS6_21rocsparse_index_base_b
; %bb.0:
	s_load_dwordx2 s[4:5], s[0:1], 0x30
	s_load_dwordx4 s[8:11], s[0:1], 0x58
	s_load_dwordx2 s[12:13], s[0:1], 0x88
	s_add_u32 s3, s0, 48
	s_addc_u32 s6, s1, 0
	s_add_u32 s7, s0, 0x60
	s_addc_u32 s14, s1, 0
	s_waitcnt lgkmcnt(0)
	s_bitcmp1_b32 s13, 0
	s_cselect_b32 s5, s6, s5
	s_cselect_b32 s3, s3, s4
	v_mov_b32_e32 v2, s3
	v_mov_b32_e32 v3, s5
	flat_load_dwordx4 v[2:5], v[2:3]
	s_cselect_b32 s3, s14, s11
	s_cselect_b32 s4, s7, s10
	v_mov_b32_e32 v6, s4
	v_mov_b32_e32 v7, s3
	flat_load_dwordx4 v[6:9], v[6:7]
	s_waitcnt vmcnt(0) lgkmcnt(0)
	v_cmp_eq_f64_e32 vcc, 0, v[2:3]
	v_cmp_eq_f64_e64 s[4:5], 0, v[4:5]
	s_and_b64 s[10:11], vcc, s[4:5]
	s_mov_b64 s[4:5], -1
	s_and_saveexec_b64 s[6:7], s[10:11]
; %bb.1:
	v_cmp_neq_f64_e32 vcc, 1.0, v[6:7]
	v_cmp_neq_f64_e64 s[4:5], 0, v[8:9]
	s_or_b64 s[4:5], vcc, s[4:5]
	s_orn2_b64 s[4:5], s[4:5], exec
; %bb.2:
	s_or_b64 exec, exec, s[6:7]
	s_and_saveexec_b64 s[6:7], s[4:5]
	s_cbranch_execz .LBB224_26
; %bb.3:
	s_load_dwordx2 s[4:5], s[0:1], 0x10
	v_lshl_or_b32 v10, s2, 9, v0
	v_mov_b32_e32 v11, 0
	s_waitcnt lgkmcnt(0)
	v_cmp_gt_i64_e32 vcc, s[4:5], v[10:11]
	s_and_b64 exec, exec, vcc
	s_cbranch_execz .LBB224_26
; %bb.4:
	s_load_dwordx4 s[4:7], s[0:1], 0x0
	s_load_dwordx2 s[10:11], s[0:1], 0x78
	s_load_dwordx2 s[2:3], s[0:1], 0x48
	s_waitcnt lgkmcnt(0)
	s_cmp_eq_u32 s6, 1
	s_cselect_b64 s[14:15], -1, 0
	s_cmpk_eq_i32 s4, 0x6f
	s_cselect_b64 s[16:17], -1, 0
	s_cmpk_lg_i32 s4, 0x6f
	s_cselect_b64 s[18:19], -1, 0
	s_cmp_lg_u32 s6, 1
	s_cbranch_scc0 .LBB224_8
; %bb.5:
	s_andn2_b64 vcc, exec, s[16:17]
	v_mov_b64_e32 v[16:17], v[10:11]
	s_cbranch_vccnz .LBB224_7
; %bb.6:
	v_mad_u64_u32 v[16:17], s[20:21], s2, v10, 0
	v_mov_b32_e32 v12, v17
	v_mad_u64_u32 v[12:13], s[20:21], s3, v10, v[12:13]
	v_mov_b32_e32 v17, v12
.LBB224_7:
	s_cbranch_execz .LBB224_9
	s_branch .LBB224_11
.LBB224_8:
                                        ; implicit-def: $vgpr16_vgpr17
.LBB224_9:
	s_andn2_b64 vcc, exec, s[18:19]
	v_mov_b64_e32 v[16:17], v[10:11]
	s_cbranch_vccnz .LBB224_11
; %bb.10:
	v_mad_u64_u32 v[16:17], s[18:19], s2, v10, 0
	v_mov_b32_e32 v12, v17
	v_mad_u64_u32 v[12:13], s[18:19], s3, v10, v[12:13]
	v_mov_b32_e32 v17, v12
.LBB224_11:
	v_lshl_add_u64 v[10:11], v[10:11], 3, s[10:11]
	global_load_dwordx4 v[10:13], v[10:11], off
	s_waitcnt vmcnt(0)
	v_cmp_lt_i64_e32 vcc, v[10:11], v[12:13]
	s_and_b64 exec, exec, vcc
	s_cbranch_execz .LBB224_26
; %bb.12:
	s_xor_b64 s[14:15], s[16:17], s[14:15]
	s_and_b64 s[14:15], s[14:15], exec
	s_cselect_b32 s3, 0, s3
	s_cselect_b32 s2, 1, s2
	s_cmp_lg_u32 s7, 1
	s_cselect_b64 s[14:15], -1, 0
	s_cmp_eq_u32 s7, 1
	s_cselect_b64 s[6:7], -1, 0
	s_cmpk_eq_i32 s5, 0x6f
	s_cselect_b64 s[16:17], -1, 0
	s_cmpk_lg_i32 s5, 0x6f
	s_cselect_b64 s[4:5], -1, 0
	v_cndmask_b32_e64 v18, 0, 1, s[16:17]
	s_xor_b64 s[6:7], s[16:17], s[6:7]
	s_load_dwordx2 s[16:17], s[0:1], 0x70
	s_load_dwordx2 s[26:27], s[0:1], 0x40
	;; [unrolled: 1-line block ×5, first 2 shown]
	v_subrev_co_u32_e32 v14, vcc, s12, v10
	s_and_b64 s[6:7], s[6:7], exec
	s_nop 0
	v_subbrev_co_u32_e32 v15, vcc, 0, v11, vcc
	s_waitcnt lgkmcnt(0)
	v_lshl_add_u64 v[10:11], v[16:17], 4, s[26:27]
	v_lshl_add_u64 v[16:17], v[10:11], 0, 8
	v_cndmask_b32_e64 v10, 0, 1, s[4:5]
	v_cmp_gt_i64_e64 s[4:5], s[18:19], 0
	s_cselect_b32 s7, s9, 0
	s_cselect_b32 s6, s8, 1
	v_lshlrev_b32_e32 v22, 4, v0
	v_subrev_co_u32_e32 v0, vcc, s12, v12
	s_add_u32 s22, s22, 8
	v_cmp_ne_u32_e64 s[0:1], 1, v10
	v_cndmask_b32_e64 v10, 0, 1, s[4:5]
	s_mov_b64 s[20:21], 0
	v_subbrev_co_u32_e32 v1, vcc, 0, v13, vcc
	s_addc_u32 s23, s23, 0
	s_lshl_b64 s[24:25], s[6:7], 4
	s_lshl_b64 s[26:27], s[2:3], 4
	v_cmp_ne_u32_e64 s[2:3], 1, v18
	v_cmp_ne_u32_e64 s[4:5], 1, v10
	s_branch .LBB224_15
.LBB224_13:                             ;   in Loop: Header=BB224_15 Depth=1
	v_mov_b64_e32 v[12:13], 0
	v_mov_b64_e32 v[10:11], v[12:13]
.LBB224_14:                             ;   in Loop: Header=BB224_15 Depth=1
	v_lshl_add_u64 v[24:25], v[14:15], 4, s[16:17]
	ds_write_b128 v22, v[10:13]
	s_waitcnt lgkmcnt(0)
	s_barrier
	global_load_dwordx4 v[10:13], v[24:25], off
	ds_read_b128 v[18:21], v22
	v_lshl_add_u64 v[14:15], v[14:15], 0, 1
	v_cmp_ge_i64_e32 vcc, v[14:15], v[0:1]
	s_or_b64 s[20:21], vcc, s[20:21]
	s_waitcnt lgkmcnt(0)
	v_mul_f64 v[26:27], v[20:21], -v[4:5]
	v_mul_f64 v[20:21], v[2:3], v[20:21]
	v_fmac_f64_e32 v[26:27], v[2:3], v[18:19]
	v_fmac_f64_e32 v[20:21], v[4:5], v[18:19]
	s_waitcnt vmcnt(0)
	v_mul_f64 v[18:19], v[8:9], -v[12:13]
	v_mul_f64 v[28:29], v[8:9], v[10:11]
	v_fmac_f64_e32 v[18:19], v[10:11], v[6:7]
	v_fmac_f64_e32 v[28:29], v[12:13], v[6:7]
	v_add_f64 v[10:11], v[18:19], v[26:27]
	v_add_f64 v[12:13], v[28:29], v[20:21]
	global_store_dwordx4 v[24:25], v[10:13], off
	s_andn2_b64 exec, exec, s[20:21]
	s_cbranch_execz .LBB224_26
.LBB224_15:                             ; =>This Loop Header: Depth=1
                                        ;     Child Loop BB224_25 Depth 2
	v_lshl_add_u64 v[10:11], v[14:15], 3, s[10:11]
	global_load_dwordx2 v[10:11], v[10:11], off
	s_and_b64 vcc, exec, s[14:15]
	s_mov_b64 s[28:29], -1
                                        ; implicit-def: $vgpr12_vgpr13
	s_waitcnt vmcnt(0)
	v_subrev_co_u32_e64 v10, s[6:7], s12, v10
	s_nop 1
	v_subbrev_co_u32_e64 v11, s[6:7], 0, v11, s[6:7]
	s_cbranch_vccnz .LBB224_18
; %bb.16:                               ;   in Loop: Header=BB224_15 Depth=1
	s_andn2_b64 vcc, exec, s[28:29]
	s_cbranch_vccz .LBB224_21
.LBB224_17:                             ;   in Loop: Header=BB224_15 Depth=1
	s_and_b64 vcc, exec, s[4:5]
	s_cbranch_vccz .LBB224_24
	s_branch .LBB224_13
.LBB224_18:                             ;   in Loop: Header=BB224_15 Depth=1
	s_and_b64 vcc, exec, s[0:1]
	v_mov_b64_e32 v[12:13], v[10:11]
	s_cbranch_vccnz .LBB224_20
; %bb.19:                               ;   in Loop: Header=BB224_15 Depth=1
	v_mul_lo_u32 v18, v11, s8
	v_mul_lo_u32 v19, v10, s9
	v_mad_u64_u32 v[12:13], s[6:7], v10, s8, 0
	v_add3_u32 v13, v13, v19, v18
.LBB224_20:                             ;   in Loop: Header=BB224_15 Depth=1
	s_cbranch_execnz .LBB224_17
.LBB224_21:                             ;   in Loop: Header=BB224_15 Depth=1
	s_and_b64 vcc, exec, s[2:3]
	s_cbranch_vccnz .LBB224_23
; %bb.22:                               ;   in Loop: Header=BB224_15 Depth=1
	v_mul_lo_u32 v12, v11, s8
	v_mul_lo_u32 v13, v10, s9
	v_mad_u64_u32 v[10:11], s[6:7], v10, s8, 0
	v_add3_u32 v11, v11, v13, v12
.LBB224_23:                             ;   in Loop: Header=BB224_15 Depth=1
	v_mov_b64_e32 v[12:13], v[10:11]
	s_and_b64 vcc, exec, s[4:5]
	s_cbranch_vccnz .LBB224_13
.LBB224_24:                             ;   in Loop: Header=BB224_15 Depth=1
	v_lshl_add_u64 v[18:19], v[12:13], 4, s[22:23]
	v_mov_b64_e32 v[12:13], 0
	v_mov_b64_e32 v[20:21], v[16:17]
	s_mov_b64 s[6:7], s[18:19]
	v_mov_b64_e32 v[10:11], v[12:13]
.LBB224_25:                             ;   Parent Loop BB224_15 Depth=1
                                        ; =>  This Inner Loop Header: Depth=2
	global_load_dwordx4 v[24:27], v[18:19], off offset:-8
	global_load_dwordx4 v[28:31], v[20:21], off offset:-8
	s_add_u32 s6, s6, -1
	s_addc_u32 s7, s7, -1
	v_lshl_add_u64 v[18:19], v[18:19], 0, s[24:25]
	v_lshl_add_u64 v[20:21], v[20:21], 0, s[26:27]
	s_cmp_eq_u64 s[6:7], 0
	s_waitcnt vmcnt(0)
	v_mul_f64 v[32:33], v[26:27], -v[30:31]
	v_mul_f64 v[26:27], v[26:27], v[28:29]
	v_fmac_f64_e32 v[32:33], v[28:29], v[24:25]
	v_fmac_f64_e32 v[26:27], v[30:31], v[24:25]
	v_add_f64 v[10:11], v[10:11], v[32:33]
	v_add_f64 v[12:13], v[12:13], v[26:27]
	s_cbranch_scc0 .LBB224_25
	s_branch .LBB224_14
.LBB224_26:
	s_endpgm
	.section	.rodata,"a",@progbits
	.p2align	6, 0x0
	.amdhsa_kernel _ZN9rocsparseL16sddmm_csx_kernelILi512ELi1EL20rocsparse_direction_0E21rocsparse_complex_numIdEllS3_S3_S3_EEv20rocsparse_operation_S4_16rocsparse_order_S5_T4_S6_S6_T3_NS_24const_host_device_scalarIT2_EEPKT5_lPKT6_lSA_PT7_PKS7_PKS6_21rocsparse_index_base_b
		.amdhsa_group_segment_fixed_size 8192
		.amdhsa_private_segment_fixed_size 0
		.amdhsa_kernarg_size 144
		.amdhsa_user_sgpr_count 2
		.amdhsa_user_sgpr_dispatch_ptr 0
		.amdhsa_user_sgpr_queue_ptr 0
		.amdhsa_user_sgpr_kernarg_segment_ptr 1
		.amdhsa_user_sgpr_dispatch_id 0
		.amdhsa_user_sgpr_kernarg_preload_length 0
		.amdhsa_user_sgpr_kernarg_preload_offset 0
		.amdhsa_user_sgpr_private_segment_size 0
		.amdhsa_uses_dynamic_stack 0
		.amdhsa_enable_private_segment 0
		.amdhsa_system_sgpr_workgroup_id_x 1
		.amdhsa_system_sgpr_workgroup_id_y 0
		.amdhsa_system_sgpr_workgroup_id_z 0
		.amdhsa_system_sgpr_workgroup_info 0
		.amdhsa_system_vgpr_workitem_id 0
		.amdhsa_next_free_vgpr 34
		.amdhsa_next_free_sgpr 30
		.amdhsa_accum_offset 36
		.amdhsa_reserve_vcc 1
		.amdhsa_float_round_mode_32 0
		.amdhsa_float_round_mode_16_64 0
		.amdhsa_float_denorm_mode_32 3
		.amdhsa_float_denorm_mode_16_64 3
		.amdhsa_dx10_clamp 1
		.amdhsa_ieee_mode 1
		.amdhsa_fp16_overflow 0
		.amdhsa_tg_split 0
		.amdhsa_exception_fp_ieee_invalid_op 0
		.amdhsa_exception_fp_denorm_src 0
		.amdhsa_exception_fp_ieee_div_zero 0
		.amdhsa_exception_fp_ieee_overflow 0
		.amdhsa_exception_fp_ieee_underflow 0
		.amdhsa_exception_fp_ieee_inexact 0
		.amdhsa_exception_int_div_zero 0
	.end_amdhsa_kernel
	.section	.text._ZN9rocsparseL16sddmm_csx_kernelILi512ELi1EL20rocsparse_direction_0E21rocsparse_complex_numIdEllS3_S3_S3_EEv20rocsparse_operation_S4_16rocsparse_order_S5_T4_S6_S6_T3_NS_24const_host_device_scalarIT2_EEPKT5_lPKT6_lSA_PT7_PKS7_PKS6_21rocsparse_index_base_b,"axG",@progbits,_ZN9rocsparseL16sddmm_csx_kernelILi512ELi1EL20rocsparse_direction_0E21rocsparse_complex_numIdEllS3_S3_S3_EEv20rocsparse_operation_S4_16rocsparse_order_S5_T4_S6_S6_T3_NS_24const_host_device_scalarIT2_EEPKT5_lPKT6_lSA_PT7_PKS7_PKS6_21rocsparse_index_base_b,comdat
.Lfunc_end224:
	.size	_ZN9rocsparseL16sddmm_csx_kernelILi512ELi1EL20rocsparse_direction_0E21rocsparse_complex_numIdEllS3_S3_S3_EEv20rocsparse_operation_S4_16rocsparse_order_S5_T4_S6_S6_T3_NS_24const_host_device_scalarIT2_EEPKT5_lPKT6_lSA_PT7_PKS7_PKS6_21rocsparse_index_base_b, .Lfunc_end224-_ZN9rocsparseL16sddmm_csx_kernelILi512ELi1EL20rocsparse_direction_0E21rocsparse_complex_numIdEllS3_S3_S3_EEv20rocsparse_operation_S4_16rocsparse_order_S5_T4_S6_S6_T3_NS_24const_host_device_scalarIT2_EEPKT5_lPKT6_lSA_PT7_PKS7_PKS6_21rocsparse_index_base_b
                                        ; -- End function
	.set _ZN9rocsparseL16sddmm_csx_kernelILi512ELi1EL20rocsparse_direction_0E21rocsparse_complex_numIdEllS3_S3_S3_EEv20rocsparse_operation_S4_16rocsparse_order_S5_T4_S6_S6_T3_NS_24const_host_device_scalarIT2_EEPKT5_lPKT6_lSA_PT7_PKS7_PKS6_21rocsparse_index_base_b.num_vgpr, 34
	.set _ZN9rocsparseL16sddmm_csx_kernelILi512ELi1EL20rocsparse_direction_0E21rocsparse_complex_numIdEllS3_S3_S3_EEv20rocsparse_operation_S4_16rocsparse_order_S5_T4_S6_S6_T3_NS_24const_host_device_scalarIT2_EEPKT5_lPKT6_lSA_PT7_PKS7_PKS6_21rocsparse_index_base_b.num_agpr, 0
	.set _ZN9rocsparseL16sddmm_csx_kernelILi512ELi1EL20rocsparse_direction_0E21rocsparse_complex_numIdEllS3_S3_S3_EEv20rocsparse_operation_S4_16rocsparse_order_S5_T4_S6_S6_T3_NS_24const_host_device_scalarIT2_EEPKT5_lPKT6_lSA_PT7_PKS7_PKS6_21rocsparse_index_base_b.numbered_sgpr, 30
	.set _ZN9rocsparseL16sddmm_csx_kernelILi512ELi1EL20rocsparse_direction_0E21rocsparse_complex_numIdEllS3_S3_S3_EEv20rocsparse_operation_S4_16rocsparse_order_S5_T4_S6_S6_T3_NS_24const_host_device_scalarIT2_EEPKT5_lPKT6_lSA_PT7_PKS7_PKS6_21rocsparse_index_base_b.num_named_barrier, 0
	.set _ZN9rocsparseL16sddmm_csx_kernelILi512ELi1EL20rocsparse_direction_0E21rocsparse_complex_numIdEllS3_S3_S3_EEv20rocsparse_operation_S4_16rocsparse_order_S5_T4_S6_S6_T3_NS_24const_host_device_scalarIT2_EEPKT5_lPKT6_lSA_PT7_PKS7_PKS6_21rocsparse_index_base_b.private_seg_size, 0
	.set _ZN9rocsparseL16sddmm_csx_kernelILi512ELi1EL20rocsparse_direction_0E21rocsparse_complex_numIdEllS3_S3_S3_EEv20rocsparse_operation_S4_16rocsparse_order_S5_T4_S6_S6_T3_NS_24const_host_device_scalarIT2_EEPKT5_lPKT6_lSA_PT7_PKS7_PKS6_21rocsparse_index_base_b.uses_vcc, 1
	.set _ZN9rocsparseL16sddmm_csx_kernelILi512ELi1EL20rocsparse_direction_0E21rocsparse_complex_numIdEllS3_S3_S3_EEv20rocsparse_operation_S4_16rocsparse_order_S5_T4_S6_S6_T3_NS_24const_host_device_scalarIT2_EEPKT5_lPKT6_lSA_PT7_PKS7_PKS6_21rocsparse_index_base_b.uses_flat_scratch, 0
	.set _ZN9rocsparseL16sddmm_csx_kernelILi512ELi1EL20rocsparse_direction_0E21rocsparse_complex_numIdEllS3_S3_S3_EEv20rocsparse_operation_S4_16rocsparse_order_S5_T4_S6_S6_T3_NS_24const_host_device_scalarIT2_EEPKT5_lPKT6_lSA_PT7_PKS7_PKS6_21rocsparse_index_base_b.has_dyn_sized_stack, 0
	.set _ZN9rocsparseL16sddmm_csx_kernelILi512ELi1EL20rocsparse_direction_0E21rocsparse_complex_numIdEllS3_S3_S3_EEv20rocsparse_operation_S4_16rocsparse_order_S5_T4_S6_S6_T3_NS_24const_host_device_scalarIT2_EEPKT5_lPKT6_lSA_PT7_PKS7_PKS6_21rocsparse_index_base_b.has_recursion, 0
	.set _ZN9rocsparseL16sddmm_csx_kernelILi512ELi1EL20rocsparse_direction_0E21rocsparse_complex_numIdEllS3_S3_S3_EEv20rocsparse_operation_S4_16rocsparse_order_S5_T4_S6_S6_T3_NS_24const_host_device_scalarIT2_EEPKT5_lPKT6_lSA_PT7_PKS7_PKS6_21rocsparse_index_base_b.has_indirect_call, 0
	.section	.AMDGPU.csdata,"",@progbits
; Kernel info:
; codeLenInByte = 1044
; TotalNumSgprs: 36
; NumVgprs: 34
; NumAgprs: 0
; TotalNumVgprs: 34
; ScratchSize: 0
; MemoryBound: 0
; FloatMode: 240
; IeeeMode: 1
; LDSByteSize: 8192 bytes/workgroup (compile time only)
; SGPRBlocks: 4
; VGPRBlocks: 4
; NumSGPRsForWavesPerEU: 36
; NumVGPRsForWavesPerEU: 34
; AccumOffset: 36
; Occupancy: 8
; WaveLimiterHint : 1
; COMPUTE_PGM_RSRC2:SCRATCH_EN: 0
; COMPUTE_PGM_RSRC2:USER_SGPR: 2
; COMPUTE_PGM_RSRC2:TRAP_HANDLER: 0
; COMPUTE_PGM_RSRC2:TGID_X_EN: 1
; COMPUTE_PGM_RSRC2:TGID_Y_EN: 0
; COMPUTE_PGM_RSRC2:TGID_Z_EN: 0
; COMPUTE_PGM_RSRC2:TIDIG_COMP_CNT: 0
; COMPUTE_PGM_RSRC3_GFX90A:ACCUM_OFFSET: 8
; COMPUTE_PGM_RSRC3_GFX90A:TG_SPLIT: 0
	.section	.text._ZN9rocsparseL16sddmm_csx_kernelILi512ELi8EL20rocsparse_direction_0EfiiDF16_DF16_fEEv20rocsparse_operation_S2_16rocsparse_order_S3_T4_S4_S4_T3_NS_24const_host_device_scalarIT2_EEPKT5_lPKT6_lS8_PT7_PKS5_PKS4_21rocsparse_index_base_b,"axG",@progbits,_ZN9rocsparseL16sddmm_csx_kernelILi512ELi8EL20rocsparse_direction_0EfiiDF16_DF16_fEEv20rocsparse_operation_S2_16rocsparse_order_S3_T4_S4_S4_T3_NS_24const_host_device_scalarIT2_EEPKT5_lPKT6_lS8_PT7_PKS5_PKS4_21rocsparse_index_base_b,comdat
	.globl	_ZN9rocsparseL16sddmm_csx_kernelILi512ELi8EL20rocsparse_direction_0EfiiDF16_DF16_fEEv20rocsparse_operation_S2_16rocsparse_order_S3_T4_S4_S4_T3_NS_24const_host_device_scalarIT2_EEPKT5_lPKT6_lS8_PT7_PKS5_PKS4_21rocsparse_index_base_b ; -- Begin function _ZN9rocsparseL16sddmm_csx_kernelILi512ELi8EL20rocsparse_direction_0EfiiDF16_DF16_fEEv20rocsparse_operation_S2_16rocsparse_order_S3_T4_S4_S4_T3_NS_24const_host_device_scalarIT2_EEPKT5_lPKT6_lS8_PT7_PKS5_PKS4_21rocsparse_index_base_b
	.p2align	8
	.type	_ZN9rocsparseL16sddmm_csx_kernelILi512ELi8EL20rocsparse_direction_0EfiiDF16_DF16_fEEv20rocsparse_operation_S2_16rocsparse_order_S3_T4_S4_S4_T3_NS_24const_host_device_scalarIT2_EEPKT5_lPKT6_lS8_PT7_PKS5_PKS4_21rocsparse_index_base_b,@function
_ZN9rocsparseL16sddmm_csx_kernelILi512ELi8EL20rocsparse_direction_0EfiiDF16_DF16_fEEv20rocsparse_operation_S2_16rocsparse_order_S3_T4_S4_S4_T3_NS_24const_host_device_scalarIT2_EEPKT5_lPKT6_lS8_PT7_PKS5_PKS4_21rocsparse_index_base_b: ; @_ZN9rocsparseL16sddmm_csx_kernelILi512ELi8EL20rocsparse_direction_0EfiiDF16_DF16_fEEv20rocsparse_operation_S2_16rocsparse_order_S3_T4_S4_S4_T3_NS_24const_host_device_scalarIT2_EEPKT5_lPKT6_lS8_PT7_PKS5_PKS4_21rocsparse_index_base_b
; %bb.0:
	s_load_dwordx2 s[16:17], s[0:1], 0x68
	s_load_dwordx2 s[6:7], s[0:1], 0x20
	s_load_dwordx4 s[12:15], s[0:1], 0x40
	s_waitcnt lgkmcnt(0)
	s_bitcmp1_b32 s17, 0
	s_cselect_b64 s[8:9], -1, 0
	s_xor_b64 s[4:5], s[8:9], -1
	s_and_b64 vcc, exec, s[8:9]
	s_mov_b32 s19, s6
	s_cbranch_vccnz .LBB225_2
; %bb.1:
	s_load_dword s19, s[6:7], 0x0
.LBB225_2:
	s_andn2_b64 vcc, exec, s[4:5]
	s_mov_b32 s18, s14
	s_cbranch_vccnz .LBB225_4
; %bb.3:
	s_load_dword s18, s[14:15], 0x0
.LBB225_4:
	s_waitcnt lgkmcnt(0)
	v_cmp_eq_f32_e64 s[4:5], s19, 0
	v_cmp_eq_f32_e64 s[6:7], s18, 1.0
	s_and_b64 s[4:5], s[4:5], s[6:7]
	s_and_b64 vcc, exec, s[4:5]
	s_cbranch_vccnz .LBB225_36
; %bb.5:
	s_load_dword s3, s[0:1], 0x10
	v_lshrrev_b32_e32 v1, 3, v0
	v_lshl_or_b32 v4, s2, 6, v1
	s_waitcnt lgkmcnt(0)
	v_cmp_gt_i32_e32 vcc, s3, v4
	s_and_saveexec_b64 s[2:3], vcc
	s_cbranch_execz .LBB225_36
; %bb.6:
	s_load_dwordx4 s[4:7], s[0:1], 0x0
	s_load_dwordx2 s[14:15], s[0:1], 0x58
	s_load_dwordx2 s[2:3], s[0:1], 0x30
	v_ashrrev_i32_e32 v5, 31, v4
	s_waitcnt lgkmcnt(0)
	s_cmp_eq_u32 s6, 1
	s_cselect_b64 s[8:9], -1, 0
	s_cmpk_eq_i32 s4, 0x6f
	s_cselect_b64 s[10:11], -1, 0
	s_cmpk_lg_i32 s4, 0x6f
	s_cselect_b64 s[20:21], -1, 0
	s_cmp_lg_u32 s6, 1
	s_cbranch_scc0 .LBB225_10
; %bb.7:
	s_andn2_b64 vcc, exec, s[10:11]
	v_mov_b64_e32 v[2:3], v[4:5]
	s_cbranch_vccnz .LBB225_9
; %bb.8:
	v_mul_lo_u32 v6, s3, v4
	v_mul_lo_u32 v7, s2, v5
	v_mad_u64_u32 v[2:3], s[22:23], s2, v4, 0
	v_add3_u32 v3, v3, v7, v6
.LBB225_9:
	s_cbranch_execz .LBB225_11
	s_branch .LBB225_13
.LBB225_10:
                                        ; implicit-def: $vgpr2_vgpr3
.LBB225_11:
	s_andn2_b64 vcc, exec, s[20:21]
	v_mov_b64_e32 v[2:3], v[4:5]
	s_cbranch_vccnz .LBB225_13
; %bb.12:
	v_mul_lo_u32 v6, s3, v4
	v_mul_lo_u32 v7, s2, v5
	v_mad_u64_u32 v[2:3], s[20:21], s2, v4, 0
	v_add3_u32 v3, v3, v7, v6
.LBB225_13:
	v_lshl_add_u64 v[4:5], v[4:5], 2, s[14:15]
	global_load_dwordx2 v[4:5], v[4:5], off
	s_waitcnt vmcnt(0)
	v_cmp_lt_i32_e32 vcc, v4, v5
	s_and_b64 exec, exec, vcc
	s_cbranch_execz .LBB225_36
; %bb.14:
	s_xor_b64 s[8:9], s[10:11], s[8:9]
	s_and_b64 s[8:9], s[8:9], exec
	s_cselect_b32 s9, 0, s3
	s_cselect_b32 s8, 1, s2
	s_cmp_lg_u32 s7, 1
	s_cselect_b64 s[20:21], -1, 0
	s_cmp_eq_u32 s7, 1
	v_and_b32_e32 v10, 7, v0
	s_cselect_b64 s[2:3], -1, 0
	s_cmpk_eq_i32 s5, 0x6f
	v_subrev_u32_e32 v0, s16, v4
	v_subrev_u32_e32 v13, s16, v5
	v_mad_u64_u32 v[4:5], s[30:31], s8, v10, 0
	s_cselect_b64 s[6:7], -1, 0
	s_cmpk_lg_i32 s5, 0x6f
	s_load_dwordx2 s[26:27], s[0:1], 0x38
	s_load_dwordx2 s[22:23], s[0:1], 0x50
	;; [unrolled: 1-line block ×3, first 2 shown]
	s_load_dword s17, s[0:1], 0x18
	v_mov_b32_e32 v6, v5
	s_cselect_b64 s[10:11], -1, 0
	s_xor_b64 s[2:3], s[6:7], s[2:3]
	v_mad_u64_u32 v[6:7], s[30:31], s9, v10, v[6:7]
	s_and_b64 s[2:3], s[2:3], exec
	v_mov_b32_e32 v5, v6
	v_lshlrev_b64 v[2:3], 1, v[2:3]
	s_cselect_b32 s28, s12, 1
	v_lshl_add_u64 v[2:3], v[4:5], 1, v[2:3]
	s_load_dwordx2 s[14:15], s[0:1], 0x60
	s_cselect_b32 s29, s13, 0
	s_waitcnt lgkmcnt(0)
	v_lshl_add_u64 v[2:3], s[24:25], 0, v[2:3]
	s_lshl_b64 s[24:25], s[8:9], 4
	v_mad_u64_u32 v[4:5], s[8:9], s28, v10, 0
	v_mov_b32_e32 v6, v5
	v_mad_u64_u32 v[6:7], s[8:9], s29, v10, v[6:7]
	v_cndmask_b32_e64 v8, 0, 1, s[6:7]
	v_lshlrev_b32_e32 v11, 5, v1
	v_mov_b32_e32 v5, v6
	v_cndmask_b32_e64 v1, 0, 1, s[10:11]
	v_cmp_gt_i32_e64 s[0:1], s17, v10
	v_lshl_or_b32 v12, v10, 2, v11
	v_cmp_eq_u32_e64 s[2:3], 0, v10
	v_cmp_gt_u32_e64 s[4:5], 4, v10
	v_cmp_gt_u32_e64 s[6:7], 2, v10
	v_lshl_add_u64 v[4:5], v[4:5], 1, s[26:27]
	s_lshl_b64 s[26:27], s[28:29], 4
	s_mov_b64 s[28:29], 0
	v_cmp_ne_u32_e64 s[8:9], 1, v1
	v_cmp_ne_u32_e64 s[10:11], 1, v8
	s_branch .LBB225_16
.LBB225_15:                             ;   in Loop: Header=BB225_16 Depth=1
	s_or_b64 exec, exec, s[30:31]
	v_add_u32_e32 v0, 1, v0
	v_cmp_ge_i32_e32 vcc, v0, v13
	s_or_b64 s[28:29], vcc, s[28:29]
	s_andn2_b64 exec, exec, s[28:29]
	s_cbranch_execz .LBB225_36
.LBB225_16:                             ; =>This Loop Header: Depth=1
                                        ;     Child Loop BB225_26 Depth 2
	v_ashrrev_i32_e32 v1, 31, v0
	v_lshl_add_u64 v[6:7], v[0:1], 2, s[14:15]
	global_load_dword v6, v[6:7], off
	s_mov_b64 s[30:31], -1
	s_and_b64 vcc, exec, s[20:21]
                                        ; implicit-def: $vgpr8_vgpr9
	s_waitcnt vmcnt(0)
	v_subrev_u32_e32 v6, s16, v6
	v_ashrrev_i32_e32 v7, 31, v6
	s_cbranch_vccnz .LBB225_19
; %bb.17:                               ;   in Loop: Header=BB225_16 Depth=1
	s_andn2_b64 vcc, exec, s[30:31]
	s_cbranch_vccz .LBB225_22
.LBB225_18:                             ;   in Loop: Header=BB225_16 Depth=1
	v_mov_b32_e32 v14, 0
	s_and_saveexec_b64 s[30:31], s[0:1]
	s_cbranch_execnz .LBB225_25
	s_branch .LBB225_28
.LBB225_19:                             ;   in Loop: Header=BB225_16 Depth=1
	s_and_b64 vcc, exec, s[8:9]
	v_mov_b64_e32 v[8:9], v[6:7]
	s_cbranch_vccnz .LBB225_21
; %bb.20:                               ;   in Loop: Header=BB225_16 Depth=1
	v_mul_lo_u32 v14, s13, v6
	v_mul_lo_u32 v15, s12, v7
	v_mad_u64_u32 v[8:9], s[30:31], s12, v6, 0
	v_add3_u32 v9, v9, v15, v14
.LBB225_21:                             ;   in Loop: Header=BB225_16 Depth=1
	s_cbranch_execnz .LBB225_18
.LBB225_22:                             ;   in Loop: Header=BB225_16 Depth=1
	s_and_b64 vcc, exec, s[10:11]
	s_cbranch_vccnz .LBB225_24
; %bb.23:                               ;   in Loop: Header=BB225_16 Depth=1
	v_mul_lo_u32 v8, s13, v6
	v_mul_lo_u32 v9, s12, v7
	v_mad_u64_u32 v[6:7], s[30:31], s12, v6, 0
	v_add3_u32 v7, v7, v9, v8
.LBB225_24:                             ;   in Loop: Header=BB225_16 Depth=1
	v_mov_b64_e32 v[8:9], v[6:7]
	v_mov_b32_e32 v14, 0
	s_and_saveexec_b64 s[30:31], s[0:1]
	s_cbranch_execz .LBB225_28
.LBB225_25:                             ;   in Loop: Header=BB225_16 Depth=1
	v_lshl_add_u64 v[6:7], v[8:9], 1, v[4:5]
	v_mov_b32_e32 v14, 0
	s_mov_b64 s[34:35], 0
	v_mov_b64_e32 v[8:9], v[2:3]
	v_mov_b32_e32 v15, v10
.LBB225_26:                             ;   Parent Loop BB225_16 Depth=1
                                        ; =>  This Inner Loop Header: Depth=2
	global_load_ushort v16, v[8:9], off
	global_load_ushort v17, v[6:7], off
	v_add_u32_e32 v15, 8, v15
	v_cmp_le_i32_e32 vcc, s17, v15
	v_lshl_add_u64 v[8:9], v[8:9], 0, s[24:25]
	v_lshl_add_u64 v[6:7], v[6:7], 0, s[26:27]
	s_or_b64 s[34:35], vcc, s[34:35]
	s_waitcnt vmcnt(0)
	v_mul_f16_e32 v16, v16, v17
	v_cvt_f32_f16_e32 v16, v16
	v_add_f32_e32 v14, v14, v16
	s_andn2_b64 exec, exec, s[34:35]
	s_cbranch_execnz .LBB225_26
; %bb.27:                               ;   in Loop: Header=BB225_16 Depth=1
	s_or_b64 exec, exec, s[34:35]
.LBB225_28:                             ;   in Loop: Header=BB225_16 Depth=1
	s_or_b64 exec, exec, s[30:31]
	ds_write_b32 v12, v14
	s_waitcnt lgkmcnt(0)
	s_barrier
	s_and_saveexec_b64 s[30:31], s[4:5]
	s_cbranch_execz .LBB225_30
; %bb.29:                               ;   in Loop: Header=BB225_16 Depth=1
	ds_read2_b32 v[6:7], v12 offset1:4
	s_waitcnt lgkmcnt(0)
	v_add_f32_e32 v6, v7, v6
	ds_write_b32 v12, v6
.LBB225_30:                             ;   in Loop: Header=BB225_16 Depth=1
	s_or_b64 exec, exec, s[30:31]
	s_waitcnt lgkmcnt(0)
	s_barrier
	s_and_saveexec_b64 s[30:31], s[6:7]
	s_cbranch_execz .LBB225_32
; %bb.31:                               ;   in Loop: Header=BB225_16 Depth=1
	ds_read2_b32 v[6:7], v12 offset1:2
	s_waitcnt lgkmcnt(0)
	v_add_f32_e32 v6, v7, v6
	ds_write_b32 v12, v6
.LBB225_32:                             ;   in Loop: Header=BB225_16 Depth=1
	s_or_b64 exec, exec, s[30:31]
	;; [unrolled: 11-line block ×3, first 2 shown]
	s_waitcnt lgkmcnt(0)
	s_barrier
	s_and_saveexec_b64 s[30:31], s[2:3]
	s_cbranch_execz .LBB225_15
; %bb.35:                               ;   in Loop: Header=BB225_16 Depth=1
	v_lshl_add_u64 v[6:7], v[0:1], 2, s[22:23]
	global_load_dword v8, v[6:7], off
	ds_read_b32 v9, v11
	s_waitcnt vmcnt(0) lgkmcnt(0)
	v_pk_mul_f32 v[8:9], s[18:19], v[8:9]
	s_nop 0
	v_add_f32_e32 v1, v8, v9
	global_store_dword v[6:7], v1, off
	s_branch .LBB225_15
.LBB225_36:
	s_endpgm
	.section	.rodata,"a",@progbits
	.p2align	6, 0x0
	.amdhsa_kernel _ZN9rocsparseL16sddmm_csx_kernelILi512ELi8EL20rocsparse_direction_0EfiiDF16_DF16_fEEv20rocsparse_operation_S2_16rocsparse_order_S3_T4_S4_S4_T3_NS_24const_host_device_scalarIT2_EEPKT5_lPKT6_lS8_PT7_PKS5_PKS4_21rocsparse_index_base_b
		.amdhsa_group_segment_fixed_size 2048
		.amdhsa_private_segment_fixed_size 0
		.amdhsa_kernarg_size 112
		.amdhsa_user_sgpr_count 2
		.amdhsa_user_sgpr_dispatch_ptr 0
		.amdhsa_user_sgpr_queue_ptr 0
		.amdhsa_user_sgpr_kernarg_segment_ptr 1
		.amdhsa_user_sgpr_dispatch_id 0
		.amdhsa_user_sgpr_kernarg_preload_length 0
		.amdhsa_user_sgpr_kernarg_preload_offset 0
		.amdhsa_user_sgpr_private_segment_size 0
		.amdhsa_uses_dynamic_stack 0
		.amdhsa_enable_private_segment 0
		.amdhsa_system_sgpr_workgroup_id_x 1
		.amdhsa_system_sgpr_workgroup_id_y 0
		.amdhsa_system_sgpr_workgroup_id_z 0
		.amdhsa_system_sgpr_workgroup_info 0
		.amdhsa_system_vgpr_workitem_id 0
		.amdhsa_next_free_vgpr 18
		.amdhsa_next_free_sgpr 36
		.amdhsa_accum_offset 20
		.amdhsa_reserve_vcc 1
		.amdhsa_float_round_mode_32 0
		.amdhsa_float_round_mode_16_64 0
		.amdhsa_float_denorm_mode_32 3
		.amdhsa_float_denorm_mode_16_64 3
		.amdhsa_dx10_clamp 1
		.amdhsa_ieee_mode 1
		.amdhsa_fp16_overflow 0
		.amdhsa_tg_split 0
		.amdhsa_exception_fp_ieee_invalid_op 0
		.amdhsa_exception_fp_denorm_src 0
		.amdhsa_exception_fp_ieee_div_zero 0
		.amdhsa_exception_fp_ieee_overflow 0
		.amdhsa_exception_fp_ieee_underflow 0
		.amdhsa_exception_fp_ieee_inexact 0
		.amdhsa_exception_int_div_zero 0
	.end_amdhsa_kernel
	.section	.text._ZN9rocsparseL16sddmm_csx_kernelILi512ELi8EL20rocsparse_direction_0EfiiDF16_DF16_fEEv20rocsparse_operation_S2_16rocsparse_order_S3_T4_S4_S4_T3_NS_24const_host_device_scalarIT2_EEPKT5_lPKT6_lS8_PT7_PKS5_PKS4_21rocsparse_index_base_b,"axG",@progbits,_ZN9rocsparseL16sddmm_csx_kernelILi512ELi8EL20rocsparse_direction_0EfiiDF16_DF16_fEEv20rocsparse_operation_S2_16rocsparse_order_S3_T4_S4_S4_T3_NS_24const_host_device_scalarIT2_EEPKT5_lPKT6_lS8_PT7_PKS5_PKS4_21rocsparse_index_base_b,comdat
.Lfunc_end225:
	.size	_ZN9rocsparseL16sddmm_csx_kernelILi512ELi8EL20rocsparse_direction_0EfiiDF16_DF16_fEEv20rocsparse_operation_S2_16rocsparse_order_S3_T4_S4_S4_T3_NS_24const_host_device_scalarIT2_EEPKT5_lPKT6_lS8_PT7_PKS5_PKS4_21rocsparse_index_base_b, .Lfunc_end225-_ZN9rocsparseL16sddmm_csx_kernelILi512ELi8EL20rocsparse_direction_0EfiiDF16_DF16_fEEv20rocsparse_operation_S2_16rocsparse_order_S3_T4_S4_S4_T3_NS_24const_host_device_scalarIT2_EEPKT5_lPKT6_lS8_PT7_PKS5_PKS4_21rocsparse_index_base_b
                                        ; -- End function
	.set _ZN9rocsparseL16sddmm_csx_kernelILi512ELi8EL20rocsparse_direction_0EfiiDF16_DF16_fEEv20rocsparse_operation_S2_16rocsparse_order_S3_T4_S4_S4_T3_NS_24const_host_device_scalarIT2_EEPKT5_lPKT6_lS8_PT7_PKS5_PKS4_21rocsparse_index_base_b.num_vgpr, 18
	.set _ZN9rocsparseL16sddmm_csx_kernelILi512ELi8EL20rocsparse_direction_0EfiiDF16_DF16_fEEv20rocsparse_operation_S2_16rocsparse_order_S3_T4_S4_S4_T3_NS_24const_host_device_scalarIT2_EEPKT5_lPKT6_lS8_PT7_PKS5_PKS4_21rocsparse_index_base_b.num_agpr, 0
	.set _ZN9rocsparseL16sddmm_csx_kernelILi512ELi8EL20rocsparse_direction_0EfiiDF16_DF16_fEEv20rocsparse_operation_S2_16rocsparse_order_S3_T4_S4_S4_T3_NS_24const_host_device_scalarIT2_EEPKT5_lPKT6_lS8_PT7_PKS5_PKS4_21rocsparse_index_base_b.numbered_sgpr, 36
	.set _ZN9rocsparseL16sddmm_csx_kernelILi512ELi8EL20rocsparse_direction_0EfiiDF16_DF16_fEEv20rocsparse_operation_S2_16rocsparse_order_S3_T4_S4_S4_T3_NS_24const_host_device_scalarIT2_EEPKT5_lPKT6_lS8_PT7_PKS5_PKS4_21rocsparse_index_base_b.num_named_barrier, 0
	.set _ZN9rocsparseL16sddmm_csx_kernelILi512ELi8EL20rocsparse_direction_0EfiiDF16_DF16_fEEv20rocsparse_operation_S2_16rocsparse_order_S3_T4_S4_S4_T3_NS_24const_host_device_scalarIT2_EEPKT5_lPKT6_lS8_PT7_PKS5_PKS4_21rocsparse_index_base_b.private_seg_size, 0
	.set _ZN9rocsparseL16sddmm_csx_kernelILi512ELi8EL20rocsparse_direction_0EfiiDF16_DF16_fEEv20rocsparse_operation_S2_16rocsparse_order_S3_T4_S4_S4_T3_NS_24const_host_device_scalarIT2_EEPKT5_lPKT6_lS8_PT7_PKS5_PKS4_21rocsparse_index_base_b.uses_vcc, 1
	.set _ZN9rocsparseL16sddmm_csx_kernelILi512ELi8EL20rocsparse_direction_0EfiiDF16_DF16_fEEv20rocsparse_operation_S2_16rocsparse_order_S3_T4_S4_S4_T3_NS_24const_host_device_scalarIT2_EEPKT5_lPKT6_lS8_PT7_PKS5_PKS4_21rocsparse_index_base_b.uses_flat_scratch, 0
	.set _ZN9rocsparseL16sddmm_csx_kernelILi512ELi8EL20rocsparse_direction_0EfiiDF16_DF16_fEEv20rocsparse_operation_S2_16rocsparse_order_S3_T4_S4_S4_T3_NS_24const_host_device_scalarIT2_EEPKT5_lPKT6_lS8_PT7_PKS5_PKS4_21rocsparse_index_base_b.has_dyn_sized_stack, 0
	.set _ZN9rocsparseL16sddmm_csx_kernelILi512ELi8EL20rocsparse_direction_0EfiiDF16_DF16_fEEv20rocsparse_operation_S2_16rocsparse_order_S3_T4_S4_S4_T3_NS_24const_host_device_scalarIT2_EEPKT5_lPKT6_lS8_PT7_PKS5_PKS4_21rocsparse_index_base_b.has_recursion, 0
	.set _ZN9rocsparseL16sddmm_csx_kernelILi512ELi8EL20rocsparse_direction_0EfiiDF16_DF16_fEEv20rocsparse_operation_S2_16rocsparse_order_S3_T4_S4_S4_T3_NS_24const_host_device_scalarIT2_EEPKT5_lPKT6_lS8_PT7_PKS5_PKS4_21rocsparse_index_base_b.has_indirect_call, 0
	.section	.AMDGPU.csdata,"",@progbits
; Kernel info:
; codeLenInByte = 1144
; TotalNumSgprs: 42
; NumVgprs: 18
; NumAgprs: 0
; TotalNumVgprs: 18
; ScratchSize: 0
; MemoryBound: 0
; FloatMode: 240
; IeeeMode: 1
; LDSByteSize: 2048 bytes/workgroup (compile time only)
; SGPRBlocks: 5
; VGPRBlocks: 2
; NumSGPRsForWavesPerEU: 42
; NumVGPRsForWavesPerEU: 18
; AccumOffset: 20
; Occupancy: 8
; WaveLimiterHint : 0
; COMPUTE_PGM_RSRC2:SCRATCH_EN: 0
; COMPUTE_PGM_RSRC2:USER_SGPR: 2
; COMPUTE_PGM_RSRC2:TRAP_HANDLER: 0
; COMPUTE_PGM_RSRC2:TGID_X_EN: 1
; COMPUTE_PGM_RSRC2:TGID_Y_EN: 0
; COMPUTE_PGM_RSRC2:TGID_Z_EN: 0
; COMPUTE_PGM_RSRC2:TIDIG_COMP_CNT: 0
; COMPUTE_PGM_RSRC3_GFX90A:ACCUM_OFFSET: 4
; COMPUTE_PGM_RSRC3_GFX90A:TG_SPLIT: 0
	.section	.text._ZN9rocsparseL16sddmm_csx_kernelILi512ELi4EL20rocsparse_direction_0EfiiDF16_DF16_fEEv20rocsparse_operation_S2_16rocsparse_order_S3_T4_S4_S4_T3_NS_24const_host_device_scalarIT2_EEPKT5_lPKT6_lS8_PT7_PKS5_PKS4_21rocsparse_index_base_b,"axG",@progbits,_ZN9rocsparseL16sddmm_csx_kernelILi512ELi4EL20rocsparse_direction_0EfiiDF16_DF16_fEEv20rocsparse_operation_S2_16rocsparse_order_S3_T4_S4_S4_T3_NS_24const_host_device_scalarIT2_EEPKT5_lPKT6_lS8_PT7_PKS5_PKS4_21rocsparse_index_base_b,comdat
	.globl	_ZN9rocsparseL16sddmm_csx_kernelILi512ELi4EL20rocsparse_direction_0EfiiDF16_DF16_fEEv20rocsparse_operation_S2_16rocsparse_order_S3_T4_S4_S4_T3_NS_24const_host_device_scalarIT2_EEPKT5_lPKT6_lS8_PT7_PKS5_PKS4_21rocsparse_index_base_b ; -- Begin function _ZN9rocsparseL16sddmm_csx_kernelILi512ELi4EL20rocsparse_direction_0EfiiDF16_DF16_fEEv20rocsparse_operation_S2_16rocsparse_order_S3_T4_S4_S4_T3_NS_24const_host_device_scalarIT2_EEPKT5_lPKT6_lS8_PT7_PKS5_PKS4_21rocsparse_index_base_b
	.p2align	8
	.type	_ZN9rocsparseL16sddmm_csx_kernelILi512ELi4EL20rocsparse_direction_0EfiiDF16_DF16_fEEv20rocsparse_operation_S2_16rocsparse_order_S3_T4_S4_S4_T3_NS_24const_host_device_scalarIT2_EEPKT5_lPKT6_lS8_PT7_PKS5_PKS4_21rocsparse_index_base_b,@function
_ZN9rocsparseL16sddmm_csx_kernelILi512ELi4EL20rocsparse_direction_0EfiiDF16_DF16_fEEv20rocsparse_operation_S2_16rocsparse_order_S3_T4_S4_S4_T3_NS_24const_host_device_scalarIT2_EEPKT5_lPKT6_lS8_PT7_PKS5_PKS4_21rocsparse_index_base_b: ; @_ZN9rocsparseL16sddmm_csx_kernelILi512ELi4EL20rocsparse_direction_0EfiiDF16_DF16_fEEv20rocsparse_operation_S2_16rocsparse_order_S3_T4_S4_S4_T3_NS_24const_host_device_scalarIT2_EEPKT5_lPKT6_lS8_PT7_PKS5_PKS4_21rocsparse_index_base_b
; %bb.0:
	s_load_dwordx2 s[10:11], s[0:1], 0x68
	s_load_dwordx2 s[6:7], s[0:1], 0x20
	s_load_dwordx4 s[12:15], s[0:1], 0x40
	s_waitcnt lgkmcnt(0)
	s_bitcmp1_b32 s11, 0
	s_cselect_b64 s[8:9], -1, 0
	s_xor_b64 s[4:5], s[8:9], -1
	s_and_b64 vcc, exec, s[8:9]
	s_mov_b32 s17, s6
	s_cbranch_vccnz .LBB226_2
; %bb.1:
	s_load_dword s17, s[6:7], 0x0
.LBB226_2:
	s_andn2_b64 vcc, exec, s[4:5]
	s_mov_b32 s16, s14
	s_cbranch_vccnz .LBB226_4
; %bb.3:
	s_load_dword s16, s[14:15], 0x0
.LBB226_4:
	s_waitcnt lgkmcnt(0)
	v_cmp_eq_f32_e64 s[4:5], s17, 0
	v_cmp_eq_f32_e64 s[6:7], s16, 1.0
	s_and_b64 s[4:5], s[4:5], s[6:7]
	s_and_b64 vcc, exec, s[4:5]
	s_cbranch_vccnz .LBB226_34
; %bb.5:
	s_load_dword s3, s[0:1], 0x10
	v_lshrrev_b32_e32 v1, 2, v0
	v_lshl_or_b32 v4, s2, 7, v1
	s_waitcnt lgkmcnt(0)
	v_cmp_gt_i32_e32 vcc, s3, v4
	s_and_saveexec_b64 s[2:3], vcc
	s_cbranch_execz .LBB226_34
; %bb.6:
	s_load_dwordx4 s[4:7], s[0:1], 0x0
	s_load_dwordx2 s[14:15], s[0:1], 0x58
	s_load_dwordx2 s[2:3], s[0:1], 0x30
	v_ashrrev_i32_e32 v5, 31, v4
	s_waitcnt lgkmcnt(0)
	s_cmp_eq_u32 s6, 1
	s_cselect_b64 s[8:9], -1, 0
	s_cmpk_eq_i32 s4, 0x6f
	s_cselect_b64 s[18:19], -1, 0
	s_cmpk_lg_i32 s4, 0x6f
	s_cselect_b64 s[20:21], -1, 0
	s_cmp_lg_u32 s6, 1
	s_cbranch_scc0 .LBB226_10
; %bb.7:
	s_andn2_b64 vcc, exec, s[18:19]
	v_mov_b64_e32 v[2:3], v[4:5]
	s_cbranch_vccnz .LBB226_9
; %bb.8:
	v_mul_lo_u32 v6, s3, v4
	v_mul_lo_u32 v7, s2, v5
	v_mad_u64_u32 v[2:3], s[22:23], s2, v4, 0
	v_add3_u32 v3, v3, v7, v6
.LBB226_9:
	s_cbranch_execz .LBB226_11
	s_branch .LBB226_13
.LBB226_10:
                                        ; implicit-def: $vgpr2_vgpr3
.LBB226_11:
	s_andn2_b64 vcc, exec, s[20:21]
	v_mov_b64_e32 v[2:3], v[4:5]
	s_cbranch_vccnz .LBB226_13
; %bb.12:
	v_mul_lo_u32 v6, s3, v4
	v_mul_lo_u32 v7, s2, v5
	v_mad_u64_u32 v[2:3], s[20:21], s2, v4, 0
	v_add3_u32 v3, v3, v7, v6
.LBB226_13:
	v_lshl_add_u64 v[4:5], v[4:5], 2, s[14:15]
	global_load_dwordx2 v[4:5], v[4:5], off
	s_waitcnt vmcnt(0)
	v_cmp_lt_i32_e32 vcc, v4, v5
	s_and_b64 exec, exec, vcc
	s_cbranch_execz .LBB226_34
; %bb.14:
	s_xor_b64 s[8:9], s[18:19], s[8:9]
	s_and_b64 s[8:9], s[8:9], exec
	s_cselect_b32 s9, 0, s3
	s_cselect_b32 s8, 1, s2
	s_cmp_lg_u32 s7, 1
	s_cselect_b64 s[18:19], -1, 0
	s_cmp_eq_u32 s7, 1
	s_cselect_b64 s[2:3], -1, 0
	s_cmpk_eq_i32 s5, 0x6f
	v_and_b32_e32 v10, 3, v0
	s_cselect_b64 s[6:7], -1, 0
	s_cmpk_lg_i32 s5, 0x6f
	v_subrev_u32_e32 v0, s10, v4
	v_subrev_u32_e32 v13, s10, v5
	v_mad_u64_u32 v[4:5], s[26:27], s8, v10, 0
	s_cselect_b64 s[28:29], -1, 0
	v_cndmask_b32_e64 v8, 0, 1, s[6:7]
	s_xor_b64 s[2:3], s[6:7], s[2:3]
	s_load_dwordx2 s[6:7], s[0:1], 0x38
	s_load_dwordx2 s[20:21], s[0:1], 0x50
	;; [unrolled: 1-line block ×3, first 2 shown]
	s_load_dword s11, s[0:1], 0x18
	v_mov_b32_e32 v6, v5
	v_mad_u64_u32 v[6:7], s[26:27], s9, v10, v[6:7]
	s_and_b64 s[2:3], s[2:3], exec
	v_mov_b32_e32 v5, v6
	v_lshlrev_b64 v[2:3], 1, v[2:3]
	s_cselect_b32 s24, s12, 1
	v_lshl_add_u64 v[2:3], v[4:5], 1, v[2:3]
	s_load_dwordx2 s[14:15], s[0:1], 0x60
	s_cselect_b32 s25, s13, 0
	s_waitcnt lgkmcnt(0)
	v_lshl_add_u64 v[2:3], s[22:23], 0, v[2:3]
	s_lshl_b64 s[22:23], s[8:9], 3
	v_mad_u64_u32 v[4:5], s[8:9], s24, v10, 0
	v_mov_b32_e32 v6, v5
	v_mad_u64_u32 v[6:7], s[8:9], s25, v10, v[6:7]
	v_lshlrev_b32_e32 v11, 4, v1
	v_mov_b32_e32 v5, v6
	v_cndmask_b32_e64 v1, 0, 1, s[28:29]
	v_cmp_gt_i32_e64 s[0:1], s11, v10
	v_lshl_or_b32 v12, v10, 2, v11
	v_cmp_eq_u32_e64 s[2:3], 0, v10
	v_cmp_gt_u32_e64 s[4:5], 2, v10
	v_lshl_add_u64 v[4:5], v[4:5], 1, s[6:7]
	s_lshl_b64 s[24:25], s[24:25], 3
	s_mov_b64 s[26:27], 0
	v_cmp_ne_u32_e64 s[6:7], 1, v1
	v_cmp_ne_u32_e64 s[8:9], 1, v8
	s_branch .LBB226_16
.LBB226_15:                             ;   in Loop: Header=BB226_16 Depth=1
	s_or_b64 exec, exec, s[28:29]
	v_add_u32_e32 v0, 1, v0
	v_cmp_ge_i32_e32 vcc, v0, v13
	s_or_b64 s[26:27], vcc, s[26:27]
	s_andn2_b64 exec, exec, s[26:27]
	s_cbranch_execz .LBB226_34
.LBB226_16:                             ; =>This Loop Header: Depth=1
                                        ;     Child Loop BB226_26 Depth 2
	v_ashrrev_i32_e32 v1, 31, v0
	v_lshl_add_u64 v[6:7], v[0:1], 2, s[14:15]
	global_load_dword v6, v[6:7], off
	s_mov_b64 s[28:29], -1
	s_and_b64 vcc, exec, s[18:19]
                                        ; implicit-def: $vgpr8_vgpr9
	s_waitcnt vmcnt(0)
	v_subrev_u32_e32 v6, s10, v6
	v_ashrrev_i32_e32 v7, 31, v6
	s_cbranch_vccnz .LBB226_19
; %bb.17:                               ;   in Loop: Header=BB226_16 Depth=1
	s_andn2_b64 vcc, exec, s[28:29]
	s_cbranch_vccz .LBB226_22
.LBB226_18:                             ;   in Loop: Header=BB226_16 Depth=1
	v_mov_b32_e32 v14, 0
	s_and_saveexec_b64 s[28:29], s[0:1]
	s_cbranch_execnz .LBB226_25
	s_branch .LBB226_28
.LBB226_19:                             ;   in Loop: Header=BB226_16 Depth=1
	s_and_b64 vcc, exec, s[6:7]
	v_mov_b64_e32 v[8:9], v[6:7]
	s_cbranch_vccnz .LBB226_21
; %bb.20:                               ;   in Loop: Header=BB226_16 Depth=1
	v_mul_lo_u32 v14, s13, v6
	v_mul_lo_u32 v15, s12, v7
	v_mad_u64_u32 v[8:9], s[28:29], s12, v6, 0
	v_add3_u32 v9, v9, v15, v14
.LBB226_21:                             ;   in Loop: Header=BB226_16 Depth=1
	s_cbranch_execnz .LBB226_18
.LBB226_22:                             ;   in Loop: Header=BB226_16 Depth=1
	s_and_b64 vcc, exec, s[8:9]
	s_cbranch_vccnz .LBB226_24
; %bb.23:                               ;   in Loop: Header=BB226_16 Depth=1
	v_mul_lo_u32 v8, s13, v6
	v_mul_lo_u32 v9, s12, v7
	v_mad_u64_u32 v[6:7], s[28:29], s12, v6, 0
	v_add3_u32 v7, v7, v9, v8
.LBB226_24:                             ;   in Loop: Header=BB226_16 Depth=1
	v_mov_b64_e32 v[8:9], v[6:7]
	v_mov_b32_e32 v14, 0
	s_and_saveexec_b64 s[28:29], s[0:1]
	s_cbranch_execz .LBB226_28
.LBB226_25:                             ;   in Loop: Header=BB226_16 Depth=1
	v_lshl_add_u64 v[6:7], v[8:9], 1, v[4:5]
	v_mov_b32_e32 v14, 0
	s_mov_b64 s[30:31], 0
	v_mov_b64_e32 v[8:9], v[2:3]
	v_mov_b32_e32 v15, v10
.LBB226_26:                             ;   Parent Loop BB226_16 Depth=1
                                        ; =>  This Inner Loop Header: Depth=2
	global_load_ushort v16, v[8:9], off
	global_load_ushort v17, v[6:7], off
	v_add_u32_e32 v15, 4, v15
	v_cmp_le_i32_e32 vcc, s11, v15
	v_lshl_add_u64 v[8:9], v[8:9], 0, s[22:23]
	v_lshl_add_u64 v[6:7], v[6:7], 0, s[24:25]
	s_or_b64 s[30:31], vcc, s[30:31]
	s_waitcnt vmcnt(0)
	v_mul_f16_e32 v16, v16, v17
	v_cvt_f32_f16_e32 v16, v16
	v_add_f32_e32 v14, v14, v16
	s_andn2_b64 exec, exec, s[30:31]
	s_cbranch_execnz .LBB226_26
; %bb.27:                               ;   in Loop: Header=BB226_16 Depth=1
	s_or_b64 exec, exec, s[30:31]
.LBB226_28:                             ;   in Loop: Header=BB226_16 Depth=1
	s_or_b64 exec, exec, s[28:29]
	ds_write_b32 v12, v14
	s_waitcnt lgkmcnt(0)
	s_barrier
	s_and_saveexec_b64 s[28:29], s[4:5]
	s_cbranch_execz .LBB226_30
; %bb.29:                               ;   in Loop: Header=BB226_16 Depth=1
	ds_read2_b32 v[6:7], v12 offset1:2
	s_waitcnt lgkmcnt(0)
	v_add_f32_e32 v6, v7, v6
	ds_write_b32 v12, v6
.LBB226_30:                             ;   in Loop: Header=BB226_16 Depth=1
	s_or_b64 exec, exec, s[28:29]
	s_waitcnt lgkmcnt(0)
	s_barrier
	s_and_saveexec_b64 s[28:29], s[2:3]
	s_cbranch_execz .LBB226_32
; %bb.31:                               ;   in Loop: Header=BB226_16 Depth=1
	ds_read2_b32 v[6:7], v12 offset1:1
	s_waitcnt lgkmcnt(0)
	v_add_f32_e32 v6, v7, v6
	ds_write_b32 v12, v6
.LBB226_32:                             ;   in Loop: Header=BB226_16 Depth=1
	s_or_b64 exec, exec, s[28:29]
	s_waitcnt lgkmcnt(0)
	s_barrier
	s_and_saveexec_b64 s[28:29], s[2:3]
	s_cbranch_execz .LBB226_15
; %bb.33:                               ;   in Loop: Header=BB226_16 Depth=1
	v_lshl_add_u64 v[6:7], v[0:1], 2, s[20:21]
	global_load_dword v8, v[6:7], off
	ds_read_b32 v9, v11
	s_waitcnt vmcnt(0) lgkmcnt(0)
	v_pk_mul_f32 v[8:9], s[16:17], v[8:9]
	s_nop 0
	v_add_f32_e32 v1, v8, v9
	global_store_dword v[6:7], v1, off
	s_branch .LBB226_15
.LBB226_34:
	s_endpgm
	.section	.rodata,"a",@progbits
	.p2align	6, 0x0
	.amdhsa_kernel _ZN9rocsparseL16sddmm_csx_kernelILi512ELi4EL20rocsparse_direction_0EfiiDF16_DF16_fEEv20rocsparse_operation_S2_16rocsparse_order_S3_T4_S4_S4_T3_NS_24const_host_device_scalarIT2_EEPKT5_lPKT6_lS8_PT7_PKS5_PKS4_21rocsparse_index_base_b
		.amdhsa_group_segment_fixed_size 2048
		.amdhsa_private_segment_fixed_size 0
		.amdhsa_kernarg_size 112
		.amdhsa_user_sgpr_count 2
		.amdhsa_user_sgpr_dispatch_ptr 0
		.amdhsa_user_sgpr_queue_ptr 0
		.amdhsa_user_sgpr_kernarg_segment_ptr 1
		.amdhsa_user_sgpr_dispatch_id 0
		.amdhsa_user_sgpr_kernarg_preload_length 0
		.amdhsa_user_sgpr_kernarg_preload_offset 0
		.amdhsa_user_sgpr_private_segment_size 0
		.amdhsa_uses_dynamic_stack 0
		.amdhsa_enable_private_segment 0
		.amdhsa_system_sgpr_workgroup_id_x 1
		.amdhsa_system_sgpr_workgroup_id_y 0
		.amdhsa_system_sgpr_workgroup_id_z 0
		.amdhsa_system_sgpr_workgroup_info 0
		.amdhsa_system_vgpr_workitem_id 0
		.amdhsa_next_free_vgpr 18
		.amdhsa_next_free_sgpr 32
		.amdhsa_accum_offset 20
		.amdhsa_reserve_vcc 1
		.amdhsa_float_round_mode_32 0
		.amdhsa_float_round_mode_16_64 0
		.amdhsa_float_denorm_mode_32 3
		.amdhsa_float_denorm_mode_16_64 3
		.amdhsa_dx10_clamp 1
		.amdhsa_ieee_mode 1
		.amdhsa_fp16_overflow 0
		.amdhsa_tg_split 0
		.amdhsa_exception_fp_ieee_invalid_op 0
		.amdhsa_exception_fp_denorm_src 0
		.amdhsa_exception_fp_ieee_div_zero 0
		.amdhsa_exception_fp_ieee_overflow 0
		.amdhsa_exception_fp_ieee_underflow 0
		.amdhsa_exception_fp_ieee_inexact 0
		.amdhsa_exception_int_div_zero 0
	.end_amdhsa_kernel
	.section	.text._ZN9rocsparseL16sddmm_csx_kernelILi512ELi4EL20rocsparse_direction_0EfiiDF16_DF16_fEEv20rocsparse_operation_S2_16rocsparse_order_S3_T4_S4_S4_T3_NS_24const_host_device_scalarIT2_EEPKT5_lPKT6_lS8_PT7_PKS5_PKS4_21rocsparse_index_base_b,"axG",@progbits,_ZN9rocsparseL16sddmm_csx_kernelILi512ELi4EL20rocsparse_direction_0EfiiDF16_DF16_fEEv20rocsparse_operation_S2_16rocsparse_order_S3_T4_S4_S4_T3_NS_24const_host_device_scalarIT2_EEPKT5_lPKT6_lS8_PT7_PKS5_PKS4_21rocsparse_index_base_b,comdat
.Lfunc_end226:
	.size	_ZN9rocsparseL16sddmm_csx_kernelILi512ELi4EL20rocsparse_direction_0EfiiDF16_DF16_fEEv20rocsparse_operation_S2_16rocsparse_order_S3_T4_S4_S4_T3_NS_24const_host_device_scalarIT2_EEPKT5_lPKT6_lS8_PT7_PKS5_PKS4_21rocsparse_index_base_b, .Lfunc_end226-_ZN9rocsparseL16sddmm_csx_kernelILi512ELi4EL20rocsparse_direction_0EfiiDF16_DF16_fEEv20rocsparse_operation_S2_16rocsparse_order_S3_T4_S4_S4_T3_NS_24const_host_device_scalarIT2_EEPKT5_lPKT6_lS8_PT7_PKS5_PKS4_21rocsparse_index_base_b
                                        ; -- End function
	.set _ZN9rocsparseL16sddmm_csx_kernelILi512ELi4EL20rocsparse_direction_0EfiiDF16_DF16_fEEv20rocsparse_operation_S2_16rocsparse_order_S3_T4_S4_S4_T3_NS_24const_host_device_scalarIT2_EEPKT5_lPKT6_lS8_PT7_PKS5_PKS4_21rocsparse_index_base_b.num_vgpr, 18
	.set _ZN9rocsparseL16sddmm_csx_kernelILi512ELi4EL20rocsparse_direction_0EfiiDF16_DF16_fEEv20rocsparse_operation_S2_16rocsparse_order_S3_T4_S4_S4_T3_NS_24const_host_device_scalarIT2_EEPKT5_lPKT6_lS8_PT7_PKS5_PKS4_21rocsparse_index_base_b.num_agpr, 0
	.set _ZN9rocsparseL16sddmm_csx_kernelILi512ELi4EL20rocsparse_direction_0EfiiDF16_DF16_fEEv20rocsparse_operation_S2_16rocsparse_order_S3_T4_S4_S4_T3_NS_24const_host_device_scalarIT2_EEPKT5_lPKT6_lS8_PT7_PKS5_PKS4_21rocsparse_index_base_b.numbered_sgpr, 32
	.set _ZN9rocsparseL16sddmm_csx_kernelILi512ELi4EL20rocsparse_direction_0EfiiDF16_DF16_fEEv20rocsparse_operation_S2_16rocsparse_order_S3_T4_S4_S4_T3_NS_24const_host_device_scalarIT2_EEPKT5_lPKT6_lS8_PT7_PKS5_PKS4_21rocsparse_index_base_b.num_named_barrier, 0
	.set _ZN9rocsparseL16sddmm_csx_kernelILi512ELi4EL20rocsparse_direction_0EfiiDF16_DF16_fEEv20rocsparse_operation_S2_16rocsparse_order_S3_T4_S4_S4_T3_NS_24const_host_device_scalarIT2_EEPKT5_lPKT6_lS8_PT7_PKS5_PKS4_21rocsparse_index_base_b.private_seg_size, 0
	.set _ZN9rocsparseL16sddmm_csx_kernelILi512ELi4EL20rocsparse_direction_0EfiiDF16_DF16_fEEv20rocsparse_operation_S2_16rocsparse_order_S3_T4_S4_S4_T3_NS_24const_host_device_scalarIT2_EEPKT5_lPKT6_lS8_PT7_PKS5_PKS4_21rocsparse_index_base_b.uses_vcc, 1
	.set _ZN9rocsparseL16sddmm_csx_kernelILi512ELi4EL20rocsparse_direction_0EfiiDF16_DF16_fEEv20rocsparse_operation_S2_16rocsparse_order_S3_T4_S4_S4_T3_NS_24const_host_device_scalarIT2_EEPKT5_lPKT6_lS8_PT7_PKS5_PKS4_21rocsparse_index_base_b.uses_flat_scratch, 0
	.set _ZN9rocsparseL16sddmm_csx_kernelILi512ELi4EL20rocsparse_direction_0EfiiDF16_DF16_fEEv20rocsparse_operation_S2_16rocsparse_order_S3_T4_S4_S4_T3_NS_24const_host_device_scalarIT2_EEPKT5_lPKT6_lS8_PT7_PKS5_PKS4_21rocsparse_index_base_b.has_dyn_sized_stack, 0
	.set _ZN9rocsparseL16sddmm_csx_kernelILi512ELi4EL20rocsparse_direction_0EfiiDF16_DF16_fEEv20rocsparse_operation_S2_16rocsparse_order_S3_T4_S4_S4_T3_NS_24const_host_device_scalarIT2_EEPKT5_lPKT6_lS8_PT7_PKS5_PKS4_21rocsparse_index_base_b.has_recursion, 0
	.set _ZN9rocsparseL16sddmm_csx_kernelILi512ELi4EL20rocsparse_direction_0EfiiDF16_DF16_fEEv20rocsparse_operation_S2_16rocsparse_order_S3_T4_S4_S4_T3_NS_24const_host_device_scalarIT2_EEPKT5_lPKT6_lS8_PT7_PKS5_PKS4_21rocsparse_index_base_b.has_indirect_call, 0
	.section	.AMDGPU.csdata,"",@progbits
; Kernel info:
; codeLenInByte = 1092
; TotalNumSgprs: 38
; NumVgprs: 18
; NumAgprs: 0
; TotalNumVgprs: 18
; ScratchSize: 0
; MemoryBound: 0
; FloatMode: 240
; IeeeMode: 1
; LDSByteSize: 2048 bytes/workgroup (compile time only)
; SGPRBlocks: 4
; VGPRBlocks: 2
; NumSGPRsForWavesPerEU: 38
; NumVGPRsForWavesPerEU: 18
; AccumOffset: 20
; Occupancy: 8
; WaveLimiterHint : 0
; COMPUTE_PGM_RSRC2:SCRATCH_EN: 0
; COMPUTE_PGM_RSRC2:USER_SGPR: 2
; COMPUTE_PGM_RSRC2:TRAP_HANDLER: 0
; COMPUTE_PGM_RSRC2:TGID_X_EN: 1
; COMPUTE_PGM_RSRC2:TGID_Y_EN: 0
; COMPUTE_PGM_RSRC2:TGID_Z_EN: 0
; COMPUTE_PGM_RSRC2:TIDIG_COMP_CNT: 0
; COMPUTE_PGM_RSRC3_GFX90A:ACCUM_OFFSET: 4
; COMPUTE_PGM_RSRC3_GFX90A:TG_SPLIT: 0
	.section	.text._ZN9rocsparseL16sddmm_csx_kernelILi512ELi2EL20rocsparse_direction_0EfiiDF16_DF16_fEEv20rocsparse_operation_S2_16rocsparse_order_S3_T4_S4_S4_T3_NS_24const_host_device_scalarIT2_EEPKT5_lPKT6_lS8_PT7_PKS5_PKS4_21rocsparse_index_base_b,"axG",@progbits,_ZN9rocsparseL16sddmm_csx_kernelILi512ELi2EL20rocsparse_direction_0EfiiDF16_DF16_fEEv20rocsparse_operation_S2_16rocsparse_order_S3_T4_S4_S4_T3_NS_24const_host_device_scalarIT2_EEPKT5_lPKT6_lS8_PT7_PKS5_PKS4_21rocsparse_index_base_b,comdat
	.globl	_ZN9rocsparseL16sddmm_csx_kernelILi512ELi2EL20rocsparse_direction_0EfiiDF16_DF16_fEEv20rocsparse_operation_S2_16rocsparse_order_S3_T4_S4_S4_T3_NS_24const_host_device_scalarIT2_EEPKT5_lPKT6_lS8_PT7_PKS5_PKS4_21rocsparse_index_base_b ; -- Begin function _ZN9rocsparseL16sddmm_csx_kernelILi512ELi2EL20rocsparse_direction_0EfiiDF16_DF16_fEEv20rocsparse_operation_S2_16rocsparse_order_S3_T4_S4_S4_T3_NS_24const_host_device_scalarIT2_EEPKT5_lPKT6_lS8_PT7_PKS5_PKS4_21rocsparse_index_base_b
	.p2align	8
	.type	_ZN9rocsparseL16sddmm_csx_kernelILi512ELi2EL20rocsparse_direction_0EfiiDF16_DF16_fEEv20rocsparse_operation_S2_16rocsparse_order_S3_T4_S4_S4_T3_NS_24const_host_device_scalarIT2_EEPKT5_lPKT6_lS8_PT7_PKS5_PKS4_21rocsparse_index_base_b,@function
_ZN9rocsparseL16sddmm_csx_kernelILi512ELi2EL20rocsparse_direction_0EfiiDF16_DF16_fEEv20rocsparse_operation_S2_16rocsparse_order_S3_T4_S4_S4_T3_NS_24const_host_device_scalarIT2_EEPKT5_lPKT6_lS8_PT7_PKS5_PKS4_21rocsparse_index_base_b: ; @_ZN9rocsparseL16sddmm_csx_kernelILi512ELi2EL20rocsparse_direction_0EfiiDF16_DF16_fEEv20rocsparse_operation_S2_16rocsparse_order_S3_T4_S4_S4_T3_NS_24const_host_device_scalarIT2_EEPKT5_lPKT6_lS8_PT7_PKS5_PKS4_21rocsparse_index_base_b
; %bb.0:
	s_load_dwordx2 s[12:13], s[0:1], 0x68
	s_load_dwordx2 s[6:7], s[0:1], 0x20
	s_load_dwordx4 s[8:11], s[0:1], 0x40
	s_waitcnt lgkmcnt(0)
	s_bitcmp1_b32 s13, 0
	s_cselect_b64 s[14:15], -1, 0
	s_xor_b64 s[4:5], s[14:15], -1
	s_and_b64 vcc, exec, s[14:15]
	s_mov_b32 s15, s6
	s_cbranch_vccnz .LBB227_2
; %bb.1:
	s_load_dword s15, s[6:7], 0x0
.LBB227_2:
	s_andn2_b64 vcc, exec, s[4:5]
	s_mov_b32 s14, s10
	s_cbranch_vccnz .LBB227_4
; %bb.3:
	s_load_dword s14, s[10:11], 0x0
.LBB227_4:
	s_waitcnt lgkmcnt(0)
	v_cmp_eq_f32_e64 s[4:5], s15, 0
	v_cmp_eq_f32_e64 s[6:7], s14, 1.0
	s_and_b64 s[4:5], s[4:5], s[6:7]
	s_and_b64 vcc, exec, s[4:5]
	s_cbranch_vccnz .LBB227_32
; %bb.5:
	s_load_dword s3, s[0:1], 0x10
	v_lshrrev_b32_e32 v1, 1, v0
	v_lshl_or_b32 v4, s2, 8, v1
	s_waitcnt lgkmcnt(0)
	v_cmp_gt_i32_e32 vcc, s3, v4
	s_and_saveexec_b64 s[2:3], vcc
	s_cbranch_execz .LBB227_32
; %bb.6:
	s_load_dwordx4 s[4:7], s[0:1], 0x0
	s_load_dwordx2 s[10:11], s[0:1], 0x58
	s_load_dwordx2 s[2:3], s[0:1], 0x30
	v_ashrrev_i32_e32 v5, 31, v4
	s_waitcnt lgkmcnt(0)
	s_cmp_eq_u32 s6, 1
	s_cselect_b64 s[16:17], -1, 0
	s_cmpk_eq_i32 s4, 0x6f
	s_cselect_b64 s[18:19], -1, 0
	s_cmpk_lg_i32 s4, 0x6f
	s_cselect_b64 s[20:21], -1, 0
	s_cmp_lg_u32 s6, 1
	s_cbranch_scc0 .LBB227_10
; %bb.7:
	s_andn2_b64 vcc, exec, s[18:19]
	v_mov_b64_e32 v[2:3], v[4:5]
	s_cbranch_vccnz .LBB227_9
; %bb.8:
	v_mul_lo_u32 v6, s3, v4
	v_mul_lo_u32 v7, s2, v5
	v_mad_u64_u32 v[2:3], s[22:23], s2, v4, 0
	v_add3_u32 v3, v3, v7, v6
.LBB227_9:
	s_cbranch_execz .LBB227_11
	s_branch .LBB227_13
.LBB227_10:
                                        ; implicit-def: $vgpr2_vgpr3
.LBB227_11:
	s_andn2_b64 vcc, exec, s[20:21]
	v_mov_b64_e32 v[2:3], v[4:5]
	s_cbranch_vccnz .LBB227_13
; %bb.12:
	v_mul_lo_u32 v6, s3, v4
	v_mul_lo_u32 v7, s2, v5
	v_mad_u64_u32 v[2:3], s[20:21], s2, v4, 0
	v_add3_u32 v3, v3, v7, v6
.LBB227_13:
	v_lshl_add_u64 v[4:5], v[4:5], 2, s[10:11]
	global_load_dwordx2 v[4:5], v[4:5], off
	s_waitcnt vmcnt(0)
	v_cmp_lt_i32_e32 vcc, v4, v5
	s_and_b64 exec, exec, vcc
	s_cbranch_execz .LBB227_32
; %bb.14:
	s_xor_b64 s[16:17], s[18:19], s[16:17]
	s_and_b64 s[16:17], s[16:17], exec
	s_cselect_b32 s21, 0, s3
	s_cselect_b32 s20, 1, s2
	s_cmp_lg_u32 s7, 1
	s_cselect_b64 s[16:17], -1, 0
	s_cmp_eq_u32 s7, 1
	s_cselect_b64 s[2:3], -1, 0
	s_cmpk_eq_i32 s5, 0x6f
	s_cselect_b64 s[6:7], -1, 0
	s_cmpk_lg_i32 s5, 0x6f
	s_cselect_b64 s[4:5], -1, 0
	v_cndmask_b32_e64 v6, 0, 1, s[6:7]
	s_xor_b64 s[2:3], s[6:7], s[2:3]
	s_load_dwordx2 s[6:7], s[0:1], 0x38
	s_load_dwordx2 s[18:19], s[0:1], 0x50
	;; [unrolled: 1-line block ×3, first 2 shown]
	s_load_dword s13, s[0:1], 0x18
	s_load_dwordx2 s[10:11], s[0:1], 0x60
	s_and_b64 s[2:3], s[2:3], exec
	v_and_b32_e32 v10, 1, v0
	s_cselect_b32 s25, s9, 0
	s_cselect_b32 s24, s8, 1
	v_subrev_u32_e32 v0, s12, v4
	v_subrev_u32_e32 v13, s12, v5
	v_mul_lo_u32 v5, s21, v10
	v_mul_lo_u32 v4, s20, v10
	v_lshlrev_b64 v[2:3], 1, v[2:3]
	v_lshlrev_b32_e32 v11, 3, v1
	v_lshl_add_u64 v[2:3], v[4:5], 1, v[2:3]
	v_mul_lo_u32 v5, s25, v10
	v_mul_lo_u32 v4, s24, v10
	v_cndmask_b32_e64 v1, 0, 1, s[4:5]
	s_waitcnt lgkmcnt(0)
	v_cmp_gt_i32_e64 s[0:1], s13, v10
	v_lshl_or_b32 v12, v10, 2, v11
	v_cmp_eq_u32_e64 s[2:3], 0, v10
	v_lshl_add_u64 v[2:3], s[22:23], 0, v[2:3]
	s_lshl_b64 s[20:21], s[20:21], 2
	v_lshl_add_u64 v[4:5], v[4:5], 1, s[6:7]
	s_lshl_b64 s[22:23], s[24:25], 2
	s_mov_b64 s[24:25], 0
	v_cmp_ne_u32_e64 s[4:5], 1, v1
	v_cmp_ne_u32_e64 s[6:7], 1, v6
	s_branch .LBB227_16
.LBB227_15:                             ;   in Loop: Header=BB227_16 Depth=1
	s_or_b64 exec, exec, s[26:27]
	v_add_u32_e32 v0, 1, v0
	v_cmp_ge_i32_e32 vcc, v0, v13
	s_or_b64 s[24:25], vcc, s[24:25]
	s_andn2_b64 exec, exec, s[24:25]
	s_cbranch_execz .LBB227_32
.LBB227_16:                             ; =>This Loop Header: Depth=1
                                        ;     Child Loop BB227_26 Depth 2
	v_ashrrev_i32_e32 v1, 31, v0
	v_lshl_add_u64 v[6:7], v[0:1], 2, s[10:11]
	global_load_dword v6, v[6:7], off
	s_mov_b64 s[26:27], -1
	s_and_b64 vcc, exec, s[16:17]
                                        ; implicit-def: $vgpr8_vgpr9
	s_waitcnt vmcnt(0)
	v_subrev_u32_e32 v6, s12, v6
	v_ashrrev_i32_e32 v7, 31, v6
	s_cbranch_vccnz .LBB227_19
; %bb.17:                               ;   in Loop: Header=BB227_16 Depth=1
	s_andn2_b64 vcc, exec, s[26:27]
	s_cbranch_vccz .LBB227_22
.LBB227_18:                             ;   in Loop: Header=BB227_16 Depth=1
	v_mov_b32_e32 v14, 0
	s_and_saveexec_b64 s[26:27], s[0:1]
	s_cbranch_execnz .LBB227_25
	s_branch .LBB227_28
.LBB227_19:                             ;   in Loop: Header=BB227_16 Depth=1
	s_and_b64 vcc, exec, s[4:5]
	v_mov_b64_e32 v[8:9], v[6:7]
	s_cbranch_vccnz .LBB227_21
; %bb.20:                               ;   in Loop: Header=BB227_16 Depth=1
	v_mul_lo_u32 v14, s9, v6
	v_mul_lo_u32 v15, s8, v7
	v_mad_u64_u32 v[8:9], s[26:27], s8, v6, 0
	v_add3_u32 v9, v9, v15, v14
.LBB227_21:                             ;   in Loop: Header=BB227_16 Depth=1
	s_cbranch_execnz .LBB227_18
.LBB227_22:                             ;   in Loop: Header=BB227_16 Depth=1
	s_and_b64 vcc, exec, s[6:7]
	s_cbranch_vccnz .LBB227_24
; %bb.23:                               ;   in Loop: Header=BB227_16 Depth=1
	v_mul_lo_u32 v8, s9, v6
	v_mul_lo_u32 v9, s8, v7
	v_mad_u64_u32 v[6:7], s[26:27], s8, v6, 0
	v_add3_u32 v7, v7, v9, v8
.LBB227_24:                             ;   in Loop: Header=BB227_16 Depth=1
	v_mov_b64_e32 v[8:9], v[6:7]
	v_mov_b32_e32 v14, 0
	s_and_saveexec_b64 s[26:27], s[0:1]
	s_cbranch_execz .LBB227_28
.LBB227_25:                             ;   in Loop: Header=BB227_16 Depth=1
	v_lshl_add_u64 v[6:7], v[8:9], 1, v[4:5]
	v_mov_b32_e32 v14, 0
	s_mov_b64 s[28:29], 0
	v_mov_b64_e32 v[8:9], v[2:3]
	v_mov_b32_e32 v15, v10
.LBB227_26:                             ;   Parent Loop BB227_16 Depth=1
                                        ; =>  This Inner Loop Header: Depth=2
	global_load_ushort v16, v[8:9], off
	global_load_ushort v17, v[6:7], off
	v_add_u32_e32 v15, 2, v15
	v_cmp_le_i32_e32 vcc, s13, v15
	v_lshl_add_u64 v[8:9], v[8:9], 0, s[20:21]
	v_lshl_add_u64 v[6:7], v[6:7], 0, s[22:23]
	s_or_b64 s[28:29], vcc, s[28:29]
	s_waitcnt vmcnt(0)
	v_mul_f16_e32 v16, v16, v17
	v_cvt_f32_f16_e32 v16, v16
	v_add_f32_e32 v14, v14, v16
	s_andn2_b64 exec, exec, s[28:29]
	s_cbranch_execnz .LBB227_26
; %bb.27:                               ;   in Loop: Header=BB227_16 Depth=1
	s_or_b64 exec, exec, s[28:29]
.LBB227_28:                             ;   in Loop: Header=BB227_16 Depth=1
	s_or_b64 exec, exec, s[26:27]
	ds_write_b32 v12, v14
	s_waitcnt lgkmcnt(0)
	s_barrier
	s_and_saveexec_b64 s[26:27], s[2:3]
	s_cbranch_execz .LBB227_30
; %bb.29:                               ;   in Loop: Header=BB227_16 Depth=1
	ds_read_b32 v6, v11 offset:4
	ds_read_b32 v7, v12
	s_waitcnt lgkmcnt(0)
	v_add_f32_e32 v6, v6, v7
	ds_write_b32 v12, v6
.LBB227_30:                             ;   in Loop: Header=BB227_16 Depth=1
	s_or_b64 exec, exec, s[26:27]
	s_waitcnt lgkmcnt(0)
	s_barrier
	s_and_saveexec_b64 s[26:27], s[2:3]
	s_cbranch_execz .LBB227_15
; %bb.31:                               ;   in Loop: Header=BB227_16 Depth=1
	v_lshl_add_u64 v[6:7], v[0:1], 2, s[18:19]
	global_load_dword v8, v[6:7], off
	ds_read_b32 v9, v11
	s_waitcnt vmcnt(0) lgkmcnt(0)
	v_pk_mul_f32 v[8:9], s[14:15], v[8:9]
	s_nop 0
	v_add_f32_e32 v1, v8, v9
	global_store_dword v[6:7], v1, off
	s_branch .LBB227_15
.LBB227_32:
	s_endpgm
	.section	.rodata,"a",@progbits
	.p2align	6, 0x0
	.amdhsa_kernel _ZN9rocsparseL16sddmm_csx_kernelILi512ELi2EL20rocsparse_direction_0EfiiDF16_DF16_fEEv20rocsparse_operation_S2_16rocsparse_order_S3_T4_S4_S4_T3_NS_24const_host_device_scalarIT2_EEPKT5_lPKT6_lS8_PT7_PKS5_PKS4_21rocsparse_index_base_b
		.amdhsa_group_segment_fixed_size 2048
		.amdhsa_private_segment_fixed_size 0
		.amdhsa_kernarg_size 112
		.amdhsa_user_sgpr_count 2
		.amdhsa_user_sgpr_dispatch_ptr 0
		.amdhsa_user_sgpr_queue_ptr 0
		.amdhsa_user_sgpr_kernarg_segment_ptr 1
		.amdhsa_user_sgpr_dispatch_id 0
		.amdhsa_user_sgpr_kernarg_preload_length 0
		.amdhsa_user_sgpr_kernarg_preload_offset 0
		.amdhsa_user_sgpr_private_segment_size 0
		.amdhsa_uses_dynamic_stack 0
		.amdhsa_enable_private_segment 0
		.amdhsa_system_sgpr_workgroup_id_x 1
		.amdhsa_system_sgpr_workgroup_id_y 0
		.amdhsa_system_sgpr_workgroup_id_z 0
		.amdhsa_system_sgpr_workgroup_info 0
		.amdhsa_system_vgpr_workitem_id 0
		.amdhsa_next_free_vgpr 18
		.amdhsa_next_free_sgpr 30
		.amdhsa_accum_offset 20
		.amdhsa_reserve_vcc 1
		.amdhsa_float_round_mode_32 0
		.amdhsa_float_round_mode_16_64 0
		.amdhsa_float_denorm_mode_32 3
		.amdhsa_float_denorm_mode_16_64 3
		.amdhsa_dx10_clamp 1
		.amdhsa_ieee_mode 1
		.amdhsa_fp16_overflow 0
		.amdhsa_tg_split 0
		.amdhsa_exception_fp_ieee_invalid_op 0
		.amdhsa_exception_fp_denorm_src 0
		.amdhsa_exception_fp_ieee_div_zero 0
		.amdhsa_exception_fp_ieee_overflow 0
		.amdhsa_exception_fp_ieee_underflow 0
		.amdhsa_exception_fp_ieee_inexact 0
		.amdhsa_exception_int_div_zero 0
	.end_amdhsa_kernel
	.section	.text._ZN9rocsparseL16sddmm_csx_kernelILi512ELi2EL20rocsparse_direction_0EfiiDF16_DF16_fEEv20rocsparse_operation_S2_16rocsparse_order_S3_T4_S4_S4_T3_NS_24const_host_device_scalarIT2_EEPKT5_lPKT6_lS8_PT7_PKS5_PKS4_21rocsparse_index_base_b,"axG",@progbits,_ZN9rocsparseL16sddmm_csx_kernelILi512ELi2EL20rocsparse_direction_0EfiiDF16_DF16_fEEv20rocsparse_operation_S2_16rocsparse_order_S3_T4_S4_S4_T3_NS_24const_host_device_scalarIT2_EEPKT5_lPKT6_lS8_PT7_PKS5_PKS4_21rocsparse_index_base_b,comdat
.Lfunc_end227:
	.size	_ZN9rocsparseL16sddmm_csx_kernelILi512ELi2EL20rocsparse_direction_0EfiiDF16_DF16_fEEv20rocsparse_operation_S2_16rocsparse_order_S3_T4_S4_S4_T3_NS_24const_host_device_scalarIT2_EEPKT5_lPKT6_lS8_PT7_PKS5_PKS4_21rocsparse_index_base_b, .Lfunc_end227-_ZN9rocsparseL16sddmm_csx_kernelILi512ELi2EL20rocsparse_direction_0EfiiDF16_DF16_fEEv20rocsparse_operation_S2_16rocsparse_order_S3_T4_S4_S4_T3_NS_24const_host_device_scalarIT2_EEPKT5_lPKT6_lS8_PT7_PKS5_PKS4_21rocsparse_index_base_b
                                        ; -- End function
	.set _ZN9rocsparseL16sddmm_csx_kernelILi512ELi2EL20rocsparse_direction_0EfiiDF16_DF16_fEEv20rocsparse_operation_S2_16rocsparse_order_S3_T4_S4_S4_T3_NS_24const_host_device_scalarIT2_EEPKT5_lPKT6_lS8_PT7_PKS5_PKS4_21rocsparse_index_base_b.num_vgpr, 18
	.set _ZN9rocsparseL16sddmm_csx_kernelILi512ELi2EL20rocsparse_direction_0EfiiDF16_DF16_fEEv20rocsparse_operation_S2_16rocsparse_order_S3_T4_S4_S4_T3_NS_24const_host_device_scalarIT2_EEPKT5_lPKT6_lS8_PT7_PKS5_PKS4_21rocsparse_index_base_b.num_agpr, 0
	.set _ZN9rocsparseL16sddmm_csx_kernelILi512ELi2EL20rocsparse_direction_0EfiiDF16_DF16_fEEv20rocsparse_operation_S2_16rocsparse_order_S3_T4_S4_S4_T3_NS_24const_host_device_scalarIT2_EEPKT5_lPKT6_lS8_PT7_PKS5_PKS4_21rocsparse_index_base_b.numbered_sgpr, 30
	.set _ZN9rocsparseL16sddmm_csx_kernelILi512ELi2EL20rocsparse_direction_0EfiiDF16_DF16_fEEv20rocsparse_operation_S2_16rocsparse_order_S3_T4_S4_S4_T3_NS_24const_host_device_scalarIT2_EEPKT5_lPKT6_lS8_PT7_PKS5_PKS4_21rocsparse_index_base_b.num_named_barrier, 0
	.set _ZN9rocsparseL16sddmm_csx_kernelILi512ELi2EL20rocsparse_direction_0EfiiDF16_DF16_fEEv20rocsparse_operation_S2_16rocsparse_order_S3_T4_S4_S4_T3_NS_24const_host_device_scalarIT2_EEPKT5_lPKT6_lS8_PT7_PKS5_PKS4_21rocsparse_index_base_b.private_seg_size, 0
	.set _ZN9rocsparseL16sddmm_csx_kernelILi512ELi2EL20rocsparse_direction_0EfiiDF16_DF16_fEEv20rocsparse_operation_S2_16rocsparse_order_S3_T4_S4_S4_T3_NS_24const_host_device_scalarIT2_EEPKT5_lPKT6_lS8_PT7_PKS5_PKS4_21rocsparse_index_base_b.uses_vcc, 1
	.set _ZN9rocsparseL16sddmm_csx_kernelILi512ELi2EL20rocsparse_direction_0EfiiDF16_DF16_fEEv20rocsparse_operation_S2_16rocsparse_order_S3_T4_S4_S4_T3_NS_24const_host_device_scalarIT2_EEPKT5_lPKT6_lS8_PT7_PKS5_PKS4_21rocsparse_index_base_b.uses_flat_scratch, 0
	.set _ZN9rocsparseL16sddmm_csx_kernelILi512ELi2EL20rocsparse_direction_0EfiiDF16_DF16_fEEv20rocsparse_operation_S2_16rocsparse_order_S3_T4_S4_S4_T3_NS_24const_host_device_scalarIT2_EEPKT5_lPKT6_lS8_PT7_PKS5_PKS4_21rocsparse_index_base_b.has_dyn_sized_stack, 0
	.set _ZN9rocsparseL16sddmm_csx_kernelILi512ELi2EL20rocsparse_direction_0EfiiDF16_DF16_fEEv20rocsparse_operation_S2_16rocsparse_order_S3_T4_S4_S4_T3_NS_24const_host_device_scalarIT2_EEPKT5_lPKT6_lS8_PT7_PKS5_PKS4_21rocsparse_index_base_b.has_recursion, 0
	.set _ZN9rocsparseL16sddmm_csx_kernelILi512ELi2EL20rocsparse_direction_0EfiiDF16_DF16_fEEv20rocsparse_operation_S2_16rocsparse_order_S3_T4_S4_S4_T3_NS_24const_host_device_scalarIT2_EEPKT5_lPKT6_lS8_PT7_PKS5_PKS4_21rocsparse_index_base_b.has_indirect_call, 0
	.section	.AMDGPU.csdata,"",@progbits
; Kernel info:
; codeLenInByte = 1032
; TotalNumSgprs: 36
; NumVgprs: 18
; NumAgprs: 0
; TotalNumVgprs: 18
; ScratchSize: 0
; MemoryBound: 0
; FloatMode: 240
; IeeeMode: 1
; LDSByteSize: 2048 bytes/workgroup (compile time only)
; SGPRBlocks: 4
; VGPRBlocks: 2
; NumSGPRsForWavesPerEU: 36
; NumVGPRsForWavesPerEU: 18
; AccumOffset: 20
; Occupancy: 8
; WaveLimiterHint : 0
; COMPUTE_PGM_RSRC2:SCRATCH_EN: 0
; COMPUTE_PGM_RSRC2:USER_SGPR: 2
; COMPUTE_PGM_RSRC2:TRAP_HANDLER: 0
; COMPUTE_PGM_RSRC2:TGID_X_EN: 1
; COMPUTE_PGM_RSRC2:TGID_Y_EN: 0
; COMPUTE_PGM_RSRC2:TGID_Z_EN: 0
; COMPUTE_PGM_RSRC2:TIDIG_COMP_CNT: 0
; COMPUTE_PGM_RSRC3_GFX90A:ACCUM_OFFSET: 4
; COMPUTE_PGM_RSRC3_GFX90A:TG_SPLIT: 0
	.section	.text._ZN9rocsparseL16sddmm_csx_kernelILi512ELi1EL20rocsparse_direction_0EfiiDF16_DF16_fEEv20rocsparse_operation_S2_16rocsparse_order_S3_T4_S4_S4_T3_NS_24const_host_device_scalarIT2_EEPKT5_lPKT6_lS8_PT7_PKS5_PKS4_21rocsparse_index_base_b,"axG",@progbits,_ZN9rocsparseL16sddmm_csx_kernelILi512ELi1EL20rocsparse_direction_0EfiiDF16_DF16_fEEv20rocsparse_operation_S2_16rocsparse_order_S3_T4_S4_S4_T3_NS_24const_host_device_scalarIT2_EEPKT5_lPKT6_lS8_PT7_PKS5_PKS4_21rocsparse_index_base_b,comdat
	.globl	_ZN9rocsparseL16sddmm_csx_kernelILi512ELi1EL20rocsparse_direction_0EfiiDF16_DF16_fEEv20rocsparse_operation_S2_16rocsparse_order_S3_T4_S4_S4_T3_NS_24const_host_device_scalarIT2_EEPKT5_lPKT6_lS8_PT7_PKS5_PKS4_21rocsparse_index_base_b ; -- Begin function _ZN9rocsparseL16sddmm_csx_kernelILi512ELi1EL20rocsparse_direction_0EfiiDF16_DF16_fEEv20rocsparse_operation_S2_16rocsparse_order_S3_T4_S4_S4_T3_NS_24const_host_device_scalarIT2_EEPKT5_lPKT6_lS8_PT7_PKS5_PKS4_21rocsparse_index_base_b
	.p2align	8
	.type	_ZN9rocsparseL16sddmm_csx_kernelILi512ELi1EL20rocsparse_direction_0EfiiDF16_DF16_fEEv20rocsparse_operation_S2_16rocsparse_order_S3_T4_S4_S4_T3_NS_24const_host_device_scalarIT2_EEPKT5_lPKT6_lS8_PT7_PKS5_PKS4_21rocsparse_index_base_b,@function
_ZN9rocsparseL16sddmm_csx_kernelILi512ELi1EL20rocsparse_direction_0EfiiDF16_DF16_fEEv20rocsparse_operation_S2_16rocsparse_order_S3_T4_S4_S4_T3_NS_24const_host_device_scalarIT2_EEPKT5_lPKT6_lS8_PT7_PKS5_PKS4_21rocsparse_index_base_b: ; @_ZN9rocsparseL16sddmm_csx_kernelILi512ELi1EL20rocsparse_direction_0EfiiDF16_DF16_fEEv20rocsparse_operation_S2_16rocsparse_order_S3_T4_S4_S4_T3_NS_24const_host_device_scalarIT2_EEPKT5_lPKT6_lS8_PT7_PKS5_PKS4_21rocsparse_index_base_b
; %bb.0:
	s_load_dwordx2 s[12:13], s[0:1], 0x68
	s_load_dwordx2 s[6:7], s[0:1], 0x20
	s_load_dwordx4 s[8:11], s[0:1], 0x40
	s_waitcnt lgkmcnt(0)
	s_bitcmp1_b32 s13, 0
	s_cselect_b64 s[14:15], -1, 0
	s_xor_b64 s[4:5], s[14:15], -1
	s_and_b64 vcc, exec, s[14:15]
	s_mov_b32 s15, s6
	s_cbranch_vccnz .LBB228_2
; %bb.1:
	s_load_dword s15, s[6:7], 0x0
.LBB228_2:
	s_andn2_b64 vcc, exec, s[4:5]
	s_mov_b32 s14, s10
	s_cbranch_vccnz .LBB228_4
; %bb.3:
	s_load_dword s14, s[10:11], 0x0
.LBB228_4:
	s_waitcnt lgkmcnt(0)
	v_cmp_eq_f32_e64 s[4:5], s15, 0
	v_cmp_eq_f32_e64 s[6:7], s14, 1.0
	s_and_b64 s[4:5], s[4:5], s[6:7]
	s_and_b64 vcc, exec, s[4:5]
	s_cbranch_vccnz .LBB228_28
; %bb.5:
	s_load_dword s3, s[0:1], 0x10
	v_lshl_or_b32 v2, s2, 9, v0
	s_waitcnt lgkmcnt(0)
	v_cmp_gt_i32_e32 vcc, s3, v2
	s_and_saveexec_b64 s[2:3], vcc
	s_cbranch_execz .LBB228_28
; %bb.6:
	s_load_dwordx4 s[4:7], s[0:1], 0x0
	s_load_dwordx2 s[10:11], s[0:1], 0x58
	s_load_dwordx2 s[2:3], s[0:1], 0x30
	v_ashrrev_i32_e32 v3, 31, v2
	s_waitcnt lgkmcnt(0)
	s_cmp_eq_u32 s6, 1
	s_cselect_b64 s[20:21], -1, 0
	s_cmpk_eq_i32 s4, 0x6f
	s_cselect_b64 s[22:23], -1, 0
	s_cmpk_lg_i32 s4, 0x6f
	s_cselect_b64 s[16:17], -1, 0
	s_cmp_lg_u32 s6, 1
	s_cbranch_scc0 .LBB228_10
; %bb.7:
	s_andn2_b64 vcc, exec, s[22:23]
	v_mov_b64_e32 v[4:5], v[2:3]
	s_cbranch_vccnz .LBB228_9
; %bb.8:
	v_mul_lo_u32 v1, s3, v2
	v_mul_lo_u32 v6, s2, v3
	v_mad_u64_u32 v[4:5], s[18:19], s2, v2, 0
	v_add3_u32 v5, v5, v6, v1
.LBB228_9:
	s_cbranch_execz .LBB228_11
	s_branch .LBB228_13
.LBB228_10:
                                        ; implicit-def: $vgpr4_vgpr5
.LBB228_11:
	s_andn2_b64 vcc, exec, s[16:17]
	v_mov_b64_e32 v[4:5], v[2:3]
	s_cbranch_vccnz .LBB228_13
; %bb.12:
	v_mul_lo_u32 v1, s3, v2
	v_mul_lo_u32 v6, s2, v3
	v_mad_u64_u32 v[4:5], s[16:17], s2, v2, 0
	v_add3_u32 v5, v5, v6, v1
.LBB228_13:
	v_lshl_add_u64 v[2:3], v[2:3], 2, s[10:11]
	global_load_dwordx2 v[6:7], v[2:3], off
	s_waitcnt vmcnt(0)
	v_cmp_lt_i32_e32 vcc, v6, v7
	s_and_b64 exec, exec, vcc
	s_cbranch_execz .LBB228_28
; %bb.14:
	s_load_dwordx2 s[24:25], s[0:1], 0x28
	s_load_dwordx2 s[10:11], s[0:1], 0x60
	;; [unrolled: 1-line block ×4, first 2 shown]
	s_load_dword s13, s[0:1], 0x18
	s_xor_b64 s[0:1], s[22:23], s[20:21]
	s_and_b64 s[0:1], s[0:1], exec
	s_cselect_b32 s1, 0, s3
	s_cselect_b32 s0, 1, s2
	s_cmp_lg_u32 s7, 1
	s_cselect_b64 s[20:21], -1, 0
	s_cmp_eq_u32 s7, 1
	s_cselect_b64 s[2:3], -1, 0
	s_cmpk_eq_i32 s5, 0x6f
	s_cselect_b64 s[6:7], -1, 0
	s_cmpk_lg_i32 s5, 0x6f
	s_cselect_b64 s[4:5], -1, 0
	s_xor_b64 s[2:3], s[6:7], s[2:3]
	s_and_b64 s[2:3], s[2:3], exec
	s_cselect_b32 s3, s9, 0
	s_cselect_b32 s2, s8, 1
	s_waitcnt lgkmcnt(0)
	s_cmp_gt_i32 s13, 0
	s_cselect_b64 s[26:27], -1, 0
	v_lshlrev_b32_e32 v8, 2, v0
	v_cndmask_b32_e64 v0, 0, 1, s[4:5]
	v_cndmask_b32_e64 v1, 0, 1, s[6:7]
	s_lshl_b64 s[6:7], s[0:1], 1
	v_cmp_ne_u32_e64 s[0:1], 1, v0
	v_cndmask_b32_e64 v0, 0, 1, s[26:27]
	v_lshl_add_u64 v[2:3], v[4:5], 1, s[24:25]
	v_subrev_u32_e32 v4, s12, v6
	v_subrev_u32_e32 v9, s12, v7
	s_lshl_b64 s[22:23], s[2:3], 1
	s_mov_b64 s[24:25], 0
	v_cmp_ne_u32_e64 s[2:3], 1, v1
	v_cmp_ne_u32_e64 s[4:5], 1, v0
	s_branch .LBB228_17
.LBB228_15:                             ;   in Loop: Header=BB228_17 Depth=1
	v_mov_b32_e32 v10, 0
.LBB228_16:                             ;   in Loop: Header=BB228_17 Depth=1
	v_lshl_add_u64 v[0:1], v[4:5], 2, s[18:19]
	ds_write_b32 v8, v10
	s_waitcnt lgkmcnt(0)
	s_barrier
	global_load_dword v6, v[0:1], off
	ds_read_b32 v7, v8
	v_add_u32_e32 v4, 1, v4
	v_cmp_ge_i32_e32 vcc, v4, v9
	s_or_b64 s[24:25], vcc, s[24:25]
	s_waitcnt vmcnt(0) lgkmcnt(0)
	v_pk_mul_f32 v[6:7], s[14:15], v[6:7]
	s_nop 0
	v_add_f32_e32 v5, v6, v7
	global_store_dword v[0:1], v5, off
	s_andn2_b64 exec, exec, s[24:25]
	s_cbranch_execz .LBB228_28
.LBB228_17:                             ; =>This Loop Header: Depth=1
                                        ;     Child Loop BB228_27 Depth 2
	v_ashrrev_i32_e32 v5, 31, v4
	v_lshl_add_u64 v[0:1], v[4:5], 2, s[10:11]
	global_load_dword v0, v[0:1], off
	s_mov_b64 s[26:27], -1
	s_and_b64 vcc, exec, s[20:21]
                                        ; implicit-def: $vgpr6_vgpr7
	s_waitcnt vmcnt(0)
	v_subrev_u32_e32 v0, s12, v0
	v_ashrrev_i32_e32 v1, 31, v0
	s_cbranch_vccnz .LBB228_20
; %bb.18:                               ;   in Loop: Header=BB228_17 Depth=1
	s_andn2_b64 vcc, exec, s[26:27]
	s_cbranch_vccz .LBB228_23
.LBB228_19:                             ;   in Loop: Header=BB228_17 Depth=1
	s_and_b64 vcc, exec, s[4:5]
	s_cbranch_vccz .LBB228_26
	s_branch .LBB228_15
.LBB228_20:                             ;   in Loop: Header=BB228_17 Depth=1
	s_and_b64 vcc, exec, s[0:1]
	v_mov_b64_e32 v[6:7], v[0:1]
	s_cbranch_vccnz .LBB228_22
; %bb.21:                               ;   in Loop: Header=BB228_17 Depth=1
	v_mul_lo_u32 v10, s9, v0
	v_mul_lo_u32 v11, s8, v1
	v_mad_u64_u32 v[6:7], s[26:27], s8, v0, 0
	v_add3_u32 v7, v7, v11, v10
.LBB228_22:                             ;   in Loop: Header=BB228_17 Depth=1
	s_cbranch_execnz .LBB228_19
.LBB228_23:                             ;   in Loop: Header=BB228_17 Depth=1
	s_and_b64 vcc, exec, s[2:3]
	s_cbranch_vccnz .LBB228_25
; %bb.24:                               ;   in Loop: Header=BB228_17 Depth=1
	v_mul_lo_u32 v6, s9, v0
	v_mul_lo_u32 v7, s8, v1
	v_mad_u64_u32 v[0:1], s[26:27], s8, v0, 0
	v_add3_u32 v1, v1, v7, v6
.LBB228_25:                             ;   in Loop: Header=BB228_17 Depth=1
	v_mov_b64_e32 v[6:7], v[0:1]
	s_and_b64 vcc, exec, s[4:5]
	s_cbranch_vccnz .LBB228_15
.LBB228_26:                             ;   in Loop: Header=BB228_17 Depth=1
	v_lshl_add_u64 v[0:1], v[6:7], 1, s[16:17]
	v_mov_b32_e32 v10, 0
	v_mov_b64_e32 v[6:7], v[2:3]
	s_mov_b32 s26, s13
.LBB228_27:                             ;   Parent Loop BB228_17 Depth=1
                                        ; =>  This Inner Loop Header: Depth=2
	global_load_ushort v11, v[6:7], off
	global_load_ushort v12, v[0:1], off
	s_add_i32 s26, s26, -1
	v_lshl_add_u64 v[6:7], v[6:7], 0, s[6:7]
	v_lshl_add_u64 v[0:1], v[0:1], 0, s[22:23]
	s_cmp_eq_u32 s26, 0
	s_waitcnt vmcnt(0)
	v_mul_f16_e32 v11, v11, v12
	v_cvt_f32_f16_e32 v11, v11
	v_add_f32_e32 v10, v10, v11
	s_cbranch_scc0 .LBB228_27
	s_branch .LBB228_16
.LBB228_28:
	s_endpgm
	.section	.rodata,"a",@progbits
	.p2align	6, 0x0
	.amdhsa_kernel _ZN9rocsparseL16sddmm_csx_kernelILi512ELi1EL20rocsparse_direction_0EfiiDF16_DF16_fEEv20rocsparse_operation_S2_16rocsparse_order_S3_T4_S4_S4_T3_NS_24const_host_device_scalarIT2_EEPKT5_lPKT6_lS8_PT7_PKS5_PKS4_21rocsparse_index_base_b
		.amdhsa_group_segment_fixed_size 2048
		.amdhsa_private_segment_fixed_size 0
		.amdhsa_kernarg_size 112
		.amdhsa_user_sgpr_count 2
		.amdhsa_user_sgpr_dispatch_ptr 0
		.amdhsa_user_sgpr_queue_ptr 0
		.amdhsa_user_sgpr_kernarg_segment_ptr 1
		.amdhsa_user_sgpr_dispatch_id 0
		.amdhsa_user_sgpr_kernarg_preload_length 0
		.amdhsa_user_sgpr_kernarg_preload_offset 0
		.amdhsa_user_sgpr_private_segment_size 0
		.amdhsa_uses_dynamic_stack 0
		.amdhsa_enable_private_segment 0
		.amdhsa_system_sgpr_workgroup_id_x 1
		.amdhsa_system_sgpr_workgroup_id_y 0
		.amdhsa_system_sgpr_workgroup_id_z 0
		.amdhsa_system_sgpr_workgroup_info 0
		.amdhsa_system_vgpr_workitem_id 0
		.amdhsa_next_free_vgpr 13
		.amdhsa_next_free_sgpr 28
		.amdhsa_accum_offset 16
		.amdhsa_reserve_vcc 1
		.amdhsa_float_round_mode_32 0
		.amdhsa_float_round_mode_16_64 0
		.amdhsa_float_denorm_mode_32 3
		.amdhsa_float_denorm_mode_16_64 3
		.amdhsa_dx10_clamp 1
		.amdhsa_ieee_mode 1
		.amdhsa_fp16_overflow 0
		.amdhsa_tg_split 0
		.amdhsa_exception_fp_ieee_invalid_op 0
		.amdhsa_exception_fp_denorm_src 0
		.amdhsa_exception_fp_ieee_div_zero 0
		.amdhsa_exception_fp_ieee_overflow 0
		.amdhsa_exception_fp_ieee_underflow 0
		.amdhsa_exception_fp_ieee_inexact 0
		.amdhsa_exception_int_div_zero 0
	.end_amdhsa_kernel
	.section	.text._ZN9rocsparseL16sddmm_csx_kernelILi512ELi1EL20rocsparse_direction_0EfiiDF16_DF16_fEEv20rocsparse_operation_S2_16rocsparse_order_S3_T4_S4_S4_T3_NS_24const_host_device_scalarIT2_EEPKT5_lPKT6_lS8_PT7_PKS5_PKS4_21rocsparse_index_base_b,"axG",@progbits,_ZN9rocsparseL16sddmm_csx_kernelILi512ELi1EL20rocsparse_direction_0EfiiDF16_DF16_fEEv20rocsparse_operation_S2_16rocsparse_order_S3_T4_S4_S4_T3_NS_24const_host_device_scalarIT2_EEPKT5_lPKT6_lS8_PT7_PKS5_PKS4_21rocsparse_index_base_b,comdat
.Lfunc_end228:
	.size	_ZN9rocsparseL16sddmm_csx_kernelILi512ELi1EL20rocsparse_direction_0EfiiDF16_DF16_fEEv20rocsparse_operation_S2_16rocsparse_order_S3_T4_S4_S4_T3_NS_24const_host_device_scalarIT2_EEPKT5_lPKT6_lS8_PT7_PKS5_PKS4_21rocsparse_index_base_b, .Lfunc_end228-_ZN9rocsparseL16sddmm_csx_kernelILi512ELi1EL20rocsparse_direction_0EfiiDF16_DF16_fEEv20rocsparse_operation_S2_16rocsparse_order_S3_T4_S4_S4_T3_NS_24const_host_device_scalarIT2_EEPKT5_lPKT6_lS8_PT7_PKS5_PKS4_21rocsparse_index_base_b
                                        ; -- End function
	.set _ZN9rocsparseL16sddmm_csx_kernelILi512ELi1EL20rocsparse_direction_0EfiiDF16_DF16_fEEv20rocsparse_operation_S2_16rocsparse_order_S3_T4_S4_S4_T3_NS_24const_host_device_scalarIT2_EEPKT5_lPKT6_lS8_PT7_PKS5_PKS4_21rocsparse_index_base_b.num_vgpr, 13
	.set _ZN9rocsparseL16sddmm_csx_kernelILi512ELi1EL20rocsparse_direction_0EfiiDF16_DF16_fEEv20rocsparse_operation_S2_16rocsparse_order_S3_T4_S4_S4_T3_NS_24const_host_device_scalarIT2_EEPKT5_lPKT6_lS8_PT7_PKS5_PKS4_21rocsparse_index_base_b.num_agpr, 0
	.set _ZN9rocsparseL16sddmm_csx_kernelILi512ELi1EL20rocsparse_direction_0EfiiDF16_DF16_fEEv20rocsparse_operation_S2_16rocsparse_order_S3_T4_S4_S4_T3_NS_24const_host_device_scalarIT2_EEPKT5_lPKT6_lS8_PT7_PKS5_PKS4_21rocsparse_index_base_b.numbered_sgpr, 28
	.set _ZN9rocsparseL16sddmm_csx_kernelILi512ELi1EL20rocsparse_direction_0EfiiDF16_DF16_fEEv20rocsparse_operation_S2_16rocsparse_order_S3_T4_S4_S4_T3_NS_24const_host_device_scalarIT2_EEPKT5_lPKT6_lS8_PT7_PKS5_PKS4_21rocsparse_index_base_b.num_named_barrier, 0
	.set _ZN9rocsparseL16sddmm_csx_kernelILi512ELi1EL20rocsparse_direction_0EfiiDF16_DF16_fEEv20rocsparse_operation_S2_16rocsparse_order_S3_T4_S4_S4_T3_NS_24const_host_device_scalarIT2_EEPKT5_lPKT6_lS8_PT7_PKS5_PKS4_21rocsparse_index_base_b.private_seg_size, 0
	.set _ZN9rocsparseL16sddmm_csx_kernelILi512ELi1EL20rocsparse_direction_0EfiiDF16_DF16_fEEv20rocsparse_operation_S2_16rocsparse_order_S3_T4_S4_S4_T3_NS_24const_host_device_scalarIT2_EEPKT5_lPKT6_lS8_PT7_PKS5_PKS4_21rocsparse_index_base_b.uses_vcc, 1
	.set _ZN9rocsparseL16sddmm_csx_kernelILi512ELi1EL20rocsparse_direction_0EfiiDF16_DF16_fEEv20rocsparse_operation_S2_16rocsparse_order_S3_T4_S4_S4_T3_NS_24const_host_device_scalarIT2_EEPKT5_lPKT6_lS8_PT7_PKS5_PKS4_21rocsparse_index_base_b.uses_flat_scratch, 0
	.set _ZN9rocsparseL16sddmm_csx_kernelILi512ELi1EL20rocsparse_direction_0EfiiDF16_DF16_fEEv20rocsparse_operation_S2_16rocsparse_order_S3_T4_S4_S4_T3_NS_24const_host_device_scalarIT2_EEPKT5_lPKT6_lS8_PT7_PKS5_PKS4_21rocsparse_index_base_b.has_dyn_sized_stack, 0
	.set _ZN9rocsparseL16sddmm_csx_kernelILi512ELi1EL20rocsparse_direction_0EfiiDF16_DF16_fEEv20rocsparse_operation_S2_16rocsparse_order_S3_T4_S4_S4_T3_NS_24const_host_device_scalarIT2_EEPKT5_lPKT6_lS8_PT7_PKS5_PKS4_21rocsparse_index_base_b.has_recursion, 0
	.set _ZN9rocsparseL16sddmm_csx_kernelILi512ELi1EL20rocsparse_direction_0EfiiDF16_DF16_fEEv20rocsparse_operation_S2_16rocsparse_order_S3_T4_S4_S4_T3_NS_24const_host_device_scalarIT2_EEPKT5_lPKT6_lS8_PT7_PKS5_PKS4_21rocsparse_index_base_b.has_indirect_call, 0
	.section	.AMDGPU.csdata,"",@progbits
; Kernel info:
; codeLenInByte = 880
; TotalNumSgprs: 34
; NumVgprs: 13
; NumAgprs: 0
; TotalNumVgprs: 13
; ScratchSize: 0
; MemoryBound: 0
; FloatMode: 240
; IeeeMode: 1
; LDSByteSize: 2048 bytes/workgroup (compile time only)
; SGPRBlocks: 4
; VGPRBlocks: 1
; NumSGPRsForWavesPerEU: 34
; NumVGPRsForWavesPerEU: 13
; AccumOffset: 16
; Occupancy: 8
; WaveLimiterHint : 0
; COMPUTE_PGM_RSRC2:SCRATCH_EN: 0
; COMPUTE_PGM_RSRC2:USER_SGPR: 2
; COMPUTE_PGM_RSRC2:TRAP_HANDLER: 0
; COMPUTE_PGM_RSRC2:TGID_X_EN: 1
; COMPUTE_PGM_RSRC2:TGID_Y_EN: 0
; COMPUTE_PGM_RSRC2:TGID_Z_EN: 0
; COMPUTE_PGM_RSRC2:TIDIG_COMP_CNT: 0
; COMPUTE_PGM_RSRC3_GFX90A:ACCUM_OFFSET: 3
; COMPUTE_PGM_RSRC3_GFX90A:TG_SPLIT: 0
	.section	.text._ZN9rocsparseL16sddmm_csx_kernelILi512ELi8EL20rocsparse_direction_0EfliDF16_DF16_fEEv20rocsparse_operation_S2_16rocsparse_order_S3_T4_S4_S4_T3_NS_24const_host_device_scalarIT2_EEPKT5_lPKT6_lS8_PT7_PKS5_PKS4_21rocsparse_index_base_b,"axG",@progbits,_ZN9rocsparseL16sddmm_csx_kernelILi512ELi8EL20rocsparse_direction_0EfliDF16_DF16_fEEv20rocsparse_operation_S2_16rocsparse_order_S3_T4_S4_S4_T3_NS_24const_host_device_scalarIT2_EEPKT5_lPKT6_lS8_PT7_PKS5_PKS4_21rocsparse_index_base_b,comdat
	.globl	_ZN9rocsparseL16sddmm_csx_kernelILi512ELi8EL20rocsparse_direction_0EfliDF16_DF16_fEEv20rocsparse_operation_S2_16rocsparse_order_S3_T4_S4_S4_T3_NS_24const_host_device_scalarIT2_EEPKT5_lPKT6_lS8_PT7_PKS5_PKS4_21rocsparse_index_base_b ; -- Begin function _ZN9rocsparseL16sddmm_csx_kernelILi512ELi8EL20rocsparse_direction_0EfliDF16_DF16_fEEv20rocsparse_operation_S2_16rocsparse_order_S3_T4_S4_S4_T3_NS_24const_host_device_scalarIT2_EEPKT5_lPKT6_lS8_PT7_PKS5_PKS4_21rocsparse_index_base_b
	.p2align	8
	.type	_ZN9rocsparseL16sddmm_csx_kernelILi512ELi8EL20rocsparse_direction_0EfliDF16_DF16_fEEv20rocsparse_operation_S2_16rocsparse_order_S3_T4_S4_S4_T3_NS_24const_host_device_scalarIT2_EEPKT5_lPKT6_lS8_PT7_PKS5_PKS4_21rocsparse_index_base_b,@function
_ZN9rocsparseL16sddmm_csx_kernelILi512ELi8EL20rocsparse_direction_0EfliDF16_DF16_fEEv20rocsparse_operation_S2_16rocsparse_order_S3_T4_S4_S4_T3_NS_24const_host_device_scalarIT2_EEPKT5_lPKT6_lS8_PT7_PKS5_PKS4_21rocsparse_index_base_b: ; @_ZN9rocsparseL16sddmm_csx_kernelILi512ELi8EL20rocsparse_direction_0EfliDF16_DF16_fEEv20rocsparse_operation_S2_16rocsparse_order_S3_T4_S4_S4_T3_NS_24const_host_device_scalarIT2_EEPKT5_lPKT6_lS8_PT7_PKS5_PKS4_21rocsparse_index_base_b
; %bb.0:
	s_load_dwordx2 s[16:17], s[0:1], 0x70
	s_load_dwordx2 s[6:7], s[0:1], 0x28
	s_load_dwordx4 s[12:15], s[0:1], 0x48
	s_waitcnt lgkmcnt(0)
	s_bitcmp1_b32 s17, 0
	s_cselect_b64 s[8:9], -1, 0
	s_xor_b64 s[4:5], s[8:9], -1
	s_and_b64 vcc, exec, s[8:9]
	s_mov_b32 s19, s6
	s_cbranch_vccnz .LBB229_2
; %bb.1:
	s_load_dword s19, s[6:7], 0x0
.LBB229_2:
	s_andn2_b64 vcc, exec, s[4:5]
	s_mov_b32 s18, s14
	s_cbranch_vccnz .LBB229_4
; %bb.3:
	s_load_dword s18, s[14:15], 0x0
.LBB229_4:
	s_waitcnt lgkmcnt(0)
	v_cmp_eq_f32_e64 s[4:5], s19, 0
	v_cmp_eq_f32_e64 s[6:7], s18, 1.0
	s_and_b64 s[4:5], s[4:5], s[6:7]
	s_and_b64 vcc, exec, s[4:5]
	s_cbranch_vccnz .LBB229_36
; %bb.5:
	s_load_dword s4, s[0:1], 0x10
	v_lshrrev_b32_e32 v8, 3, v0
	v_lshl_or_b32 v2, s2, 6, v8
	v_mov_b32_e32 v3, 0
	s_waitcnt lgkmcnt(0)
	s_ashr_i32 s5, s4, 31
	v_cmp_gt_i64_e32 vcc, s[4:5], v[2:3]
	s_and_saveexec_b64 s[2:3], vcc
	s_cbranch_execz .LBB229_36
; %bb.6:
	s_load_dwordx4 s[4:7], s[0:1], 0x0
	s_load_dwordx2 s[14:15], s[0:1], 0x60
	s_load_dwordx2 s[2:3], s[0:1], 0x38
	s_waitcnt lgkmcnt(0)
	s_cmp_eq_u32 s6, 1
	s_cselect_b64 s[8:9], -1, 0
	s_cmpk_eq_i32 s4, 0x6f
	s_cselect_b64 s[10:11], -1, 0
	s_cmpk_lg_i32 s4, 0x6f
	s_cselect_b64 s[20:21], -1, 0
	s_cmp_lg_u32 s6, 1
	s_cbranch_scc0 .LBB229_10
; %bb.7:
	s_andn2_b64 vcc, exec, s[10:11]
	v_mov_b64_e32 v[6:7], v[2:3]
	s_cbranch_vccnz .LBB229_9
; %bb.8:
	v_mad_u64_u32 v[6:7], s[22:23], s2, v2, 0
	v_mov_b32_e32 v4, v7
	v_mad_u64_u32 v[4:5], s[22:23], s3, v2, v[4:5]
	v_mov_b32_e32 v7, v4
.LBB229_9:
	s_cbranch_execz .LBB229_11
	s_branch .LBB229_13
.LBB229_10:
                                        ; implicit-def: $vgpr6_vgpr7
.LBB229_11:
	s_andn2_b64 vcc, exec, s[20:21]
	v_mov_b64_e32 v[6:7], v[2:3]
	s_cbranch_vccnz .LBB229_13
; %bb.12:
	v_mad_u64_u32 v[6:7], s[20:21], s2, v2, 0
	v_mov_b32_e32 v4, v7
	v_mad_u64_u32 v[4:5], s[20:21], s3, v2, v[4:5]
	v_mov_b32_e32 v7, v4
.LBB229_13:
	v_lshl_add_u64 v[2:3], v[2:3], 3, s[14:15]
	global_load_dwordx4 v[2:5], v[2:3], off
	s_waitcnt vmcnt(0)
	v_cmp_lt_i64_e32 vcc, v[2:3], v[4:5]
	s_and_b64 exec, exec, vcc
	s_cbranch_execz .LBB229_36
; %bb.14:
	s_xor_b64 s[8:9], s[10:11], s[8:9]
	s_and_b64 s[8:9], s[8:9], exec
	v_and_b32_e32 v12, 7, v0
	v_subrev_co_u32_e32 v0, vcc, s16, v2
	s_cselect_b32 s9, 0, s3
	s_cselect_b32 s8, 1, s2
	s_cmp_lg_u32 s7, 1
	v_subbrev_co_u32_e32 v1, vcc, 0, v3, vcc
	s_cselect_b64 s[20:21], -1, 0
	s_cmp_eq_u32 s7, 1
	v_subrev_co_u32_e32 v2, vcc, s16, v4
	s_cselect_b64 s[2:3], -1, 0
	s_cmpk_eq_i32 s5, 0x6f
	v_subbrev_co_u32_e32 v3, vcc, 0, v5, vcc
	v_mad_u64_u32 v[4:5], s[30:31], s8, v12, 0
	s_cselect_b64 s[6:7], -1, 0
	s_cmpk_lg_i32 s5, 0x6f
	s_load_dwordx2 s[28:29], s[0:1], 0x40
	s_load_dwordx2 s[22:23], s[0:1], 0x58
	;; [unrolled: 1-line block ×3, first 2 shown]
	s_load_dword s17, s[0:1], 0x18
	v_lshlrev_b32_e32 v13, 5, v8
	v_mov_b32_e32 v8, v5
	s_cselect_b64 s[10:11], -1, 0
	s_xor_b64 s[2:3], s[6:7], s[2:3]
	v_mad_u64_u32 v[8:9], s[30:31], s9, v12, v[8:9]
	s_and_b64 s[2:3], s[2:3], exec
	v_mov_b32_e32 v5, v8
	v_lshlrev_b64 v[6:7], 1, v[6:7]
	s_cselect_b32 s26, s12, 1
	v_lshl_add_u64 v[4:5], v[4:5], 1, v[6:7]
	s_load_dwordx2 s[14:15], s[0:1], 0x68
	s_cselect_b32 s27, s13, 0
	s_waitcnt lgkmcnt(0)
	v_lshl_add_u64 v[4:5], s[24:25], 0, v[4:5]
	s_lshl_b64 s[24:25], s[8:9], 4
	v_mad_u64_u32 v[6:7], s[8:9], s26, v12, 0
	v_mov_b32_e32 v8, v7
	v_mad_u64_u32 v[8:9], s[8:9], s27, v12, v[8:9]
	v_cndmask_b32_e64 v10, 0, 1, s[6:7]
	v_mov_b32_e32 v7, v8
	v_cndmask_b32_e64 v8, 0, 1, s[10:11]
	v_cmp_gt_i32_e64 s[0:1], s17, v12
	v_lshl_or_b32 v14, v12, 2, v13
	v_cmp_eq_u32_e64 s[2:3], 0, v12
	v_cmp_gt_u32_e64 s[4:5], 4, v12
	v_cmp_gt_u32_e64 s[6:7], 2, v12
	v_lshl_add_u64 v[6:7], v[6:7], 1, s[28:29]
	s_lshl_b64 s[26:27], s[26:27], 4
	s_mov_b64 s[28:29], 0
	v_cmp_ne_u32_e64 s[8:9], 1, v8
	v_cmp_ne_u32_e64 s[10:11], 1, v10
	s_branch .LBB229_16
.LBB229_15:                             ;   in Loop: Header=BB229_16 Depth=1
	s_or_b64 exec, exec, s[30:31]
	v_lshl_add_u64 v[0:1], v[0:1], 0, 1
	v_cmp_ge_i64_e32 vcc, v[0:1], v[2:3]
	s_or_b64 s[28:29], vcc, s[28:29]
	s_andn2_b64 exec, exec, s[28:29]
	s_cbranch_execz .LBB229_36
.LBB229_16:                             ; =>This Loop Header: Depth=1
                                        ;     Child Loop BB229_26 Depth 2
	v_lshl_add_u64 v[8:9], v[0:1], 2, s[14:15]
	global_load_dword v8, v[8:9], off
	s_mov_b64 s[30:31], -1
	s_and_b64 vcc, exec, s[20:21]
                                        ; implicit-def: $vgpr10_vgpr11
	s_waitcnt vmcnt(0)
	v_subrev_u32_e32 v8, s16, v8
	v_ashrrev_i32_e32 v9, 31, v8
	s_cbranch_vccnz .LBB229_19
; %bb.17:                               ;   in Loop: Header=BB229_16 Depth=1
	s_andn2_b64 vcc, exec, s[30:31]
	s_cbranch_vccz .LBB229_22
.LBB229_18:                             ;   in Loop: Header=BB229_16 Depth=1
	v_mov_b32_e32 v15, 0
	s_and_saveexec_b64 s[30:31], s[0:1]
	s_cbranch_execnz .LBB229_25
	s_branch .LBB229_28
.LBB229_19:                             ;   in Loop: Header=BB229_16 Depth=1
	s_and_b64 vcc, exec, s[8:9]
	v_mov_b64_e32 v[10:11], v[8:9]
	s_cbranch_vccnz .LBB229_21
; %bb.20:                               ;   in Loop: Header=BB229_16 Depth=1
	v_mul_lo_u32 v15, s13, v8
	v_mul_lo_u32 v16, s12, v9
	v_mad_u64_u32 v[10:11], s[30:31], s12, v8, 0
	v_add3_u32 v11, v11, v16, v15
.LBB229_21:                             ;   in Loop: Header=BB229_16 Depth=1
	s_cbranch_execnz .LBB229_18
.LBB229_22:                             ;   in Loop: Header=BB229_16 Depth=1
	s_and_b64 vcc, exec, s[10:11]
	s_cbranch_vccnz .LBB229_24
; %bb.23:                               ;   in Loop: Header=BB229_16 Depth=1
	v_mul_lo_u32 v10, s13, v8
	v_mul_lo_u32 v11, s12, v9
	v_mad_u64_u32 v[8:9], s[30:31], s12, v8, 0
	v_add3_u32 v9, v9, v11, v10
.LBB229_24:                             ;   in Loop: Header=BB229_16 Depth=1
	v_mov_b64_e32 v[10:11], v[8:9]
	v_mov_b32_e32 v15, 0
	s_and_saveexec_b64 s[30:31], s[0:1]
	s_cbranch_execz .LBB229_28
.LBB229_25:                             ;   in Loop: Header=BB229_16 Depth=1
	v_lshl_add_u64 v[8:9], v[10:11], 1, v[6:7]
	v_mov_b32_e32 v15, 0
	s_mov_b64 s[34:35], 0
	v_mov_b64_e32 v[10:11], v[4:5]
	v_mov_b32_e32 v16, v12
.LBB229_26:                             ;   Parent Loop BB229_16 Depth=1
                                        ; =>  This Inner Loop Header: Depth=2
	global_load_ushort v17, v[10:11], off
	global_load_ushort v18, v[8:9], off
	v_add_u32_e32 v16, 8, v16
	v_cmp_le_i32_e32 vcc, s17, v16
	v_lshl_add_u64 v[10:11], v[10:11], 0, s[24:25]
	v_lshl_add_u64 v[8:9], v[8:9], 0, s[26:27]
	s_or_b64 s[34:35], vcc, s[34:35]
	s_waitcnt vmcnt(0)
	v_mul_f16_e32 v17, v17, v18
	v_cvt_f32_f16_e32 v17, v17
	v_add_f32_e32 v15, v15, v17
	s_andn2_b64 exec, exec, s[34:35]
	s_cbranch_execnz .LBB229_26
; %bb.27:                               ;   in Loop: Header=BB229_16 Depth=1
	s_or_b64 exec, exec, s[34:35]
.LBB229_28:                             ;   in Loop: Header=BB229_16 Depth=1
	s_or_b64 exec, exec, s[30:31]
	ds_write_b32 v14, v15
	s_waitcnt lgkmcnt(0)
	s_barrier
	s_and_saveexec_b64 s[30:31], s[4:5]
	s_cbranch_execz .LBB229_30
; %bb.29:                               ;   in Loop: Header=BB229_16 Depth=1
	ds_read2_b32 v[8:9], v14 offset1:4
	s_waitcnt lgkmcnt(0)
	v_add_f32_e32 v8, v9, v8
	ds_write_b32 v14, v8
.LBB229_30:                             ;   in Loop: Header=BB229_16 Depth=1
	s_or_b64 exec, exec, s[30:31]
	s_waitcnt lgkmcnt(0)
	s_barrier
	s_and_saveexec_b64 s[30:31], s[6:7]
	s_cbranch_execz .LBB229_32
; %bb.31:                               ;   in Loop: Header=BB229_16 Depth=1
	ds_read2_b32 v[8:9], v14 offset1:2
	s_waitcnt lgkmcnt(0)
	v_add_f32_e32 v8, v9, v8
	ds_write_b32 v14, v8
.LBB229_32:                             ;   in Loop: Header=BB229_16 Depth=1
	s_or_b64 exec, exec, s[30:31]
	s_waitcnt lgkmcnt(0)
	s_barrier
	s_and_saveexec_b64 s[30:31], s[2:3]
	s_cbranch_execz .LBB229_34
; %bb.33:                               ;   in Loop: Header=BB229_16 Depth=1
	ds_read2_b32 v[8:9], v14 offset1:1
	s_waitcnt lgkmcnt(0)
	v_add_f32_e32 v8, v9, v8
	ds_write_b32 v14, v8
.LBB229_34:                             ;   in Loop: Header=BB229_16 Depth=1
	s_or_b64 exec, exec, s[30:31]
	s_waitcnt lgkmcnt(0)
	s_barrier
	s_and_saveexec_b64 s[30:31], s[2:3]
	s_cbranch_execz .LBB229_15
; %bb.35:                               ;   in Loop: Header=BB229_16 Depth=1
	v_lshl_add_u64 v[8:9], v[0:1], 2, s[22:23]
	global_load_dword v10, v[8:9], off
	ds_read_b32 v11, v13
	s_waitcnt vmcnt(0) lgkmcnt(0)
	v_pk_mul_f32 v[10:11], s[18:19], v[10:11]
	s_nop 0
	v_add_f32_e32 v10, v10, v11
	global_store_dword v[8:9], v10, off
	s_branch .LBB229_15
.LBB229_36:
	s_endpgm
	.section	.rodata,"a",@progbits
	.p2align	6, 0x0
	.amdhsa_kernel _ZN9rocsparseL16sddmm_csx_kernelILi512ELi8EL20rocsparse_direction_0EfliDF16_DF16_fEEv20rocsparse_operation_S2_16rocsparse_order_S3_T4_S4_S4_T3_NS_24const_host_device_scalarIT2_EEPKT5_lPKT6_lS8_PT7_PKS5_PKS4_21rocsparse_index_base_b
		.amdhsa_group_segment_fixed_size 2048
		.amdhsa_private_segment_fixed_size 0
		.amdhsa_kernarg_size 120
		.amdhsa_user_sgpr_count 2
		.amdhsa_user_sgpr_dispatch_ptr 0
		.amdhsa_user_sgpr_queue_ptr 0
		.amdhsa_user_sgpr_kernarg_segment_ptr 1
		.amdhsa_user_sgpr_dispatch_id 0
		.amdhsa_user_sgpr_kernarg_preload_length 0
		.amdhsa_user_sgpr_kernarg_preload_offset 0
		.amdhsa_user_sgpr_private_segment_size 0
		.amdhsa_uses_dynamic_stack 0
		.amdhsa_enable_private_segment 0
		.amdhsa_system_sgpr_workgroup_id_x 1
		.amdhsa_system_sgpr_workgroup_id_y 0
		.amdhsa_system_sgpr_workgroup_id_z 0
		.amdhsa_system_sgpr_workgroup_info 0
		.amdhsa_system_vgpr_workitem_id 0
		.amdhsa_next_free_vgpr 19
		.amdhsa_next_free_sgpr 36
		.amdhsa_accum_offset 20
		.amdhsa_reserve_vcc 1
		.amdhsa_float_round_mode_32 0
		.amdhsa_float_round_mode_16_64 0
		.amdhsa_float_denorm_mode_32 3
		.amdhsa_float_denorm_mode_16_64 3
		.amdhsa_dx10_clamp 1
		.amdhsa_ieee_mode 1
		.amdhsa_fp16_overflow 0
		.amdhsa_tg_split 0
		.amdhsa_exception_fp_ieee_invalid_op 0
		.amdhsa_exception_fp_denorm_src 0
		.amdhsa_exception_fp_ieee_div_zero 0
		.amdhsa_exception_fp_ieee_overflow 0
		.amdhsa_exception_fp_ieee_underflow 0
		.amdhsa_exception_fp_ieee_inexact 0
		.amdhsa_exception_int_div_zero 0
	.end_amdhsa_kernel
	.section	.text._ZN9rocsparseL16sddmm_csx_kernelILi512ELi8EL20rocsparse_direction_0EfliDF16_DF16_fEEv20rocsparse_operation_S2_16rocsparse_order_S3_T4_S4_S4_T3_NS_24const_host_device_scalarIT2_EEPKT5_lPKT6_lS8_PT7_PKS5_PKS4_21rocsparse_index_base_b,"axG",@progbits,_ZN9rocsparseL16sddmm_csx_kernelILi512ELi8EL20rocsparse_direction_0EfliDF16_DF16_fEEv20rocsparse_operation_S2_16rocsparse_order_S3_T4_S4_S4_T3_NS_24const_host_device_scalarIT2_EEPKT5_lPKT6_lS8_PT7_PKS5_PKS4_21rocsparse_index_base_b,comdat
.Lfunc_end229:
	.size	_ZN9rocsparseL16sddmm_csx_kernelILi512ELi8EL20rocsparse_direction_0EfliDF16_DF16_fEEv20rocsparse_operation_S2_16rocsparse_order_S3_T4_S4_S4_T3_NS_24const_host_device_scalarIT2_EEPKT5_lPKT6_lS8_PT7_PKS5_PKS4_21rocsparse_index_base_b, .Lfunc_end229-_ZN9rocsparseL16sddmm_csx_kernelILi512ELi8EL20rocsparse_direction_0EfliDF16_DF16_fEEv20rocsparse_operation_S2_16rocsparse_order_S3_T4_S4_S4_T3_NS_24const_host_device_scalarIT2_EEPKT5_lPKT6_lS8_PT7_PKS5_PKS4_21rocsparse_index_base_b
                                        ; -- End function
	.set _ZN9rocsparseL16sddmm_csx_kernelILi512ELi8EL20rocsparse_direction_0EfliDF16_DF16_fEEv20rocsparse_operation_S2_16rocsparse_order_S3_T4_S4_S4_T3_NS_24const_host_device_scalarIT2_EEPKT5_lPKT6_lS8_PT7_PKS5_PKS4_21rocsparse_index_base_b.num_vgpr, 19
	.set _ZN9rocsparseL16sddmm_csx_kernelILi512ELi8EL20rocsparse_direction_0EfliDF16_DF16_fEEv20rocsparse_operation_S2_16rocsparse_order_S3_T4_S4_S4_T3_NS_24const_host_device_scalarIT2_EEPKT5_lPKT6_lS8_PT7_PKS5_PKS4_21rocsparse_index_base_b.num_agpr, 0
	.set _ZN9rocsparseL16sddmm_csx_kernelILi512ELi8EL20rocsparse_direction_0EfliDF16_DF16_fEEv20rocsparse_operation_S2_16rocsparse_order_S3_T4_S4_S4_T3_NS_24const_host_device_scalarIT2_EEPKT5_lPKT6_lS8_PT7_PKS5_PKS4_21rocsparse_index_base_b.numbered_sgpr, 36
	.set _ZN9rocsparseL16sddmm_csx_kernelILi512ELi8EL20rocsparse_direction_0EfliDF16_DF16_fEEv20rocsparse_operation_S2_16rocsparse_order_S3_T4_S4_S4_T3_NS_24const_host_device_scalarIT2_EEPKT5_lPKT6_lS8_PT7_PKS5_PKS4_21rocsparse_index_base_b.num_named_barrier, 0
	.set _ZN9rocsparseL16sddmm_csx_kernelILi512ELi8EL20rocsparse_direction_0EfliDF16_DF16_fEEv20rocsparse_operation_S2_16rocsparse_order_S3_T4_S4_S4_T3_NS_24const_host_device_scalarIT2_EEPKT5_lPKT6_lS8_PT7_PKS5_PKS4_21rocsparse_index_base_b.private_seg_size, 0
	.set _ZN9rocsparseL16sddmm_csx_kernelILi512ELi8EL20rocsparse_direction_0EfliDF16_DF16_fEEv20rocsparse_operation_S2_16rocsparse_order_S3_T4_S4_S4_T3_NS_24const_host_device_scalarIT2_EEPKT5_lPKT6_lS8_PT7_PKS5_PKS4_21rocsparse_index_base_b.uses_vcc, 1
	.set _ZN9rocsparseL16sddmm_csx_kernelILi512ELi8EL20rocsparse_direction_0EfliDF16_DF16_fEEv20rocsparse_operation_S2_16rocsparse_order_S3_T4_S4_S4_T3_NS_24const_host_device_scalarIT2_EEPKT5_lPKT6_lS8_PT7_PKS5_PKS4_21rocsparse_index_base_b.uses_flat_scratch, 0
	.set _ZN9rocsparseL16sddmm_csx_kernelILi512ELi8EL20rocsparse_direction_0EfliDF16_DF16_fEEv20rocsparse_operation_S2_16rocsparse_order_S3_T4_S4_S4_T3_NS_24const_host_device_scalarIT2_EEPKT5_lPKT6_lS8_PT7_PKS5_PKS4_21rocsparse_index_base_b.has_dyn_sized_stack, 0
	.set _ZN9rocsparseL16sddmm_csx_kernelILi512ELi8EL20rocsparse_direction_0EfliDF16_DF16_fEEv20rocsparse_operation_S2_16rocsparse_order_S3_T4_S4_S4_T3_NS_24const_host_device_scalarIT2_EEPKT5_lPKT6_lS8_PT7_PKS5_PKS4_21rocsparse_index_base_b.has_recursion, 0
	.set _ZN9rocsparseL16sddmm_csx_kernelILi512ELi8EL20rocsparse_direction_0EfliDF16_DF16_fEEv20rocsparse_operation_S2_16rocsparse_order_S3_T4_S4_S4_T3_NS_24const_host_device_scalarIT2_EEPKT5_lPKT6_lS8_PT7_PKS5_PKS4_21rocsparse_index_base_b.has_indirect_call, 0
	.section	.AMDGPU.csdata,"",@progbits
; Kernel info:
; codeLenInByte = 1140
; TotalNumSgprs: 42
; NumVgprs: 19
; NumAgprs: 0
; TotalNumVgprs: 19
; ScratchSize: 0
; MemoryBound: 0
; FloatMode: 240
; IeeeMode: 1
; LDSByteSize: 2048 bytes/workgroup (compile time only)
; SGPRBlocks: 5
; VGPRBlocks: 2
; NumSGPRsForWavesPerEU: 42
; NumVGPRsForWavesPerEU: 19
; AccumOffset: 20
; Occupancy: 8
; WaveLimiterHint : 0
; COMPUTE_PGM_RSRC2:SCRATCH_EN: 0
; COMPUTE_PGM_RSRC2:USER_SGPR: 2
; COMPUTE_PGM_RSRC2:TRAP_HANDLER: 0
; COMPUTE_PGM_RSRC2:TGID_X_EN: 1
; COMPUTE_PGM_RSRC2:TGID_Y_EN: 0
; COMPUTE_PGM_RSRC2:TGID_Z_EN: 0
; COMPUTE_PGM_RSRC2:TIDIG_COMP_CNT: 0
; COMPUTE_PGM_RSRC3_GFX90A:ACCUM_OFFSET: 4
; COMPUTE_PGM_RSRC3_GFX90A:TG_SPLIT: 0
	.section	.text._ZN9rocsparseL16sddmm_csx_kernelILi512ELi4EL20rocsparse_direction_0EfliDF16_DF16_fEEv20rocsparse_operation_S2_16rocsparse_order_S3_T4_S4_S4_T3_NS_24const_host_device_scalarIT2_EEPKT5_lPKT6_lS8_PT7_PKS5_PKS4_21rocsparse_index_base_b,"axG",@progbits,_ZN9rocsparseL16sddmm_csx_kernelILi512ELi4EL20rocsparse_direction_0EfliDF16_DF16_fEEv20rocsparse_operation_S2_16rocsparse_order_S3_T4_S4_S4_T3_NS_24const_host_device_scalarIT2_EEPKT5_lPKT6_lS8_PT7_PKS5_PKS4_21rocsparse_index_base_b,comdat
	.globl	_ZN9rocsparseL16sddmm_csx_kernelILi512ELi4EL20rocsparse_direction_0EfliDF16_DF16_fEEv20rocsparse_operation_S2_16rocsparse_order_S3_T4_S4_S4_T3_NS_24const_host_device_scalarIT2_EEPKT5_lPKT6_lS8_PT7_PKS5_PKS4_21rocsparse_index_base_b ; -- Begin function _ZN9rocsparseL16sddmm_csx_kernelILi512ELi4EL20rocsparse_direction_0EfliDF16_DF16_fEEv20rocsparse_operation_S2_16rocsparse_order_S3_T4_S4_S4_T3_NS_24const_host_device_scalarIT2_EEPKT5_lPKT6_lS8_PT7_PKS5_PKS4_21rocsparse_index_base_b
	.p2align	8
	.type	_ZN9rocsparseL16sddmm_csx_kernelILi512ELi4EL20rocsparse_direction_0EfliDF16_DF16_fEEv20rocsparse_operation_S2_16rocsparse_order_S3_T4_S4_S4_T3_NS_24const_host_device_scalarIT2_EEPKT5_lPKT6_lS8_PT7_PKS5_PKS4_21rocsparse_index_base_b,@function
_ZN9rocsparseL16sddmm_csx_kernelILi512ELi4EL20rocsparse_direction_0EfliDF16_DF16_fEEv20rocsparse_operation_S2_16rocsparse_order_S3_T4_S4_S4_T3_NS_24const_host_device_scalarIT2_EEPKT5_lPKT6_lS8_PT7_PKS5_PKS4_21rocsparse_index_base_b: ; @_ZN9rocsparseL16sddmm_csx_kernelILi512ELi4EL20rocsparse_direction_0EfliDF16_DF16_fEEv20rocsparse_operation_S2_16rocsparse_order_S3_T4_S4_S4_T3_NS_24const_host_device_scalarIT2_EEPKT5_lPKT6_lS8_PT7_PKS5_PKS4_21rocsparse_index_base_b
; %bb.0:
	s_load_dwordx2 s[10:11], s[0:1], 0x70
	s_load_dwordx2 s[6:7], s[0:1], 0x28
	s_load_dwordx4 s[12:15], s[0:1], 0x48
	s_waitcnt lgkmcnt(0)
	s_bitcmp1_b32 s11, 0
	s_cselect_b64 s[8:9], -1, 0
	s_xor_b64 s[4:5], s[8:9], -1
	s_and_b64 vcc, exec, s[8:9]
	s_mov_b32 s17, s6
	s_cbranch_vccnz .LBB230_2
; %bb.1:
	s_load_dword s17, s[6:7], 0x0
.LBB230_2:
	s_andn2_b64 vcc, exec, s[4:5]
	s_mov_b32 s16, s14
	s_cbranch_vccnz .LBB230_4
; %bb.3:
	s_load_dword s16, s[14:15], 0x0
.LBB230_4:
	s_waitcnt lgkmcnt(0)
	v_cmp_eq_f32_e64 s[4:5], s17, 0
	v_cmp_eq_f32_e64 s[6:7], s16, 1.0
	s_and_b64 s[4:5], s[4:5], s[6:7]
	s_and_b64 vcc, exec, s[4:5]
	s_cbranch_vccnz .LBB230_34
; %bb.5:
	s_load_dword s4, s[0:1], 0x10
	v_lshrrev_b32_e32 v8, 2, v0
	v_lshl_or_b32 v2, s2, 7, v8
	v_mov_b32_e32 v3, 0
	s_waitcnt lgkmcnt(0)
	s_ashr_i32 s5, s4, 31
	v_cmp_gt_i64_e32 vcc, s[4:5], v[2:3]
	s_and_saveexec_b64 s[2:3], vcc
	s_cbranch_execz .LBB230_34
; %bb.6:
	s_load_dwordx4 s[4:7], s[0:1], 0x0
	s_load_dwordx2 s[14:15], s[0:1], 0x60
	s_load_dwordx2 s[2:3], s[0:1], 0x38
	s_waitcnt lgkmcnt(0)
	s_cmp_eq_u32 s6, 1
	s_cselect_b64 s[8:9], -1, 0
	s_cmpk_eq_i32 s4, 0x6f
	s_cselect_b64 s[18:19], -1, 0
	s_cmpk_lg_i32 s4, 0x6f
	s_cselect_b64 s[20:21], -1, 0
	s_cmp_lg_u32 s6, 1
	s_cbranch_scc0 .LBB230_10
; %bb.7:
	s_andn2_b64 vcc, exec, s[18:19]
	v_mov_b64_e32 v[6:7], v[2:3]
	s_cbranch_vccnz .LBB230_9
; %bb.8:
	v_mad_u64_u32 v[6:7], s[22:23], s2, v2, 0
	v_mov_b32_e32 v4, v7
	v_mad_u64_u32 v[4:5], s[22:23], s3, v2, v[4:5]
	v_mov_b32_e32 v7, v4
.LBB230_9:
	s_cbranch_execz .LBB230_11
	s_branch .LBB230_13
.LBB230_10:
                                        ; implicit-def: $vgpr6_vgpr7
.LBB230_11:
	s_andn2_b64 vcc, exec, s[20:21]
	v_mov_b64_e32 v[6:7], v[2:3]
	s_cbranch_vccnz .LBB230_13
; %bb.12:
	v_mad_u64_u32 v[6:7], s[20:21], s2, v2, 0
	v_mov_b32_e32 v4, v7
	v_mad_u64_u32 v[4:5], s[20:21], s3, v2, v[4:5]
	v_mov_b32_e32 v7, v4
.LBB230_13:
	v_lshl_add_u64 v[2:3], v[2:3], 3, s[14:15]
	global_load_dwordx4 v[2:5], v[2:3], off
	s_waitcnt vmcnt(0)
	v_cmp_lt_i64_e32 vcc, v[2:3], v[4:5]
	s_and_b64 exec, exec, vcc
	s_cbranch_execz .LBB230_34
; %bb.14:
	s_xor_b64 s[8:9], s[18:19], s[8:9]
	s_and_b64 s[8:9], s[8:9], exec
	v_and_b32_e32 v12, 3, v0
	v_subrev_co_u32_e32 v0, vcc, s10, v2
	s_cselect_b32 s9, 0, s3
	s_cselect_b32 s8, 1, s2
	s_cmp_lg_u32 s7, 1
	v_subbrev_co_u32_e32 v1, vcc, 0, v3, vcc
	s_cselect_b64 s[18:19], -1, 0
	s_cmp_eq_u32 s7, 1
	v_subrev_co_u32_e32 v2, vcc, s10, v4
	s_cselect_b64 s[2:3], -1, 0
	s_cmpk_eq_i32 s5, 0x6f
	v_subbrev_co_u32_e32 v3, vcc, 0, v5, vcc
	v_mad_u64_u32 v[4:5], s[26:27], s8, v12, 0
	s_cselect_b64 s[6:7], -1, 0
	s_cmpk_lg_i32 s5, 0x6f
	s_load_dwordx2 s[24:25], s[0:1], 0x40
	s_load_dwordx2 s[20:21], s[0:1], 0x58
	;; [unrolled: 1-line block ×3, first 2 shown]
	s_load_dword s11, s[0:1], 0x18
	v_lshlrev_b32_e32 v13, 4, v8
	v_mov_b32_e32 v8, v5
	s_cselect_b64 s[28:29], -1, 0
	s_xor_b64 s[2:3], s[6:7], s[2:3]
	v_mad_u64_u32 v[8:9], s[26:27], s9, v12, v[8:9]
	s_and_b64 s[2:3], s[2:3], exec
	v_mov_b32_e32 v5, v8
	v_lshlrev_b64 v[6:7], 1, v[6:7]
	v_cndmask_b32_e64 v10, 0, 1, s[6:7]
	s_cselect_b32 s6, s12, 1
	v_lshl_add_u64 v[4:5], v[4:5], 1, v[6:7]
	s_load_dwordx2 s[14:15], s[0:1], 0x68
	s_cselect_b32 s7, s13, 0
	s_waitcnt lgkmcnt(0)
	v_lshl_add_u64 v[4:5], s[22:23], 0, v[4:5]
	s_lshl_b64 s[22:23], s[8:9], 3
	v_mad_u64_u32 v[6:7], s[8:9], s6, v12, 0
	v_mov_b32_e32 v8, v7
	v_mad_u64_u32 v[8:9], s[8:9], s7, v12, v[8:9]
	v_mov_b32_e32 v7, v8
	v_cndmask_b32_e64 v8, 0, 1, s[28:29]
	v_cmp_gt_i32_e64 s[0:1], s11, v12
	v_lshl_or_b32 v14, v12, 2, v13
	v_cmp_eq_u32_e64 s[2:3], 0, v12
	v_cmp_gt_u32_e64 s[4:5], 2, v12
	v_lshl_add_u64 v[6:7], v[6:7], 1, s[24:25]
	s_lshl_b64 s[24:25], s[6:7], 3
	s_mov_b64 s[26:27], 0
	v_cmp_ne_u32_e64 s[6:7], 1, v8
	v_cmp_ne_u32_e64 s[8:9], 1, v10
	s_branch .LBB230_16
.LBB230_15:                             ;   in Loop: Header=BB230_16 Depth=1
	s_or_b64 exec, exec, s[28:29]
	v_lshl_add_u64 v[0:1], v[0:1], 0, 1
	v_cmp_ge_i64_e32 vcc, v[0:1], v[2:3]
	s_or_b64 s[26:27], vcc, s[26:27]
	s_andn2_b64 exec, exec, s[26:27]
	s_cbranch_execz .LBB230_34
.LBB230_16:                             ; =>This Loop Header: Depth=1
                                        ;     Child Loop BB230_26 Depth 2
	v_lshl_add_u64 v[8:9], v[0:1], 2, s[14:15]
	global_load_dword v8, v[8:9], off
	s_mov_b64 s[28:29], -1
	s_and_b64 vcc, exec, s[18:19]
                                        ; implicit-def: $vgpr10_vgpr11
	s_waitcnt vmcnt(0)
	v_subrev_u32_e32 v8, s10, v8
	v_ashrrev_i32_e32 v9, 31, v8
	s_cbranch_vccnz .LBB230_19
; %bb.17:                               ;   in Loop: Header=BB230_16 Depth=1
	s_andn2_b64 vcc, exec, s[28:29]
	s_cbranch_vccz .LBB230_22
.LBB230_18:                             ;   in Loop: Header=BB230_16 Depth=1
	v_mov_b32_e32 v15, 0
	s_and_saveexec_b64 s[28:29], s[0:1]
	s_cbranch_execnz .LBB230_25
	s_branch .LBB230_28
.LBB230_19:                             ;   in Loop: Header=BB230_16 Depth=1
	s_and_b64 vcc, exec, s[6:7]
	v_mov_b64_e32 v[10:11], v[8:9]
	s_cbranch_vccnz .LBB230_21
; %bb.20:                               ;   in Loop: Header=BB230_16 Depth=1
	v_mul_lo_u32 v15, s13, v8
	v_mul_lo_u32 v16, s12, v9
	v_mad_u64_u32 v[10:11], s[28:29], s12, v8, 0
	v_add3_u32 v11, v11, v16, v15
.LBB230_21:                             ;   in Loop: Header=BB230_16 Depth=1
	s_cbranch_execnz .LBB230_18
.LBB230_22:                             ;   in Loop: Header=BB230_16 Depth=1
	s_and_b64 vcc, exec, s[8:9]
	s_cbranch_vccnz .LBB230_24
; %bb.23:                               ;   in Loop: Header=BB230_16 Depth=1
	v_mul_lo_u32 v10, s13, v8
	v_mul_lo_u32 v11, s12, v9
	v_mad_u64_u32 v[8:9], s[28:29], s12, v8, 0
	v_add3_u32 v9, v9, v11, v10
.LBB230_24:                             ;   in Loop: Header=BB230_16 Depth=1
	v_mov_b64_e32 v[10:11], v[8:9]
	v_mov_b32_e32 v15, 0
	s_and_saveexec_b64 s[28:29], s[0:1]
	s_cbranch_execz .LBB230_28
.LBB230_25:                             ;   in Loop: Header=BB230_16 Depth=1
	v_lshl_add_u64 v[8:9], v[10:11], 1, v[6:7]
	v_mov_b32_e32 v15, 0
	s_mov_b64 s[30:31], 0
	v_mov_b64_e32 v[10:11], v[4:5]
	v_mov_b32_e32 v16, v12
.LBB230_26:                             ;   Parent Loop BB230_16 Depth=1
                                        ; =>  This Inner Loop Header: Depth=2
	global_load_ushort v17, v[10:11], off
	global_load_ushort v18, v[8:9], off
	v_add_u32_e32 v16, 4, v16
	v_cmp_le_i32_e32 vcc, s11, v16
	v_lshl_add_u64 v[10:11], v[10:11], 0, s[22:23]
	v_lshl_add_u64 v[8:9], v[8:9], 0, s[24:25]
	s_or_b64 s[30:31], vcc, s[30:31]
	s_waitcnt vmcnt(0)
	v_mul_f16_e32 v17, v17, v18
	v_cvt_f32_f16_e32 v17, v17
	v_add_f32_e32 v15, v15, v17
	s_andn2_b64 exec, exec, s[30:31]
	s_cbranch_execnz .LBB230_26
; %bb.27:                               ;   in Loop: Header=BB230_16 Depth=1
	s_or_b64 exec, exec, s[30:31]
.LBB230_28:                             ;   in Loop: Header=BB230_16 Depth=1
	s_or_b64 exec, exec, s[28:29]
	ds_write_b32 v14, v15
	s_waitcnt lgkmcnt(0)
	s_barrier
	s_and_saveexec_b64 s[28:29], s[4:5]
	s_cbranch_execz .LBB230_30
; %bb.29:                               ;   in Loop: Header=BB230_16 Depth=1
	ds_read2_b32 v[8:9], v14 offset1:2
	s_waitcnt lgkmcnt(0)
	v_add_f32_e32 v8, v9, v8
	ds_write_b32 v14, v8
.LBB230_30:                             ;   in Loop: Header=BB230_16 Depth=1
	s_or_b64 exec, exec, s[28:29]
	s_waitcnt lgkmcnt(0)
	s_barrier
	s_and_saveexec_b64 s[28:29], s[2:3]
	s_cbranch_execz .LBB230_32
; %bb.31:                               ;   in Loop: Header=BB230_16 Depth=1
	ds_read2_b32 v[8:9], v14 offset1:1
	s_waitcnt lgkmcnt(0)
	v_add_f32_e32 v8, v9, v8
	ds_write_b32 v14, v8
.LBB230_32:                             ;   in Loop: Header=BB230_16 Depth=1
	s_or_b64 exec, exec, s[28:29]
	s_waitcnt lgkmcnt(0)
	s_barrier
	s_and_saveexec_b64 s[28:29], s[2:3]
	s_cbranch_execz .LBB230_15
; %bb.33:                               ;   in Loop: Header=BB230_16 Depth=1
	v_lshl_add_u64 v[8:9], v[0:1], 2, s[20:21]
	global_load_dword v10, v[8:9], off
	ds_read_b32 v11, v13
	s_waitcnt vmcnt(0) lgkmcnt(0)
	v_pk_mul_f32 v[10:11], s[16:17], v[10:11]
	s_nop 0
	v_add_f32_e32 v10, v10, v11
	global_store_dword v[8:9], v10, off
	s_branch .LBB230_15
.LBB230_34:
	s_endpgm
	.section	.rodata,"a",@progbits
	.p2align	6, 0x0
	.amdhsa_kernel _ZN9rocsparseL16sddmm_csx_kernelILi512ELi4EL20rocsparse_direction_0EfliDF16_DF16_fEEv20rocsparse_operation_S2_16rocsparse_order_S3_T4_S4_S4_T3_NS_24const_host_device_scalarIT2_EEPKT5_lPKT6_lS8_PT7_PKS5_PKS4_21rocsparse_index_base_b
		.amdhsa_group_segment_fixed_size 2048
		.amdhsa_private_segment_fixed_size 0
		.amdhsa_kernarg_size 120
		.amdhsa_user_sgpr_count 2
		.amdhsa_user_sgpr_dispatch_ptr 0
		.amdhsa_user_sgpr_queue_ptr 0
		.amdhsa_user_sgpr_kernarg_segment_ptr 1
		.amdhsa_user_sgpr_dispatch_id 0
		.amdhsa_user_sgpr_kernarg_preload_length 0
		.amdhsa_user_sgpr_kernarg_preload_offset 0
		.amdhsa_user_sgpr_private_segment_size 0
		.amdhsa_uses_dynamic_stack 0
		.amdhsa_enable_private_segment 0
		.amdhsa_system_sgpr_workgroup_id_x 1
		.amdhsa_system_sgpr_workgroup_id_y 0
		.amdhsa_system_sgpr_workgroup_id_z 0
		.amdhsa_system_sgpr_workgroup_info 0
		.amdhsa_system_vgpr_workitem_id 0
		.amdhsa_next_free_vgpr 19
		.amdhsa_next_free_sgpr 32
		.amdhsa_accum_offset 20
		.amdhsa_reserve_vcc 1
		.amdhsa_float_round_mode_32 0
		.amdhsa_float_round_mode_16_64 0
		.amdhsa_float_denorm_mode_32 3
		.amdhsa_float_denorm_mode_16_64 3
		.amdhsa_dx10_clamp 1
		.amdhsa_ieee_mode 1
		.amdhsa_fp16_overflow 0
		.amdhsa_tg_split 0
		.amdhsa_exception_fp_ieee_invalid_op 0
		.amdhsa_exception_fp_denorm_src 0
		.amdhsa_exception_fp_ieee_div_zero 0
		.amdhsa_exception_fp_ieee_overflow 0
		.amdhsa_exception_fp_ieee_underflow 0
		.amdhsa_exception_fp_ieee_inexact 0
		.amdhsa_exception_int_div_zero 0
	.end_amdhsa_kernel
	.section	.text._ZN9rocsparseL16sddmm_csx_kernelILi512ELi4EL20rocsparse_direction_0EfliDF16_DF16_fEEv20rocsparse_operation_S2_16rocsparse_order_S3_T4_S4_S4_T3_NS_24const_host_device_scalarIT2_EEPKT5_lPKT6_lS8_PT7_PKS5_PKS4_21rocsparse_index_base_b,"axG",@progbits,_ZN9rocsparseL16sddmm_csx_kernelILi512ELi4EL20rocsparse_direction_0EfliDF16_DF16_fEEv20rocsparse_operation_S2_16rocsparse_order_S3_T4_S4_S4_T3_NS_24const_host_device_scalarIT2_EEPKT5_lPKT6_lS8_PT7_PKS5_PKS4_21rocsparse_index_base_b,comdat
.Lfunc_end230:
	.size	_ZN9rocsparseL16sddmm_csx_kernelILi512ELi4EL20rocsparse_direction_0EfliDF16_DF16_fEEv20rocsparse_operation_S2_16rocsparse_order_S3_T4_S4_S4_T3_NS_24const_host_device_scalarIT2_EEPKT5_lPKT6_lS8_PT7_PKS5_PKS4_21rocsparse_index_base_b, .Lfunc_end230-_ZN9rocsparseL16sddmm_csx_kernelILi512ELi4EL20rocsparse_direction_0EfliDF16_DF16_fEEv20rocsparse_operation_S2_16rocsparse_order_S3_T4_S4_S4_T3_NS_24const_host_device_scalarIT2_EEPKT5_lPKT6_lS8_PT7_PKS5_PKS4_21rocsparse_index_base_b
                                        ; -- End function
	.set _ZN9rocsparseL16sddmm_csx_kernelILi512ELi4EL20rocsparse_direction_0EfliDF16_DF16_fEEv20rocsparse_operation_S2_16rocsparse_order_S3_T4_S4_S4_T3_NS_24const_host_device_scalarIT2_EEPKT5_lPKT6_lS8_PT7_PKS5_PKS4_21rocsparse_index_base_b.num_vgpr, 19
	.set _ZN9rocsparseL16sddmm_csx_kernelILi512ELi4EL20rocsparse_direction_0EfliDF16_DF16_fEEv20rocsparse_operation_S2_16rocsparse_order_S3_T4_S4_S4_T3_NS_24const_host_device_scalarIT2_EEPKT5_lPKT6_lS8_PT7_PKS5_PKS4_21rocsparse_index_base_b.num_agpr, 0
	.set _ZN9rocsparseL16sddmm_csx_kernelILi512ELi4EL20rocsparse_direction_0EfliDF16_DF16_fEEv20rocsparse_operation_S2_16rocsparse_order_S3_T4_S4_S4_T3_NS_24const_host_device_scalarIT2_EEPKT5_lPKT6_lS8_PT7_PKS5_PKS4_21rocsparse_index_base_b.numbered_sgpr, 32
	.set _ZN9rocsparseL16sddmm_csx_kernelILi512ELi4EL20rocsparse_direction_0EfliDF16_DF16_fEEv20rocsparse_operation_S2_16rocsparse_order_S3_T4_S4_S4_T3_NS_24const_host_device_scalarIT2_EEPKT5_lPKT6_lS8_PT7_PKS5_PKS4_21rocsparse_index_base_b.num_named_barrier, 0
	.set _ZN9rocsparseL16sddmm_csx_kernelILi512ELi4EL20rocsparse_direction_0EfliDF16_DF16_fEEv20rocsparse_operation_S2_16rocsparse_order_S3_T4_S4_S4_T3_NS_24const_host_device_scalarIT2_EEPKT5_lPKT6_lS8_PT7_PKS5_PKS4_21rocsparse_index_base_b.private_seg_size, 0
	.set _ZN9rocsparseL16sddmm_csx_kernelILi512ELi4EL20rocsparse_direction_0EfliDF16_DF16_fEEv20rocsparse_operation_S2_16rocsparse_order_S3_T4_S4_S4_T3_NS_24const_host_device_scalarIT2_EEPKT5_lPKT6_lS8_PT7_PKS5_PKS4_21rocsparse_index_base_b.uses_vcc, 1
	.set _ZN9rocsparseL16sddmm_csx_kernelILi512ELi4EL20rocsparse_direction_0EfliDF16_DF16_fEEv20rocsparse_operation_S2_16rocsparse_order_S3_T4_S4_S4_T3_NS_24const_host_device_scalarIT2_EEPKT5_lPKT6_lS8_PT7_PKS5_PKS4_21rocsparse_index_base_b.uses_flat_scratch, 0
	.set _ZN9rocsparseL16sddmm_csx_kernelILi512ELi4EL20rocsparse_direction_0EfliDF16_DF16_fEEv20rocsparse_operation_S2_16rocsparse_order_S3_T4_S4_S4_T3_NS_24const_host_device_scalarIT2_EEPKT5_lPKT6_lS8_PT7_PKS5_PKS4_21rocsparse_index_base_b.has_dyn_sized_stack, 0
	.set _ZN9rocsparseL16sddmm_csx_kernelILi512ELi4EL20rocsparse_direction_0EfliDF16_DF16_fEEv20rocsparse_operation_S2_16rocsparse_order_S3_T4_S4_S4_T3_NS_24const_host_device_scalarIT2_EEPKT5_lPKT6_lS8_PT7_PKS5_PKS4_21rocsparse_index_base_b.has_recursion, 0
	.set _ZN9rocsparseL16sddmm_csx_kernelILi512ELi4EL20rocsparse_direction_0EfliDF16_DF16_fEEv20rocsparse_operation_S2_16rocsparse_order_S3_T4_S4_S4_T3_NS_24const_host_device_scalarIT2_EEPKT5_lPKT6_lS8_PT7_PKS5_PKS4_21rocsparse_index_base_b.has_indirect_call, 0
	.section	.AMDGPU.csdata,"",@progbits
; Kernel info:
; codeLenInByte = 1088
; TotalNumSgprs: 38
; NumVgprs: 19
; NumAgprs: 0
; TotalNumVgprs: 19
; ScratchSize: 0
; MemoryBound: 0
; FloatMode: 240
; IeeeMode: 1
; LDSByteSize: 2048 bytes/workgroup (compile time only)
; SGPRBlocks: 4
; VGPRBlocks: 2
; NumSGPRsForWavesPerEU: 38
; NumVGPRsForWavesPerEU: 19
; AccumOffset: 20
; Occupancy: 8
; WaveLimiterHint : 0
; COMPUTE_PGM_RSRC2:SCRATCH_EN: 0
; COMPUTE_PGM_RSRC2:USER_SGPR: 2
; COMPUTE_PGM_RSRC2:TRAP_HANDLER: 0
; COMPUTE_PGM_RSRC2:TGID_X_EN: 1
; COMPUTE_PGM_RSRC2:TGID_Y_EN: 0
; COMPUTE_PGM_RSRC2:TGID_Z_EN: 0
; COMPUTE_PGM_RSRC2:TIDIG_COMP_CNT: 0
; COMPUTE_PGM_RSRC3_GFX90A:ACCUM_OFFSET: 4
; COMPUTE_PGM_RSRC3_GFX90A:TG_SPLIT: 0
	.section	.text._ZN9rocsparseL16sddmm_csx_kernelILi512ELi2EL20rocsparse_direction_0EfliDF16_DF16_fEEv20rocsparse_operation_S2_16rocsparse_order_S3_T4_S4_S4_T3_NS_24const_host_device_scalarIT2_EEPKT5_lPKT6_lS8_PT7_PKS5_PKS4_21rocsparse_index_base_b,"axG",@progbits,_ZN9rocsparseL16sddmm_csx_kernelILi512ELi2EL20rocsparse_direction_0EfliDF16_DF16_fEEv20rocsparse_operation_S2_16rocsparse_order_S3_T4_S4_S4_T3_NS_24const_host_device_scalarIT2_EEPKT5_lPKT6_lS8_PT7_PKS5_PKS4_21rocsparse_index_base_b,comdat
	.globl	_ZN9rocsparseL16sddmm_csx_kernelILi512ELi2EL20rocsparse_direction_0EfliDF16_DF16_fEEv20rocsparse_operation_S2_16rocsparse_order_S3_T4_S4_S4_T3_NS_24const_host_device_scalarIT2_EEPKT5_lPKT6_lS8_PT7_PKS5_PKS4_21rocsparse_index_base_b ; -- Begin function _ZN9rocsparseL16sddmm_csx_kernelILi512ELi2EL20rocsparse_direction_0EfliDF16_DF16_fEEv20rocsparse_operation_S2_16rocsparse_order_S3_T4_S4_S4_T3_NS_24const_host_device_scalarIT2_EEPKT5_lPKT6_lS8_PT7_PKS5_PKS4_21rocsparse_index_base_b
	.p2align	8
	.type	_ZN9rocsparseL16sddmm_csx_kernelILi512ELi2EL20rocsparse_direction_0EfliDF16_DF16_fEEv20rocsparse_operation_S2_16rocsparse_order_S3_T4_S4_S4_T3_NS_24const_host_device_scalarIT2_EEPKT5_lPKT6_lS8_PT7_PKS5_PKS4_21rocsparse_index_base_b,@function
_ZN9rocsparseL16sddmm_csx_kernelILi512ELi2EL20rocsparse_direction_0EfliDF16_DF16_fEEv20rocsparse_operation_S2_16rocsparse_order_S3_T4_S4_S4_T3_NS_24const_host_device_scalarIT2_EEPKT5_lPKT6_lS8_PT7_PKS5_PKS4_21rocsparse_index_base_b: ; @_ZN9rocsparseL16sddmm_csx_kernelILi512ELi2EL20rocsparse_direction_0EfliDF16_DF16_fEEv20rocsparse_operation_S2_16rocsparse_order_S3_T4_S4_S4_T3_NS_24const_host_device_scalarIT2_EEPKT5_lPKT6_lS8_PT7_PKS5_PKS4_21rocsparse_index_base_b
; %bb.0:
	s_load_dwordx2 s[12:13], s[0:1], 0x70
	s_load_dwordx2 s[6:7], s[0:1], 0x28
	s_load_dwordx4 s[8:11], s[0:1], 0x48
	s_waitcnt lgkmcnt(0)
	s_bitcmp1_b32 s13, 0
	s_cselect_b64 s[14:15], -1, 0
	s_xor_b64 s[4:5], s[14:15], -1
	s_and_b64 vcc, exec, s[14:15]
	s_mov_b32 s15, s6
	s_cbranch_vccnz .LBB231_2
; %bb.1:
	s_load_dword s15, s[6:7], 0x0
.LBB231_2:
	s_andn2_b64 vcc, exec, s[4:5]
	s_mov_b32 s14, s10
	s_cbranch_vccnz .LBB231_4
; %bb.3:
	s_load_dword s14, s[10:11], 0x0
.LBB231_4:
	s_waitcnt lgkmcnt(0)
	v_cmp_eq_f32_e64 s[4:5], s15, 0
	v_cmp_eq_f32_e64 s[6:7], s14, 1.0
	s_and_b64 s[4:5], s[4:5], s[6:7]
	s_and_b64 vcc, exec, s[4:5]
	s_cbranch_vccnz .LBB231_32
; %bb.5:
	s_load_dword s4, s[0:1], 0x10
	v_lshrrev_b32_e32 v8, 1, v0
	v_lshl_or_b32 v2, s2, 8, v8
	v_mov_b32_e32 v3, 0
	s_waitcnt lgkmcnt(0)
	s_ashr_i32 s5, s4, 31
	v_cmp_gt_i64_e32 vcc, s[4:5], v[2:3]
	s_and_saveexec_b64 s[2:3], vcc
	s_cbranch_execz .LBB231_32
; %bb.6:
	s_load_dwordx4 s[4:7], s[0:1], 0x0
	s_load_dwordx2 s[10:11], s[0:1], 0x60
	s_load_dwordx2 s[2:3], s[0:1], 0x38
	s_waitcnt lgkmcnt(0)
	s_cmp_eq_u32 s6, 1
	s_cselect_b64 s[16:17], -1, 0
	s_cmpk_eq_i32 s4, 0x6f
	s_cselect_b64 s[18:19], -1, 0
	s_cmpk_lg_i32 s4, 0x6f
	s_cselect_b64 s[20:21], -1, 0
	s_cmp_lg_u32 s6, 1
	s_cbranch_scc0 .LBB231_10
; %bb.7:
	s_andn2_b64 vcc, exec, s[18:19]
	v_mov_b64_e32 v[6:7], v[2:3]
	s_cbranch_vccnz .LBB231_9
; %bb.8:
	v_mad_u64_u32 v[6:7], s[22:23], s2, v2, 0
	v_mov_b32_e32 v4, v7
	v_mad_u64_u32 v[4:5], s[22:23], s3, v2, v[4:5]
	v_mov_b32_e32 v7, v4
.LBB231_9:
	s_cbranch_execz .LBB231_11
	s_branch .LBB231_13
.LBB231_10:
                                        ; implicit-def: $vgpr6_vgpr7
.LBB231_11:
	s_andn2_b64 vcc, exec, s[20:21]
	v_mov_b64_e32 v[6:7], v[2:3]
	s_cbranch_vccnz .LBB231_13
; %bb.12:
	v_mad_u64_u32 v[6:7], s[20:21], s2, v2, 0
	v_mov_b32_e32 v4, v7
	v_mad_u64_u32 v[4:5], s[20:21], s3, v2, v[4:5]
	v_mov_b32_e32 v7, v4
.LBB231_13:
	v_lshl_add_u64 v[2:3], v[2:3], 3, s[10:11]
	global_load_dwordx4 v[2:5], v[2:3], off
	s_waitcnt vmcnt(0)
	v_cmp_lt_i64_e32 vcc, v[2:3], v[4:5]
	s_and_b64 exec, exec, vcc
	s_cbranch_execz .LBB231_32
; %bb.14:
	s_xor_b64 s[16:17], s[18:19], s[16:17]
	s_and_b64 s[16:17], s[16:17], exec
	s_cselect_b32 s21, 0, s3
	s_cselect_b32 s20, 1, s2
	s_cmp_lg_u32 s7, 1
	s_cselect_b64 s[16:17], -1, 0
	s_cmp_eq_u32 s7, 1
	s_cselect_b64 s[2:3], -1, 0
	s_cmpk_eq_i32 s5, 0x6f
	s_cselect_b64 s[6:7], -1, 0
	s_cmpk_lg_i32 s5, 0x6f
	v_and_b32_e32 v12, 1, v0
	s_load_dwordx2 s[22:23], s[0:1], 0x40
	s_load_dwordx2 s[18:19], s[0:1], 0x58
	;; [unrolled: 1-line block ×3, first 2 shown]
	s_load_dword s13, s[0:1], 0x18
	v_subrev_co_u32_e32 v0, vcc, s12, v2
	s_load_dwordx2 s[10:11], s[0:1], 0x68
	s_cselect_b64 s[4:5], -1, 0
	s_xor_b64 s[2:3], s[6:7], s[2:3]
	v_subbrev_co_u32_e32 v1, vcc, 0, v3, vcc
	s_and_b64 s[2:3], s[2:3], exec
	v_subrev_co_u32_e32 v2, vcc, s12, v4
	v_cndmask_b32_e64 v9, 0, 1, s[6:7]
	s_cselect_b32 s7, s9, 0
	s_cselect_b32 s6, s8, 1
	v_subbrev_co_u32_e32 v3, vcc, 0, v5, vcc
	v_mul_lo_u32 v5, s21, v12
	v_mul_lo_u32 v4, s20, v12
	v_lshlrev_b64 v[6:7], 1, v[6:7]
	v_lshlrev_b32_e32 v13, 3, v8
	v_lshl_add_u64 v[4:5], v[4:5], 1, v[6:7]
	v_mul_lo_u32 v7, s7, v12
	v_mul_lo_u32 v6, s6, v12
	v_cndmask_b32_e64 v8, 0, 1, s[4:5]
	s_waitcnt lgkmcnt(0)
	v_cmp_gt_i32_e64 s[0:1], s13, v12
	v_lshl_or_b32 v14, v12, 2, v13
	v_cmp_eq_u32_e64 s[2:3], 0, v12
	v_lshl_add_u64 v[4:5], s[24:25], 0, v[4:5]
	s_lshl_b64 s[20:21], s[20:21], 2
	v_lshl_add_u64 v[6:7], v[6:7], 1, s[22:23]
	s_lshl_b64 s[22:23], s[6:7], 2
	s_mov_b64 s[24:25], 0
	v_cmp_ne_u32_e64 s[4:5], 1, v8
	v_cmp_ne_u32_e64 s[6:7], 1, v9
	s_branch .LBB231_16
.LBB231_15:                             ;   in Loop: Header=BB231_16 Depth=1
	s_or_b64 exec, exec, s[26:27]
	v_lshl_add_u64 v[0:1], v[0:1], 0, 1
	v_cmp_ge_i64_e32 vcc, v[0:1], v[2:3]
	s_or_b64 s[24:25], vcc, s[24:25]
	s_andn2_b64 exec, exec, s[24:25]
	s_cbranch_execz .LBB231_32
.LBB231_16:                             ; =>This Loop Header: Depth=1
                                        ;     Child Loop BB231_26 Depth 2
	v_lshl_add_u64 v[8:9], v[0:1], 2, s[10:11]
	global_load_dword v8, v[8:9], off
	s_mov_b64 s[26:27], -1
	s_and_b64 vcc, exec, s[16:17]
                                        ; implicit-def: $vgpr10_vgpr11
	s_waitcnt vmcnt(0)
	v_subrev_u32_e32 v8, s12, v8
	v_ashrrev_i32_e32 v9, 31, v8
	s_cbranch_vccnz .LBB231_19
; %bb.17:                               ;   in Loop: Header=BB231_16 Depth=1
	s_andn2_b64 vcc, exec, s[26:27]
	s_cbranch_vccz .LBB231_22
.LBB231_18:                             ;   in Loop: Header=BB231_16 Depth=1
	v_mov_b32_e32 v15, 0
	s_and_saveexec_b64 s[26:27], s[0:1]
	s_cbranch_execnz .LBB231_25
	s_branch .LBB231_28
.LBB231_19:                             ;   in Loop: Header=BB231_16 Depth=1
	s_and_b64 vcc, exec, s[4:5]
	v_mov_b64_e32 v[10:11], v[8:9]
	s_cbranch_vccnz .LBB231_21
; %bb.20:                               ;   in Loop: Header=BB231_16 Depth=1
	v_mul_lo_u32 v15, s9, v8
	v_mul_lo_u32 v16, s8, v9
	v_mad_u64_u32 v[10:11], s[26:27], s8, v8, 0
	v_add3_u32 v11, v11, v16, v15
.LBB231_21:                             ;   in Loop: Header=BB231_16 Depth=1
	s_cbranch_execnz .LBB231_18
.LBB231_22:                             ;   in Loop: Header=BB231_16 Depth=1
	s_and_b64 vcc, exec, s[6:7]
	s_cbranch_vccnz .LBB231_24
; %bb.23:                               ;   in Loop: Header=BB231_16 Depth=1
	v_mul_lo_u32 v10, s9, v8
	v_mul_lo_u32 v11, s8, v9
	v_mad_u64_u32 v[8:9], s[26:27], s8, v8, 0
	v_add3_u32 v9, v9, v11, v10
.LBB231_24:                             ;   in Loop: Header=BB231_16 Depth=1
	v_mov_b64_e32 v[10:11], v[8:9]
	v_mov_b32_e32 v15, 0
	s_and_saveexec_b64 s[26:27], s[0:1]
	s_cbranch_execz .LBB231_28
.LBB231_25:                             ;   in Loop: Header=BB231_16 Depth=1
	v_lshl_add_u64 v[8:9], v[10:11], 1, v[6:7]
	v_mov_b32_e32 v15, 0
	s_mov_b64 s[28:29], 0
	v_mov_b64_e32 v[10:11], v[4:5]
	v_mov_b32_e32 v16, v12
.LBB231_26:                             ;   Parent Loop BB231_16 Depth=1
                                        ; =>  This Inner Loop Header: Depth=2
	global_load_ushort v17, v[10:11], off
	global_load_ushort v18, v[8:9], off
	v_add_u32_e32 v16, 2, v16
	v_cmp_le_i32_e32 vcc, s13, v16
	v_lshl_add_u64 v[10:11], v[10:11], 0, s[20:21]
	v_lshl_add_u64 v[8:9], v[8:9], 0, s[22:23]
	s_or_b64 s[28:29], vcc, s[28:29]
	s_waitcnt vmcnt(0)
	v_mul_f16_e32 v17, v17, v18
	v_cvt_f32_f16_e32 v17, v17
	v_add_f32_e32 v15, v15, v17
	s_andn2_b64 exec, exec, s[28:29]
	s_cbranch_execnz .LBB231_26
; %bb.27:                               ;   in Loop: Header=BB231_16 Depth=1
	s_or_b64 exec, exec, s[28:29]
.LBB231_28:                             ;   in Loop: Header=BB231_16 Depth=1
	s_or_b64 exec, exec, s[26:27]
	ds_write_b32 v14, v15
	s_waitcnt lgkmcnt(0)
	s_barrier
	s_and_saveexec_b64 s[26:27], s[2:3]
	s_cbranch_execz .LBB231_30
; %bb.29:                               ;   in Loop: Header=BB231_16 Depth=1
	ds_read_b32 v8, v13 offset:4
	ds_read_b32 v9, v14
	s_waitcnt lgkmcnt(0)
	v_add_f32_e32 v8, v8, v9
	ds_write_b32 v14, v8
.LBB231_30:                             ;   in Loop: Header=BB231_16 Depth=1
	s_or_b64 exec, exec, s[26:27]
	s_waitcnt lgkmcnt(0)
	s_barrier
	s_and_saveexec_b64 s[26:27], s[2:3]
	s_cbranch_execz .LBB231_15
; %bb.31:                               ;   in Loop: Header=BB231_16 Depth=1
	v_lshl_add_u64 v[8:9], v[0:1], 2, s[18:19]
	global_load_dword v10, v[8:9], off
	ds_read_b32 v11, v13
	s_waitcnt vmcnt(0) lgkmcnt(0)
	v_pk_mul_f32 v[10:11], s[14:15], v[10:11]
	s_nop 0
	v_add_f32_e32 v10, v10, v11
	global_store_dword v[8:9], v10, off
	s_branch .LBB231_15
.LBB231_32:
	s_endpgm
	.section	.rodata,"a",@progbits
	.p2align	6, 0x0
	.amdhsa_kernel _ZN9rocsparseL16sddmm_csx_kernelILi512ELi2EL20rocsparse_direction_0EfliDF16_DF16_fEEv20rocsparse_operation_S2_16rocsparse_order_S3_T4_S4_S4_T3_NS_24const_host_device_scalarIT2_EEPKT5_lPKT6_lS8_PT7_PKS5_PKS4_21rocsparse_index_base_b
		.amdhsa_group_segment_fixed_size 2048
		.amdhsa_private_segment_fixed_size 0
		.amdhsa_kernarg_size 120
		.amdhsa_user_sgpr_count 2
		.amdhsa_user_sgpr_dispatch_ptr 0
		.amdhsa_user_sgpr_queue_ptr 0
		.amdhsa_user_sgpr_kernarg_segment_ptr 1
		.amdhsa_user_sgpr_dispatch_id 0
		.amdhsa_user_sgpr_kernarg_preload_length 0
		.amdhsa_user_sgpr_kernarg_preload_offset 0
		.amdhsa_user_sgpr_private_segment_size 0
		.amdhsa_uses_dynamic_stack 0
		.amdhsa_enable_private_segment 0
		.amdhsa_system_sgpr_workgroup_id_x 1
		.amdhsa_system_sgpr_workgroup_id_y 0
		.amdhsa_system_sgpr_workgroup_id_z 0
		.amdhsa_system_sgpr_workgroup_info 0
		.amdhsa_system_vgpr_workitem_id 0
		.amdhsa_next_free_vgpr 19
		.amdhsa_next_free_sgpr 30
		.amdhsa_accum_offset 20
		.amdhsa_reserve_vcc 1
		.amdhsa_float_round_mode_32 0
		.amdhsa_float_round_mode_16_64 0
		.amdhsa_float_denorm_mode_32 3
		.amdhsa_float_denorm_mode_16_64 3
		.amdhsa_dx10_clamp 1
		.amdhsa_ieee_mode 1
		.amdhsa_fp16_overflow 0
		.amdhsa_tg_split 0
		.amdhsa_exception_fp_ieee_invalid_op 0
		.amdhsa_exception_fp_denorm_src 0
		.amdhsa_exception_fp_ieee_div_zero 0
		.amdhsa_exception_fp_ieee_overflow 0
		.amdhsa_exception_fp_ieee_underflow 0
		.amdhsa_exception_fp_ieee_inexact 0
		.amdhsa_exception_int_div_zero 0
	.end_amdhsa_kernel
	.section	.text._ZN9rocsparseL16sddmm_csx_kernelILi512ELi2EL20rocsparse_direction_0EfliDF16_DF16_fEEv20rocsparse_operation_S2_16rocsparse_order_S3_T4_S4_S4_T3_NS_24const_host_device_scalarIT2_EEPKT5_lPKT6_lS8_PT7_PKS5_PKS4_21rocsparse_index_base_b,"axG",@progbits,_ZN9rocsparseL16sddmm_csx_kernelILi512ELi2EL20rocsparse_direction_0EfliDF16_DF16_fEEv20rocsparse_operation_S2_16rocsparse_order_S3_T4_S4_S4_T3_NS_24const_host_device_scalarIT2_EEPKT5_lPKT6_lS8_PT7_PKS5_PKS4_21rocsparse_index_base_b,comdat
.Lfunc_end231:
	.size	_ZN9rocsparseL16sddmm_csx_kernelILi512ELi2EL20rocsparse_direction_0EfliDF16_DF16_fEEv20rocsparse_operation_S2_16rocsparse_order_S3_T4_S4_S4_T3_NS_24const_host_device_scalarIT2_EEPKT5_lPKT6_lS8_PT7_PKS5_PKS4_21rocsparse_index_base_b, .Lfunc_end231-_ZN9rocsparseL16sddmm_csx_kernelILi512ELi2EL20rocsparse_direction_0EfliDF16_DF16_fEEv20rocsparse_operation_S2_16rocsparse_order_S3_T4_S4_S4_T3_NS_24const_host_device_scalarIT2_EEPKT5_lPKT6_lS8_PT7_PKS5_PKS4_21rocsparse_index_base_b
                                        ; -- End function
	.set _ZN9rocsparseL16sddmm_csx_kernelILi512ELi2EL20rocsparse_direction_0EfliDF16_DF16_fEEv20rocsparse_operation_S2_16rocsparse_order_S3_T4_S4_S4_T3_NS_24const_host_device_scalarIT2_EEPKT5_lPKT6_lS8_PT7_PKS5_PKS4_21rocsparse_index_base_b.num_vgpr, 19
	.set _ZN9rocsparseL16sddmm_csx_kernelILi512ELi2EL20rocsparse_direction_0EfliDF16_DF16_fEEv20rocsparse_operation_S2_16rocsparse_order_S3_T4_S4_S4_T3_NS_24const_host_device_scalarIT2_EEPKT5_lPKT6_lS8_PT7_PKS5_PKS4_21rocsparse_index_base_b.num_agpr, 0
	.set _ZN9rocsparseL16sddmm_csx_kernelILi512ELi2EL20rocsparse_direction_0EfliDF16_DF16_fEEv20rocsparse_operation_S2_16rocsparse_order_S3_T4_S4_S4_T3_NS_24const_host_device_scalarIT2_EEPKT5_lPKT6_lS8_PT7_PKS5_PKS4_21rocsparse_index_base_b.numbered_sgpr, 30
	.set _ZN9rocsparseL16sddmm_csx_kernelILi512ELi2EL20rocsparse_direction_0EfliDF16_DF16_fEEv20rocsparse_operation_S2_16rocsparse_order_S3_T4_S4_S4_T3_NS_24const_host_device_scalarIT2_EEPKT5_lPKT6_lS8_PT7_PKS5_PKS4_21rocsparse_index_base_b.num_named_barrier, 0
	.set _ZN9rocsparseL16sddmm_csx_kernelILi512ELi2EL20rocsparse_direction_0EfliDF16_DF16_fEEv20rocsparse_operation_S2_16rocsparse_order_S3_T4_S4_S4_T3_NS_24const_host_device_scalarIT2_EEPKT5_lPKT6_lS8_PT7_PKS5_PKS4_21rocsparse_index_base_b.private_seg_size, 0
	.set _ZN9rocsparseL16sddmm_csx_kernelILi512ELi2EL20rocsparse_direction_0EfliDF16_DF16_fEEv20rocsparse_operation_S2_16rocsparse_order_S3_T4_S4_S4_T3_NS_24const_host_device_scalarIT2_EEPKT5_lPKT6_lS8_PT7_PKS5_PKS4_21rocsparse_index_base_b.uses_vcc, 1
	.set _ZN9rocsparseL16sddmm_csx_kernelILi512ELi2EL20rocsparse_direction_0EfliDF16_DF16_fEEv20rocsparse_operation_S2_16rocsparse_order_S3_T4_S4_S4_T3_NS_24const_host_device_scalarIT2_EEPKT5_lPKT6_lS8_PT7_PKS5_PKS4_21rocsparse_index_base_b.uses_flat_scratch, 0
	.set _ZN9rocsparseL16sddmm_csx_kernelILi512ELi2EL20rocsparse_direction_0EfliDF16_DF16_fEEv20rocsparse_operation_S2_16rocsparse_order_S3_T4_S4_S4_T3_NS_24const_host_device_scalarIT2_EEPKT5_lPKT6_lS8_PT7_PKS5_PKS4_21rocsparse_index_base_b.has_dyn_sized_stack, 0
	.set _ZN9rocsparseL16sddmm_csx_kernelILi512ELi2EL20rocsparse_direction_0EfliDF16_DF16_fEEv20rocsparse_operation_S2_16rocsparse_order_S3_T4_S4_S4_T3_NS_24const_host_device_scalarIT2_EEPKT5_lPKT6_lS8_PT7_PKS5_PKS4_21rocsparse_index_base_b.has_recursion, 0
	.set _ZN9rocsparseL16sddmm_csx_kernelILi512ELi2EL20rocsparse_direction_0EfliDF16_DF16_fEEv20rocsparse_operation_S2_16rocsparse_order_S3_T4_S4_S4_T3_NS_24const_host_device_scalarIT2_EEPKT5_lPKT6_lS8_PT7_PKS5_PKS4_21rocsparse_index_base_b.has_indirect_call, 0
	.section	.AMDGPU.csdata,"",@progbits
; Kernel info:
; codeLenInByte = 1028
; TotalNumSgprs: 36
; NumVgprs: 19
; NumAgprs: 0
; TotalNumVgprs: 19
; ScratchSize: 0
; MemoryBound: 0
; FloatMode: 240
; IeeeMode: 1
; LDSByteSize: 2048 bytes/workgroup (compile time only)
; SGPRBlocks: 4
; VGPRBlocks: 2
; NumSGPRsForWavesPerEU: 36
; NumVGPRsForWavesPerEU: 19
; AccumOffset: 20
; Occupancy: 8
; WaveLimiterHint : 0
; COMPUTE_PGM_RSRC2:SCRATCH_EN: 0
; COMPUTE_PGM_RSRC2:USER_SGPR: 2
; COMPUTE_PGM_RSRC2:TRAP_HANDLER: 0
; COMPUTE_PGM_RSRC2:TGID_X_EN: 1
; COMPUTE_PGM_RSRC2:TGID_Y_EN: 0
; COMPUTE_PGM_RSRC2:TGID_Z_EN: 0
; COMPUTE_PGM_RSRC2:TIDIG_COMP_CNT: 0
; COMPUTE_PGM_RSRC3_GFX90A:ACCUM_OFFSET: 4
; COMPUTE_PGM_RSRC3_GFX90A:TG_SPLIT: 0
	.section	.text._ZN9rocsparseL16sddmm_csx_kernelILi512ELi1EL20rocsparse_direction_0EfliDF16_DF16_fEEv20rocsparse_operation_S2_16rocsparse_order_S3_T4_S4_S4_T3_NS_24const_host_device_scalarIT2_EEPKT5_lPKT6_lS8_PT7_PKS5_PKS4_21rocsparse_index_base_b,"axG",@progbits,_ZN9rocsparseL16sddmm_csx_kernelILi512ELi1EL20rocsparse_direction_0EfliDF16_DF16_fEEv20rocsparse_operation_S2_16rocsparse_order_S3_T4_S4_S4_T3_NS_24const_host_device_scalarIT2_EEPKT5_lPKT6_lS8_PT7_PKS5_PKS4_21rocsparse_index_base_b,comdat
	.globl	_ZN9rocsparseL16sddmm_csx_kernelILi512ELi1EL20rocsparse_direction_0EfliDF16_DF16_fEEv20rocsparse_operation_S2_16rocsparse_order_S3_T4_S4_S4_T3_NS_24const_host_device_scalarIT2_EEPKT5_lPKT6_lS8_PT7_PKS5_PKS4_21rocsparse_index_base_b ; -- Begin function _ZN9rocsparseL16sddmm_csx_kernelILi512ELi1EL20rocsparse_direction_0EfliDF16_DF16_fEEv20rocsparse_operation_S2_16rocsparse_order_S3_T4_S4_S4_T3_NS_24const_host_device_scalarIT2_EEPKT5_lPKT6_lS8_PT7_PKS5_PKS4_21rocsparse_index_base_b
	.p2align	8
	.type	_ZN9rocsparseL16sddmm_csx_kernelILi512ELi1EL20rocsparse_direction_0EfliDF16_DF16_fEEv20rocsparse_operation_S2_16rocsparse_order_S3_T4_S4_S4_T3_NS_24const_host_device_scalarIT2_EEPKT5_lPKT6_lS8_PT7_PKS5_PKS4_21rocsparse_index_base_b,@function
_ZN9rocsparseL16sddmm_csx_kernelILi512ELi1EL20rocsparse_direction_0EfliDF16_DF16_fEEv20rocsparse_operation_S2_16rocsparse_order_S3_T4_S4_S4_T3_NS_24const_host_device_scalarIT2_EEPKT5_lPKT6_lS8_PT7_PKS5_PKS4_21rocsparse_index_base_b: ; @_ZN9rocsparseL16sddmm_csx_kernelILi512ELi1EL20rocsparse_direction_0EfliDF16_DF16_fEEv20rocsparse_operation_S2_16rocsparse_order_S3_T4_S4_S4_T3_NS_24const_host_device_scalarIT2_EEPKT5_lPKT6_lS8_PT7_PKS5_PKS4_21rocsparse_index_base_b
; %bb.0:
	s_load_dwordx2 s[12:13], s[0:1], 0x70
	s_load_dwordx2 s[6:7], s[0:1], 0x28
	s_load_dwordx4 s[8:11], s[0:1], 0x48
	s_waitcnt lgkmcnt(0)
	s_bitcmp1_b32 s13, 0
	s_cselect_b64 s[14:15], -1, 0
	s_xor_b64 s[4:5], s[14:15], -1
	s_and_b64 vcc, exec, s[14:15]
	s_mov_b32 s15, s6
	s_cbranch_vccnz .LBB232_2
; %bb.1:
	s_load_dword s15, s[6:7], 0x0
.LBB232_2:
	s_andn2_b64 vcc, exec, s[4:5]
	s_mov_b32 s14, s10
	s_cbranch_vccnz .LBB232_4
; %bb.3:
	s_load_dword s14, s[10:11], 0x0
.LBB232_4:
	s_waitcnt lgkmcnt(0)
	v_cmp_eq_f32_e64 s[4:5], s15, 0
	v_cmp_eq_f32_e64 s[6:7], s14, 1.0
	s_and_b64 s[4:5], s[4:5], s[6:7]
	s_and_b64 vcc, exec, s[4:5]
	s_cbranch_vccnz .LBB232_28
; %bb.5:
	s_load_dword s4, s[0:1], 0x10
	v_lshl_or_b32 v2, s2, 9, v0
	v_mov_b32_e32 v3, 0
	s_waitcnt lgkmcnt(0)
	s_ashr_i32 s5, s4, 31
	v_cmp_gt_i64_e32 vcc, s[4:5], v[2:3]
	s_and_saveexec_b64 s[2:3], vcc
	s_cbranch_execz .LBB232_28
; %bb.6:
	s_load_dwordx4 s[4:7], s[0:1], 0x0
	s_load_dwordx2 s[10:11], s[0:1], 0x60
	s_load_dwordx2 s[2:3], s[0:1], 0x38
	s_waitcnt lgkmcnt(0)
	s_cmp_eq_u32 s6, 1
	s_cselect_b64 s[20:21], -1, 0
	s_cmpk_eq_i32 s4, 0x6f
	s_cselect_b64 s[22:23], -1, 0
	s_cmpk_lg_i32 s4, 0x6f
	s_cselect_b64 s[16:17], -1, 0
	s_cmp_lg_u32 s6, 1
	s_cbranch_scc0 .LBB232_10
; %bb.7:
	s_andn2_b64 vcc, exec, s[22:23]
	v_mov_b64_e32 v[6:7], v[2:3]
	s_cbranch_vccnz .LBB232_9
; %bb.8:
	v_mad_u64_u32 v[6:7], s[18:19], s2, v2, 0
	v_mov_b32_e32 v4, v7
	v_mad_u64_u32 v[4:5], s[18:19], s3, v2, v[4:5]
	v_mov_b32_e32 v7, v4
.LBB232_9:
	s_cbranch_execz .LBB232_11
	s_branch .LBB232_13
.LBB232_10:
                                        ; implicit-def: $vgpr6_vgpr7
.LBB232_11:
	s_andn2_b64 vcc, exec, s[16:17]
	v_mov_b64_e32 v[6:7], v[2:3]
	s_cbranch_vccnz .LBB232_13
; %bb.12:
	v_mad_u64_u32 v[6:7], s[16:17], s2, v2, 0
	v_mov_b32_e32 v4, v7
	v_mad_u64_u32 v[4:5], s[16:17], s3, v2, v[4:5]
	v_mov_b32_e32 v7, v4
.LBB232_13:
	v_lshl_add_u64 v[2:3], v[2:3], 3, s[10:11]
	global_load_dwordx4 v[2:5], v[2:3], off
	s_waitcnt vmcnt(0)
	v_cmp_lt_i64_e32 vcc, v[2:3], v[4:5]
	s_and_b64 exec, exec, vcc
	s_cbranch_execz .LBB232_28
; %bb.14:
	s_load_dwordx2 s[24:25], s[0:1], 0x30
	s_load_dwordx2 s[10:11], s[0:1], 0x68
	;; [unrolled: 1-line block ×4, first 2 shown]
	s_load_dword s13, s[0:1], 0x18
	s_xor_b64 s[0:1], s[22:23], s[20:21]
	s_and_b64 s[0:1], s[0:1], exec
	s_cselect_b32 s1, 0, s3
	s_cselect_b32 s0, 1, s2
	s_cmp_lg_u32 s7, 1
	s_cselect_b64 s[20:21], -1, 0
	s_cmp_eq_u32 s7, 1
	s_cselect_b64 s[2:3], -1, 0
	s_cmpk_eq_i32 s5, 0x6f
	s_cselect_b64 s[6:7], -1, 0
	s_cmpk_lg_i32 s5, 0x6f
	s_cselect_b64 s[4:5], -1, 0
	s_xor_b64 s[2:3], s[6:7], s[2:3]
	s_and_b64 s[2:3], s[2:3], exec
	v_subrev_co_u32_e32 v2, vcc, s12, v2
	s_cselect_b32 s3, s9, 0
	s_cselect_b32 s2, s8, 1
	v_subbrev_co_u32_e32 v3, vcc, 0, v3, vcc
	s_waitcnt lgkmcnt(0)
	s_cmp_gt_i32 s13, 0
	s_cselect_b64 s[26:27], -1, 0
	v_lshlrev_b32_e32 v10, 2, v0
	v_subrev_co_u32_e32 v0, vcc, s12, v4
	v_cndmask_b32_e64 v4, 0, 1, s[4:5]
	v_cndmask_b32_e64 v8, 0, 1, s[6:7]
	s_lshl_b64 s[6:7], s[0:1], 1
	v_cmp_ne_u32_e64 s[0:1], 1, v4
	v_cndmask_b32_e64 v4, 0, 1, s[26:27]
	v_lshl_add_u64 v[6:7], v[6:7], 1, s[24:25]
	v_subbrev_co_u32_e32 v1, vcc, 0, v5, vcc
	s_lshl_b64 s[22:23], s[2:3], 1
	s_mov_b64 s[24:25], 0
	v_cmp_ne_u32_e64 s[2:3], 1, v8
	v_cmp_ne_u32_e64 s[4:5], 1, v4
	s_branch .LBB232_17
.LBB232_15:                             ;   in Loop: Header=BB232_17 Depth=1
	v_mov_b32_e32 v11, 0
.LBB232_16:                             ;   in Loop: Header=BB232_17 Depth=1
	v_lshl_add_u64 v[4:5], v[2:3], 2, s[18:19]
	ds_write_b32 v10, v11
	s_waitcnt lgkmcnt(0)
	s_barrier
	global_load_dword v8, v[4:5], off
	ds_read_b32 v9, v10
	v_lshl_add_u64 v[2:3], v[2:3], 0, 1
	v_cmp_ge_i64_e32 vcc, v[2:3], v[0:1]
	s_or_b64 s[24:25], vcc, s[24:25]
	s_waitcnt vmcnt(0) lgkmcnt(0)
	v_pk_mul_f32 v[8:9], s[14:15], v[8:9]
	s_nop 0
	v_add_f32_e32 v8, v8, v9
	global_store_dword v[4:5], v8, off
	s_andn2_b64 exec, exec, s[24:25]
	s_cbranch_execz .LBB232_28
.LBB232_17:                             ; =>This Loop Header: Depth=1
                                        ;     Child Loop BB232_27 Depth 2
	v_lshl_add_u64 v[4:5], v[2:3], 2, s[10:11]
	global_load_dword v4, v[4:5], off
	s_mov_b64 s[26:27], -1
	s_and_b64 vcc, exec, s[20:21]
                                        ; implicit-def: $vgpr8_vgpr9
	s_waitcnt vmcnt(0)
	v_subrev_u32_e32 v4, s12, v4
	v_ashrrev_i32_e32 v5, 31, v4
	s_cbranch_vccnz .LBB232_20
; %bb.18:                               ;   in Loop: Header=BB232_17 Depth=1
	s_andn2_b64 vcc, exec, s[26:27]
	s_cbranch_vccz .LBB232_23
.LBB232_19:                             ;   in Loop: Header=BB232_17 Depth=1
	s_and_b64 vcc, exec, s[4:5]
	s_cbranch_vccz .LBB232_26
	s_branch .LBB232_15
.LBB232_20:                             ;   in Loop: Header=BB232_17 Depth=1
	s_and_b64 vcc, exec, s[0:1]
	v_mov_b64_e32 v[8:9], v[4:5]
	s_cbranch_vccnz .LBB232_22
; %bb.21:                               ;   in Loop: Header=BB232_17 Depth=1
	v_mul_lo_u32 v11, s9, v4
	v_mul_lo_u32 v12, s8, v5
	v_mad_u64_u32 v[8:9], s[26:27], s8, v4, 0
	v_add3_u32 v9, v9, v12, v11
.LBB232_22:                             ;   in Loop: Header=BB232_17 Depth=1
	s_cbranch_execnz .LBB232_19
.LBB232_23:                             ;   in Loop: Header=BB232_17 Depth=1
	s_and_b64 vcc, exec, s[2:3]
	s_cbranch_vccnz .LBB232_25
; %bb.24:                               ;   in Loop: Header=BB232_17 Depth=1
	v_mul_lo_u32 v8, s9, v4
	v_mul_lo_u32 v9, s8, v5
	v_mad_u64_u32 v[4:5], s[26:27], s8, v4, 0
	v_add3_u32 v5, v5, v9, v8
.LBB232_25:                             ;   in Loop: Header=BB232_17 Depth=1
	v_mov_b64_e32 v[8:9], v[4:5]
	s_and_b64 vcc, exec, s[4:5]
	s_cbranch_vccnz .LBB232_15
.LBB232_26:                             ;   in Loop: Header=BB232_17 Depth=1
	v_lshl_add_u64 v[4:5], v[8:9], 1, s[16:17]
	v_mov_b32_e32 v11, 0
	v_mov_b64_e32 v[8:9], v[6:7]
	s_mov_b32 s26, s13
.LBB232_27:                             ;   Parent Loop BB232_17 Depth=1
                                        ; =>  This Inner Loop Header: Depth=2
	global_load_ushort v12, v[8:9], off
	global_load_ushort v13, v[4:5], off
	s_add_i32 s26, s26, -1
	v_lshl_add_u64 v[8:9], v[8:9], 0, s[6:7]
	v_lshl_add_u64 v[4:5], v[4:5], 0, s[22:23]
	s_cmp_eq_u32 s26, 0
	s_waitcnt vmcnt(0)
	v_mul_f16_e32 v12, v12, v13
	v_cvt_f32_f16_e32 v12, v12
	v_add_f32_e32 v11, v11, v12
	s_cbranch_scc0 .LBB232_27
	s_branch .LBB232_16
.LBB232_28:
	s_endpgm
	.section	.rodata,"a",@progbits
	.p2align	6, 0x0
	.amdhsa_kernel _ZN9rocsparseL16sddmm_csx_kernelILi512ELi1EL20rocsparse_direction_0EfliDF16_DF16_fEEv20rocsparse_operation_S2_16rocsparse_order_S3_T4_S4_S4_T3_NS_24const_host_device_scalarIT2_EEPKT5_lPKT6_lS8_PT7_PKS5_PKS4_21rocsparse_index_base_b
		.amdhsa_group_segment_fixed_size 2048
		.amdhsa_private_segment_fixed_size 0
		.amdhsa_kernarg_size 120
		.amdhsa_user_sgpr_count 2
		.amdhsa_user_sgpr_dispatch_ptr 0
		.amdhsa_user_sgpr_queue_ptr 0
		.amdhsa_user_sgpr_kernarg_segment_ptr 1
		.amdhsa_user_sgpr_dispatch_id 0
		.amdhsa_user_sgpr_kernarg_preload_length 0
		.amdhsa_user_sgpr_kernarg_preload_offset 0
		.amdhsa_user_sgpr_private_segment_size 0
		.amdhsa_uses_dynamic_stack 0
		.amdhsa_enable_private_segment 0
		.amdhsa_system_sgpr_workgroup_id_x 1
		.amdhsa_system_sgpr_workgroup_id_y 0
		.amdhsa_system_sgpr_workgroup_id_z 0
		.amdhsa_system_sgpr_workgroup_info 0
		.amdhsa_system_vgpr_workitem_id 0
		.amdhsa_next_free_vgpr 14
		.amdhsa_next_free_sgpr 28
		.amdhsa_accum_offset 16
		.amdhsa_reserve_vcc 1
		.amdhsa_float_round_mode_32 0
		.amdhsa_float_round_mode_16_64 0
		.amdhsa_float_denorm_mode_32 3
		.amdhsa_float_denorm_mode_16_64 3
		.amdhsa_dx10_clamp 1
		.amdhsa_ieee_mode 1
		.amdhsa_fp16_overflow 0
		.amdhsa_tg_split 0
		.amdhsa_exception_fp_ieee_invalid_op 0
		.amdhsa_exception_fp_denorm_src 0
		.amdhsa_exception_fp_ieee_div_zero 0
		.amdhsa_exception_fp_ieee_overflow 0
		.amdhsa_exception_fp_ieee_underflow 0
		.amdhsa_exception_fp_ieee_inexact 0
		.amdhsa_exception_int_div_zero 0
	.end_amdhsa_kernel
	.section	.text._ZN9rocsparseL16sddmm_csx_kernelILi512ELi1EL20rocsparse_direction_0EfliDF16_DF16_fEEv20rocsparse_operation_S2_16rocsparse_order_S3_T4_S4_S4_T3_NS_24const_host_device_scalarIT2_EEPKT5_lPKT6_lS8_PT7_PKS5_PKS4_21rocsparse_index_base_b,"axG",@progbits,_ZN9rocsparseL16sddmm_csx_kernelILi512ELi1EL20rocsparse_direction_0EfliDF16_DF16_fEEv20rocsparse_operation_S2_16rocsparse_order_S3_T4_S4_S4_T3_NS_24const_host_device_scalarIT2_EEPKT5_lPKT6_lS8_PT7_PKS5_PKS4_21rocsparse_index_base_b,comdat
.Lfunc_end232:
	.size	_ZN9rocsparseL16sddmm_csx_kernelILi512ELi1EL20rocsparse_direction_0EfliDF16_DF16_fEEv20rocsparse_operation_S2_16rocsparse_order_S3_T4_S4_S4_T3_NS_24const_host_device_scalarIT2_EEPKT5_lPKT6_lS8_PT7_PKS5_PKS4_21rocsparse_index_base_b, .Lfunc_end232-_ZN9rocsparseL16sddmm_csx_kernelILi512ELi1EL20rocsparse_direction_0EfliDF16_DF16_fEEv20rocsparse_operation_S2_16rocsparse_order_S3_T4_S4_S4_T3_NS_24const_host_device_scalarIT2_EEPKT5_lPKT6_lS8_PT7_PKS5_PKS4_21rocsparse_index_base_b
                                        ; -- End function
	.set _ZN9rocsparseL16sddmm_csx_kernelILi512ELi1EL20rocsparse_direction_0EfliDF16_DF16_fEEv20rocsparse_operation_S2_16rocsparse_order_S3_T4_S4_S4_T3_NS_24const_host_device_scalarIT2_EEPKT5_lPKT6_lS8_PT7_PKS5_PKS4_21rocsparse_index_base_b.num_vgpr, 14
	.set _ZN9rocsparseL16sddmm_csx_kernelILi512ELi1EL20rocsparse_direction_0EfliDF16_DF16_fEEv20rocsparse_operation_S2_16rocsparse_order_S3_T4_S4_S4_T3_NS_24const_host_device_scalarIT2_EEPKT5_lPKT6_lS8_PT7_PKS5_PKS4_21rocsparse_index_base_b.num_agpr, 0
	.set _ZN9rocsparseL16sddmm_csx_kernelILi512ELi1EL20rocsparse_direction_0EfliDF16_DF16_fEEv20rocsparse_operation_S2_16rocsparse_order_S3_T4_S4_S4_T3_NS_24const_host_device_scalarIT2_EEPKT5_lPKT6_lS8_PT7_PKS5_PKS4_21rocsparse_index_base_b.numbered_sgpr, 28
	.set _ZN9rocsparseL16sddmm_csx_kernelILi512ELi1EL20rocsparse_direction_0EfliDF16_DF16_fEEv20rocsparse_operation_S2_16rocsparse_order_S3_T4_S4_S4_T3_NS_24const_host_device_scalarIT2_EEPKT5_lPKT6_lS8_PT7_PKS5_PKS4_21rocsparse_index_base_b.num_named_barrier, 0
	.set _ZN9rocsparseL16sddmm_csx_kernelILi512ELi1EL20rocsparse_direction_0EfliDF16_DF16_fEEv20rocsparse_operation_S2_16rocsparse_order_S3_T4_S4_S4_T3_NS_24const_host_device_scalarIT2_EEPKT5_lPKT6_lS8_PT7_PKS5_PKS4_21rocsparse_index_base_b.private_seg_size, 0
	.set _ZN9rocsparseL16sddmm_csx_kernelILi512ELi1EL20rocsparse_direction_0EfliDF16_DF16_fEEv20rocsparse_operation_S2_16rocsparse_order_S3_T4_S4_S4_T3_NS_24const_host_device_scalarIT2_EEPKT5_lPKT6_lS8_PT7_PKS5_PKS4_21rocsparse_index_base_b.uses_vcc, 1
	.set _ZN9rocsparseL16sddmm_csx_kernelILi512ELi1EL20rocsparse_direction_0EfliDF16_DF16_fEEv20rocsparse_operation_S2_16rocsparse_order_S3_T4_S4_S4_T3_NS_24const_host_device_scalarIT2_EEPKT5_lPKT6_lS8_PT7_PKS5_PKS4_21rocsparse_index_base_b.uses_flat_scratch, 0
	.set _ZN9rocsparseL16sddmm_csx_kernelILi512ELi1EL20rocsparse_direction_0EfliDF16_DF16_fEEv20rocsparse_operation_S2_16rocsparse_order_S3_T4_S4_S4_T3_NS_24const_host_device_scalarIT2_EEPKT5_lPKT6_lS8_PT7_PKS5_PKS4_21rocsparse_index_base_b.has_dyn_sized_stack, 0
	.set _ZN9rocsparseL16sddmm_csx_kernelILi512ELi1EL20rocsparse_direction_0EfliDF16_DF16_fEEv20rocsparse_operation_S2_16rocsparse_order_S3_T4_S4_S4_T3_NS_24const_host_device_scalarIT2_EEPKT5_lPKT6_lS8_PT7_PKS5_PKS4_21rocsparse_index_base_b.has_recursion, 0
	.set _ZN9rocsparseL16sddmm_csx_kernelILi512ELi1EL20rocsparse_direction_0EfliDF16_DF16_fEEv20rocsparse_operation_S2_16rocsparse_order_S3_T4_S4_S4_T3_NS_24const_host_device_scalarIT2_EEPKT5_lPKT6_lS8_PT7_PKS5_PKS4_21rocsparse_index_base_b.has_indirect_call, 0
	.section	.AMDGPU.csdata,"",@progbits
; Kernel info:
; codeLenInByte = 876
; TotalNumSgprs: 34
; NumVgprs: 14
; NumAgprs: 0
; TotalNumVgprs: 14
; ScratchSize: 0
; MemoryBound: 0
; FloatMode: 240
; IeeeMode: 1
; LDSByteSize: 2048 bytes/workgroup (compile time only)
; SGPRBlocks: 4
; VGPRBlocks: 1
; NumSGPRsForWavesPerEU: 34
; NumVGPRsForWavesPerEU: 14
; AccumOffset: 16
; Occupancy: 8
; WaveLimiterHint : 0
; COMPUTE_PGM_RSRC2:SCRATCH_EN: 0
; COMPUTE_PGM_RSRC2:USER_SGPR: 2
; COMPUTE_PGM_RSRC2:TRAP_HANDLER: 0
; COMPUTE_PGM_RSRC2:TGID_X_EN: 1
; COMPUTE_PGM_RSRC2:TGID_Y_EN: 0
; COMPUTE_PGM_RSRC2:TGID_Z_EN: 0
; COMPUTE_PGM_RSRC2:TIDIG_COMP_CNT: 0
; COMPUTE_PGM_RSRC3_GFX90A:ACCUM_OFFSET: 3
; COMPUTE_PGM_RSRC3_GFX90A:TG_SPLIT: 0
	.section	.text._ZN9rocsparseL16sddmm_csx_kernelILi512ELi8EL20rocsparse_direction_0EfllDF16_DF16_fEEv20rocsparse_operation_S2_16rocsparse_order_S3_T4_S4_S4_T3_NS_24const_host_device_scalarIT2_EEPKT5_lPKT6_lS8_PT7_PKS5_PKS4_21rocsparse_index_base_b,"axG",@progbits,_ZN9rocsparseL16sddmm_csx_kernelILi512ELi8EL20rocsparse_direction_0EfllDF16_DF16_fEEv20rocsparse_operation_S2_16rocsparse_order_S3_T4_S4_S4_T3_NS_24const_host_device_scalarIT2_EEPKT5_lPKT6_lS8_PT7_PKS5_PKS4_21rocsparse_index_base_b,comdat
	.globl	_ZN9rocsparseL16sddmm_csx_kernelILi512ELi8EL20rocsparse_direction_0EfllDF16_DF16_fEEv20rocsparse_operation_S2_16rocsparse_order_S3_T4_S4_S4_T3_NS_24const_host_device_scalarIT2_EEPKT5_lPKT6_lS8_PT7_PKS5_PKS4_21rocsparse_index_base_b ; -- Begin function _ZN9rocsparseL16sddmm_csx_kernelILi512ELi8EL20rocsparse_direction_0EfllDF16_DF16_fEEv20rocsparse_operation_S2_16rocsparse_order_S3_T4_S4_S4_T3_NS_24const_host_device_scalarIT2_EEPKT5_lPKT6_lS8_PT7_PKS5_PKS4_21rocsparse_index_base_b
	.p2align	8
	.type	_ZN9rocsparseL16sddmm_csx_kernelILi512ELi8EL20rocsparse_direction_0EfllDF16_DF16_fEEv20rocsparse_operation_S2_16rocsparse_order_S3_T4_S4_S4_T3_NS_24const_host_device_scalarIT2_EEPKT5_lPKT6_lS8_PT7_PKS5_PKS4_21rocsparse_index_base_b,@function
_ZN9rocsparseL16sddmm_csx_kernelILi512ELi8EL20rocsparse_direction_0EfllDF16_DF16_fEEv20rocsparse_operation_S2_16rocsparse_order_S3_T4_S4_S4_T3_NS_24const_host_device_scalarIT2_EEPKT5_lPKT6_lS8_PT7_PKS5_PKS4_21rocsparse_index_base_b: ; @_ZN9rocsparseL16sddmm_csx_kernelILi512ELi8EL20rocsparse_direction_0EfllDF16_DF16_fEEv20rocsparse_operation_S2_16rocsparse_order_S3_T4_S4_S4_T3_NS_24const_host_device_scalarIT2_EEPKT5_lPKT6_lS8_PT7_PKS5_PKS4_21rocsparse_index_base_b
; %bb.0:
	s_load_dwordx2 s[14:15], s[0:1], 0x78
	s_load_dwordx2 s[6:7], s[0:1], 0x30
	s_load_dwordx4 s[16:19], s[0:1], 0x50
	s_waitcnt lgkmcnt(0)
	s_bitcmp1_b32 s15, 0
	s_cselect_b64 s[8:9], -1, 0
	s_xor_b64 s[4:5], s[8:9], -1
	s_and_b64 vcc, exec, s[8:9]
	s_mov_b32 s21, s6
	s_cbranch_vccnz .LBB233_2
; %bb.1:
	s_load_dword s21, s[6:7], 0x0
.LBB233_2:
	s_andn2_b64 vcc, exec, s[4:5]
	s_mov_b32 s20, s18
	s_cbranch_vccnz .LBB233_4
; %bb.3:
	s_load_dword s20, s[18:19], 0x0
.LBB233_4:
	s_waitcnt lgkmcnt(0)
	v_cmp_eq_f32_e64 s[4:5], s21, 0
	v_cmp_eq_f32_e64 s[6:7], s20, 1.0
	s_and_b64 s[4:5], s[4:5], s[6:7]
	s_and_b64 vcc, exec, s[4:5]
	s_cbranch_vccnz .LBB233_36
; %bb.5:
	s_load_dwordx2 s[4:5], s[0:1], 0x10
	v_lshrrev_b32_e32 v6, 3, v0
	v_lshl_or_b32 v2, s2, 6, v6
	v_mov_b32_e32 v3, 0
	s_waitcnt lgkmcnt(0)
	v_cmp_gt_i64_e32 vcc, s[4:5], v[2:3]
	s_and_saveexec_b64 s[2:3], vcc
	s_cbranch_execz .LBB233_36
; %bb.6:
	s_load_dwordx4 s[4:7], s[0:1], 0x0
	s_load_dwordx2 s[12:13], s[0:1], 0x68
	s_load_dwordx2 s[2:3], s[0:1], 0x40
	s_waitcnt lgkmcnt(0)
	s_cmp_eq_u32 s6, 1
	s_cselect_b64 s[8:9], -1, 0
	s_cmpk_eq_i32 s4, 0x6f
	s_cselect_b64 s[10:11], -1, 0
	s_cmpk_lg_i32 s4, 0x6f
	s_cselect_b64 s[18:19], -1, 0
	s_cmp_lg_u32 s6, 1
	s_cbranch_scc0 .LBB233_10
; %bb.7:
	s_andn2_b64 vcc, exec, s[10:11]
	v_mov_b64_e32 v[8:9], v[2:3]
	s_cbranch_vccnz .LBB233_9
; %bb.8:
	v_mad_u64_u32 v[8:9], s[22:23], s2, v2, 0
	v_mov_b32_e32 v4, v9
	v_mad_u64_u32 v[4:5], s[22:23], s3, v2, v[4:5]
	v_mov_b32_e32 v9, v4
.LBB233_9:
	s_cbranch_execz .LBB233_11
	s_branch .LBB233_13
.LBB233_10:
                                        ; implicit-def: $vgpr8_vgpr9
.LBB233_11:
	s_andn2_b64 vcc, exec, s[18:19]
	v_mov_b64_e32 v[8:9], v[2:3]
	s_cbranch_vccnz .LBB233_13
; %bb.12:
	v_mad_u64_u32 v[8:9], s[18:19], s2, v2, 0
	v_mov_b32_e32 v4, v9
	v_mad_u64_u32 v[4:5], s[18:19], s3, v2, v[4:5]
	v_mov_b32_e32 v9, v4
.LBB233_13:
	v_lshl_add_u64 v[2:3], v[2:3], 3, s[12:13]
	global_load_dwordx4 v[2:5], v[2:3], off
	s_waitcnt vmcnt(0)
	v_cmp_lt_i64_e32 vcc, v[2:3], v[4:5]
	s_and_b64 exec, exec, vcc
	s_cbranch_execz .LBB233_36
; %bb.14:
	s_xor_b64 s[8:9], s[10:11], s[8:9]
	s_and_b64 s[8:9], s[8:9], exec
	s_cselect_b32 s9, 0, s3
	s_cselect_b32 s8, 1, s2
	s_cmp_lg_u32 s7, 1
	s_cselect_b64 s[22:23], -1, 0
	s_cmp_eq_u32 s7, 1
	s_cselect_b64 s[2:3], -1, 0
	s_cmpk_eq_i32 s5, 0x6f
	s_cselect_b64 s[6:7], -1, 0
	s_cmpk_lg_i32 s5, 0x6f
	s_cselect_b64 s[10:11], -1, 0
	s_xor_b64 s[2:3], s[6:7], s[2:3]
	s_and_b64 s[2:3], s[2:3], exec
	s_cselect_b32 s12, s16, 1
	v_and_b32_e32 v0, 7, v0
	v_lshlrev_b32_e32 v16, 5, v6
	v_mad_u64_u32 v[6:7], s[34:35], s12, v0, 0
	s_cselect_b32 s13, s17, 0
	v_mov_b32_e32 v10, v7
	s_load_dwordx2 s[28:29], s[0:1], 0x48
	s_load_dwordx2 s[24:25], s[0:1], 0x60
	;; [unrolled: 1-line block ×4, first 2 shown]
	v_mad_u64_u32 v[10:11], s[34:35], s13, v0, v[10:11]
	v_mov_b32_e32 v7, v10
	s_waitcnt lgkmcnt(0)
	v_lshl_add_u64 v[6:7], v[6:7], 1, s[28:29]
	s_lshl_b64 s[28:29], s[12:13], 4
	v_mad_u64_u32 v[10:11], s[12:13], s8, v0, 0
	s_load_dwordx2 s[18:19], s[0:1], 0x70
	v_mov_b32_e32 v12, v11
	v_subrev_co_u32_e32 v2, vcc, s14, v2
	v_mad_u64_u32 v[12:13], s[12:13], s9, v0, v[12:13]
	s_nop 0
	v_subbrev_co_u32_e32 v3, vcc, 0, v3, vcc
	v_mov_b32_e32 v11, v12
	v_lshlrev_b64 v[8:9], 1, v[8:9]
	v_cndmask_b32_e64 v14, 0, 1, s[6:7]
	v_mov_b32_e32 v1, 0
	v_subrev_co_u32_e32 v4, vcc, s14, v4
	v_lshl_add_u64 v[8:9], v[10:11], 1, v[8:9]
	v_cndmask_b32_e64 v10, 0, 1, s[10:11]
	v_cmp_gt_i64_e64 s[0:1], s[26:27], v[0:1]
	v_lshl_or_b32 v17, v0, 2, v16
	v_cmp_eq_u32_e64 s[2:3], 0, v0
	v_cmp_gt_u32_e64 s[4:5], 4, v0
	v_cmp_gt_u32_e64 s[6:7], 2, v0
	v_subbrev_co_u32_e32 v5, vcc, 0, v5, vcc
	v_lshl_add_u64 v[8:9], s[30:31], 0, v[8:9]
	s_lshl_b64 s[30:31], s[8:9], 4
	s_mov_b64 s[34:35], 0
	v_cmp_ne_u32_e64 s[8:9], 1, v10
	v_cmp_ne_u32_e64 s[10:11], 1, v14
	s_branch .LBB233_16
.LBB233_15:                             ;   in Loop: Header=BB233_16 Depth=1
	s_or_b64 exec, exec, s[12:13]
	v_lshl_add_u64 v[2:3], v[2:3], 0, 1
	v_cmp_ge_i64_e32 vcc, v[2:3], v[4:5]
	s_or_b64 s[34:35], vcc, s[34:35]
	s_andn2_b64 exec, exec, s[34:35]
	s_cbranch_execz .LBB233_36
.LBB233_16:                             ; =>This Loop Header: Depth=1
                                        ;     Child Loop BB233_26 Depth 2
	s_waitcnt lgkmcnt(0)
	v_lshl_add_u64 v[10:11], v[2:3], 3, s[18:19]
	global_load_dwordx2 v[10:11], v[10:11], off
	s_mov_b64 s[36:37], -1
	s_and_b64 vcc, exec, s[22:23]
                                        ; implicit-def: $vgpr12_vgpr13
	s_waitcnt vmcnt(0)
	v_subrev_co_u32_e64 v10, s[12:13], s14, v10
	s_nop 1
	v_subbrev_co_u32_e64 v11, s[12:13], 0, v11, s[12:13]
	s_cbranch_vccnz .LBB233_19
; %bb.17:                               ;   in Loop: Header=BB233_16 Depth=1
	s_andn2_b64 vcc, exec, s[36:37]
	s_cbranch_vccz .LBB233_22
.LBB233_18:                             ;   in Loop: Header=BB233_16 Depth=1
	v_mov_b32_e32 v18, 0
	s_and_saveexec_b64 s[12:13], s[0:1]
	s_cbranch_execnz .LBB233_25
	s_branch .LBB233_28
.LBB233_19:                             ;   in Loop: Header=BB233_16 Depth=1
	s_and_b64 vcc, exec, s[8:9]
	v_mov_b64_e32 v[12:13], v[10:11]
	s_cbranch_vccnz .LBB233_21
; %bb.20:                               ;   in Loop: Header=BB233_16 Depth=1
	v_mul_lo_u32 v14, v11, s16
	v_mul_lo_u32 v15, v10, s17
	v_mad_u64_u32 v[12:13], s[12:13], v10, s16, 0
	v_add3_u32 v13, v13, v15, v14
.LBB233_21:                             ;   in Loop: Header=BB233_16 Depth=1
	s_cbranch_execnz .LBB233_18
.LBB233_22:                             ;   in Loop: Header=BB233_16 Depth=1
	s_and_b64 vcc, exec, s[10:11]
	s_cbranch_vccnz .LBB233_24
; %bb.23:                               ;   in Loop: Header=BB233_16 Depth=1
	v_mul_lo_u32 v12, v11, s16
	v_mul_lo_u32 v13, v10, s17
	v_mad_u64_u32 v[10:11], s[12:13], v10, s16, 0
	v_add3_u32 v11, v11, v13, v12
.LBB233_24:                             ;   in Loop: Header=BB233_16 Depth=1
	v_mov_b64_e32 v[12:13], v[10:11]
	v_mov_b32_e32 v18, 0
	s_and_saveexec_b64 s[12:13], s[0:1]
	s_cbranch_execz .LBB233_28
.LBB233_25:                             ;   in Loop: Header=BB233_16 Depth=1
	v_lshl_add_u64 v[10:11], v[12:13], 1, v[6:7]
	v_mov_b32_e32 v18, 0
	s_mov_b64 s[36:37], 0
	v_mov_b64_e32 v[12:13], v[8:9]
	v_mov_b64_e32 v[14:15], v[0:1]
.LBB233_26:                             ;   Parent Loop BB233_16 Depth=1
                                        ; =>  This Inner Loop Header: Depth=2
	global_load_ushort v19, v[12:13], off
	global_load_ushort v20, v[10:11], off
	v_lshl_add_u64 v[14:15], v[14:15], 0, 8
	v_cmp_le_i64_e32 vcc, s[26:27], v[14:15]
	v_lshl_add_u64 v[10:11], v[10:11], 0, s[28:29]
	v_lshl_add_u64 v[12:13], v[12:13], 0, s[30:31]
	s_or_b64 s[36:37], vcc, s[36:37]
	s_waitcnt vmcnt(0)
	v_mul_f16_e32 v19, v19, v20
	v_cvt_f32_f16_e32 v19, v19
	v_add_f32_e32 v18, v18, v19
	s_andn2_b64 exec, exec, s[36:37]
	s_cbranch_execnz .LBB233_26
; %bb.27:                               ;   in Loop: Header=BB233_16 Depth=1
	s_or_b64 exec, exec, s[36:37]
.LBB233_28:                             ;   in Loop: Header=BB233_16 Depth=1
	s_or_b64 exec, exec, s[12:13]
	ds_write_b32 v17, v18
	s_waitcnt lgkmcnt(0)
	s_barrier
	s_and_saveexec_b64 s[12:13], s[4:5]
	s_cbranch_execz .LBB233_30
; %bb.29:                               ;   in Loop: Header=BB233_16 Depth=1
	ds_read2_b32 v[10:11], v17 offset1:4
	s_waitcnt lgkmcnt(0)
	v_add_f32_e32 v10, v11, v10
	ds_write_b32 v17, v10
.LBB233_30:                             ;   in Loop: Header=BB233_16 Depth=1
	s_or_b64 exec, exec, s[12:13]
	s_waitcnt lgkmcnt(0)
	s_barrier
	s_and_saveexec_b64 s[12:13], s[6:7]
	s_cbranch_execz .LBB233_32
; %bb.31:                               ;   in Loop: Header=BB233_16 Depth=1
	ds_read2_b32 v[10:11], v17 offset1:2
	s_waitcnt lgkmcnt(0)
	v_add_f32_e32 v10, v11, v10
	ds_write_b32 v17, v10
.LBB233_32:                             ;   in Loop: Header=BB233_16 Depth=1
	s_or_b64 exec, exec, s[12:13]
	;; [unrolled: 11-line block ×3, first 2 shown]
	s_waitcnt lgkmcnt(0)
	s_barrier
	s_and_saveexec_b64 s[12:13], s[2:3]
	s_cbranch_execz .LBB233_15
; %bb.35:                               ;   in Loop: Header=BB233_16 Depth=1
	v_lshl_add_u64 v[10:11], v[2:3], 2, s[24:25]
	global_load_dword v12, v[10:11], off
	ds_read_b32 v13, v16
	s_waitcnt vmcnt(0) lgkmcnt(0)
	v_pk_mul_f32 v[12:13], s[20:21], v[12:13]
	s_nop 0
	v_add_f32_e32 v12, v12, v13
	global_store_dword v[10:11], v12, off
	s_branch .LBB233_15
.LBB233_36:
	s_endpgm
	.section	.rodata,"a",@progbits
	.p2align	6, 0x0
	.amdhsa_kernel _ZN9rocsparseL16sddmm_csx_kernelILi512ELi8EL20rocsparse_direction_0EfllDF16_DF16_fEEv20rocsparse_operation_S2_16rocsparse_order_S3_T4_S4_S4_T3_NS_24const_host_device_scalarIT2_EEPKT5_lPKT6_lS8_PT7_PKS5_PKS4_21rocsparse_index_base_b
		.amdhsa_group_segment_fixed_size 2048
		.amdhsa_private_segment_fixed_size 0
		.amdhsa_kernarg_size 128
		.amdhsa_user_sgpr_count 2
		.amdhsa_user_sgpr_dispatch_ptr 0
		.amdhsa_user_sgpr_queue_ptr 0
		.amdhsa_user_sgpr_kernarg_segment_ptr 1
		.amdhsa_user_sgpr_dispatch_id 0
		.amdhsa_user_sgpr_kernarg_preload_length 0
		.amdhsa_user_sgpr_kernarg_preload_offset 0
		.amdhsa_user_sgpr_private_segment_size 0
		.amdhsa_uses_dynamic_stack 0
		.amdhsa_enable_private_segment 0
		.amdhsa_system_sgpr_workgroup_id_x 1
		.amdhsa_system_sgpr_workgroup_id_y 0
		.amdhsa_system_sgpr_workgroup_id_z 0
		.amdhsa_system_sgpr_workgroup_info 0
		.amdhsa_system_vgpr_workitem_id 0
		.amdhsa_next_free_vgpr 21
		.amdhsa_next_free_sgpr 38
		.amdhsa_accum_offset 24
		.amdhsa_reserve_vcc 1
		.amdhsa_float_round_mode_32 0
		.amdhsa_float_round_mode_16_64 0
		.amdhsa_float_denorm_mode_32 3
		.amdhsa_float_denorm_mode_16_64 3
		.amdhsa_dx10_clamp 1
		.amdhsa_ieee_mode 1
		.amdhsa_fp16_overflow 0
		.amdhsa_tg_split 0
		.amdhsa_exception_fp_ieee_invalid_op 0
		.amdhsa_exception_fp_denorm_src 0
		.amdhsa_exception_fp_ieee_div_zero 0
		.amdhsa_exception_fp_ieee_overflow 0
		.amdhsa_exception_fp_ieee_underflow 0
		.amdhsa_exception_fp_ieee_inexact 0
		.amdhsa_exception_int_div_zero 0
	.end_amdhsa_kernel
	.section	.text._ZN9rocsparseL16sddmm_csx_kernelILi512ELi8EL20rocsparse_direction_0EfllDF16_DF16_fEEv20rocsparse_operation_S2_16rocsparse_order_S3_T4_S4_S4_T3_NS_24const_host_device_scalarIT2_EEPKT5_lPKT6_lS8_PT7_PKS5_PKS4_21rocsparse_index_base_b,"axG",@progbits,_ZN9rocsparseL16sddmm_csx_kernelILi512ELi8EL20rocsparse_direction_0EfllDF16_DF16_fEEv20rocsparse_operation_S2_16rocsparse_order_S3_T4_S4_S4_T3_NS_24const_host_device_scalarIT2_EEPKT5_lPKT6_lS8_PT7_PKS5_PKS4_21rocsparse_index_base_b,comdat
.Lfunc_end233:
	.size	_ZN9rocsparseL16sddmm_csx_kernelILi512ELi8EL20rocsparse_direction_0EfllDF16_DF16_fEEv20rocsparse_operation_S2_16rocsparse_order_S3_T4_S4_S4_T3_NS_24const_host_device_scalarIT2_EEPKT5_lPKT6_lS8_PT7_PKS5_PKS4_21rocsparse_index_base_b, .Lfunc_end233-_ZN9rocsparseL16sddmm_csx_kernelILi512ELi8EL20rocsparse_direction_0EfllDF16_DF16_fEEv20rocsparse_operation_S2_16rocsparse_order_S3_T4_S4_S4_T3_NS_24const_host_device_scalarIT2_EEPKT5_lPKT6_lS8_PT7_PKS5_PKS4_21rocsparse_index_base_b
                                        ; -- End function
	.set _ZN9rocsparseL16sddmm_csx_kernelILi512ELi8EL20rocsparse_direction_0EfllDF16_DF16_fEEv20rocsparse_operation_S2_16rocsparse_order_S3_T4_S4_S4_T3_NS_24const_host_device_scalarIT2_EEPKT5_lPKT6_lS8_PT7_PKS5_PKS4_21rocsparse_index_base_b.num_vgpr, 21
	.set _ZN9rocsparseL16sddmm_csx_kernelILi512ELi8EL20rocsparse_direction_0EfllDF16_DF16_fEEv20rocsparse_operation_S2_16rocsparse_order_S3_T4_S4_S4_T3_NS_24const_host_device_scalarIT2_EEPKT5_lPKT6_lS8_PT7_PKS5_PKS4_21rocsparse_index_base_b.num_agpr, 0
	.set _ZN9rocsparseL16sddmm_csx_kernelILi512ELi8EL20rocsparse_direction_0EfllDF16_DF16_fEEv20rocsparse_operation_S2_16rocsparse_order_S3_T4_S4_S4_T3_NS_24const_host_device_scalarIT2_EEPKT5_lPKT6_lS8_PT7_PKS5_PKS4_21rocsparse_index_base_b.numbered_sgpr, 38
	.set _ZN9rocsparseL16sddmm_csx_kernelILi512ELi8EL20rocsparse_direction_0EfllDF16_DF16_fEEv20rocsparse_operation_S2_16rocsparse_order_S3_T4_S4_S4_T3_NS_24const_host_device_scalarIT2_EEPKT5_lPKT6_lS8_PT7_PKS5_PKS4_21rocsparse_index_base_b.num_named_barrier, 0
	.set _ZN9rocsparseL16sddmm_csx_kernelILi512ELi8EL20rocsparse_direction_0EfllDF16_DF16_fEEv20rocsparse_operation_S2_16rocsparse_order_S3_T4_S4_S4_T3_NS_24const_host_device_scalarIT2_EEPKT5_lPKT6_lS8_PT7_PKS5_PKS4_21rocsparse_index_base_b.private_seg_size, 0
	.set _ZN9rocsparseL16sddmm_csx_kernelILi512ELi8EL20rocsparse_direction_0EfllDF16_DF16_fEEv20rocsparse_operation_S2_16rocsparse_order_S3_T4_S4_S4_T3_NS_24const_host_device_scalarIT2_EEPKT5_lPKT6_lS8_PT7_PKS5_PKS4_21rocsparse_index_base_b.uses_vcc, 1
	.set _ZN9rocsparseL16sddmm_csx_kernelILi512ELi8EL20rocsparse_direction_0EfllDF16_DF16_fEEv20rocsparse_operation_S2_16rocsparse_order_S3_T4_S4_S4_T3_NS_24const_host_device_scalarIT2_EEPKT5_lPKT6_lS8_PT7_PKS5_PKS4_21rocsparse_index_base_b.uses_flat_scratch, 0
	.set _ZN9rocsparseL16sddmm_csx_kernelILi512ELi8EL20rocsparse_direction_0EfllDF16_DF16_fEEv20rocsparse_operation_S2_16rocsparse_order_S3_T4_S4_S4_T3_NS_24const_host_device_scalarIT2_EEPKT5_lPKT6_lS8_PT7_PKS5_PKS4_21rocsparse_index_base_b.has_dyn_sized_stack, 0
	.set _ZN9rocsparseL16sddmm_csx_kernelILi512ELi8EL20rocsparse_direction_0EfllDF16_DF16_fEEv20rocsparse_operation_S2_16rocsparse_order_S3_T4_S4_S4_T3_NS_24const_host_device_scalarIT2_EEPKT5_lPKT6_lS8_PT7_PKS5_PKS4_21rocsparse_index_base_b.has_recursion, 0
	.set _ZN9rocsparseL16sddmm_csx_kernelILi512ELi8EL20rocsparse_direction_0EfllDF16_DF16_fEEv20rocsparse_operation_S2_16rocsparse_order_S3_T4_S4_S4_T3_NS_24const_host_device_scalarIT2_EEPKT5_lPKT6_lS8_PT7_PKS5_PKS4_21rocsparse_index_base_b.has_indirect_call, 0
	.section	.AMDGPU.csdata,"",@progbits
; Kernel info:
; codeLenInByte = 1164
; TotalNumSgprs: 44
; NumVgprs: 21
; NumAgprs: 0
; TotalNumVgprs: 21
; ScratchSize: 0
; MemoryBound: 0
; FloatMode: 240
; IeeeMode: 1
; LDSByteSize: 2048 bytes/workgroup (compile time only)
; SGPRBlocks: 5
; VGPRBlocks: 2
; NumSGPRsForWavesPerEU: 44
; NumVGPRsForWavesPerEU: 21
; AccumOffset: 24
; Occupancy: 8
; WaveLimiterHint : 0
; COMPUTE_PGM_RSRC2:SCRATCH_EN: 0
; COMPUTE_PGM_RSRC2:USER_SGPR: 2
; COMPUTE_PGM_RSRC2:TRAP_HANDLER: 0
; COMPUTE_PGM_RSRC2:TGID_X_EN: 1
; COMPUTE_PGM_RSRC2:TGID_Y_EN: 0
; COMPUTE_PGM_RSRC2:TGID_Z_EN: 0
; COMPUTE_PGM_RSRC2:TIDIG_COMP_CNT: 0
; COMPUTE_PGM_RSRC3_GFX90A:ACCUM_OFFSET: 5
; COMPUTE_PGM_RSRC3_GFX90A:TG_SPLIT: 0
	.section	.text._ZN9rocsparseL16sddmm_csx_kernelILi512ELi4EL20rocsparse_direction_0EfllDF16_DF16_fEEv20rocsparse_operation_S2_16rocsparse_order_S3_T4_S4_S4_T3_NS_24const_host_device_scalarIT2_EEPKT5_lPKT6_lS8_PT7_PKS5_PKS4_21rocsparse_index_base_b,"axG",@progbits,_ZN9rocsparseL16sddmm_csx_kernelILi512ELi4EL20rocsparse_direction_0EfllDF16_DF16_fEEv20rocsparse_operation_S2_16rocsparse_order_S3_T4_S4_S4_T3_NS_24const_host_device_scalarIT2_EEPKT5_lPKT6_lS8_PT7_PKS5_PKS4_21rocsparse_index_base_b,comdat
	.globl	_ZN9rocsparseL16sddmm_csx_kernelILi512ELi4EL20rocsparse_direction_0EfllDF16_DF16_fEEv20rocsparse_operation_S2_16rocsparse_order_S3_T4_S4_S4_T3_NS_24const_host_device_scalarIT2_EEPKT5_lPKT6_lS8_PT7_PKS5_PKS4_21rocsparse_index_base_b ; -- Begin function _ZN9rocsparseL16sddmm_csx_kernelILi512ELi4EL20rocsparse_direction_0EfllDF16_DF16_fEEv20rocsparse_operation_S2_16rocsparse_order_S3_T4_S4_S4_T3_NS_24const_host_device_scalarIT2_EEPKT5_lPKT6_lS8_PT7_PKS5_PKS4_21rocsparse_index_base_b
	.p2align	8
	.type	_ZN9rocsparseL16sddmm_csx_kernelILi512ELi4EL20rocsparse_direction_0EfllDF16_DF16_fEEv20rocsparse_operation_S2_16rocsparse_order_S3_T4_S4_S4_T3_NS_24const_host_device_scalarIT2_EEPKT5_lPKT6_lS8_PT7_PKS5_PKS4_21rocsparse_index_base_b,@function
_ZN9rocsparseL16sddmm_csx_kernelILi512ELi4EL20rocsparse_direction_0EfllDF16_DF16_fEEv20rocsparse_operation_S2_16rocsparse_order_S3_T4_S4_S4_T3_NS_24const_host_device_scalarIT2_EEPKT5_lPKT6_lS8_PT7_PKS5_PKS4_21rocsparse_index_base_b: ; @_ZN9rocsparseL16sddmm_csx_kernelILi512ELi4EL20rocsparse_direction_0EfllDF16_DF16_fEEv20rocsparse_operation_S2_16rocsparse_order_S3_T4_S4_S4_T3_NS_24const_host_device_scalarIT2_EEPKT5_lPKT6_lS8_PT7_PKS5_PKS4_21rocsparse_index_base_b
; %bb.0:
	s_load_dwordx2 s[16:17], s[0:1], 0x78
	s_load_dwordx2 s[6:7], s[0:1], 0x30
	s_load_dwordx4 s[12:15], s[0:1], 0x50
	s_waitcnt lgkmcnt(0)
	s_bitcmp1_b32 s17, 0
	s_cselect_b64 s[8:9], -1, 0
	s_xor_b64 s[4:5], s[8:9], -1
	s_and_b64 vcc, exec, s[8:9]
	s_mov_b32 s19, s6
	s_cbranch_vccnz .LBB234_2
; %bb.1:
	s_load_dword s19, s[6:7], 0x0
.LBB234_2:
	s_andn2_b64 vcc, exec, s[4:5]
	s_mov_b32 s18, s14
	s_cbranch_vccnz .LBB234_4
; %bb.3:
	s_load_dword s18, s[14:15], 0x0
.LBB234_4:
	s_waitcnt lgkmcnt(0)
	v_cmp_eq_f32_e64 s[4:5], s19, 0
	v_cmp_eq_f32_e64 s[6:7], s18, 1.0
	s_and_b64 s[4:5], s[4:5], s[6:7]
	s_and_b64 vcc, exec, s[4:5]
	s_cbranch_vccnz .LBB234_34
; %bb.5:
	s_load_dwordx2 s[4:5], s[0:1], 0x10
	v_lshrrev_b32_e32 v6, 2, v0
	v_lshl_or_b32 v2, s2, 7, v6
	v_mov_b32_e32 v3, 0
	s_waitcnt lgkmcnt(0)
	v_cmp_gt_i64_e32 vcc, s[4:5], v[2:3]
	s_and_saveexec_b64 s[2:3], vcc
	s_cbranch_execz .LBB234_34
; %bb.6:
	s_load_dwordx4 s[4:7], s[0:1], 0x0
	s_load_dwordx2 s[14:15], s[0:1], 0x68
	s_load_dwordx2 s[2:3], s[0:1], 0x40
	s_waitcnt lgkmcnt(0)
	s_cmp_eq_u32 s6, 1
	s_cselect_b64 s[8:9], -1, 0
	s_cmpk_eq_i32 s4, 0x6f
	s_cselect_b64 s[10:11], -1, 0
	s_cmpk_lg_i32 s4, 0x6f
	s_cselect_b64 s[20:21], -1, 0
	s_cmp_lg_u32 s6, 1
	s_cbranch_scc0 .LBB234_10
; %bb.7:
	s_andn2_b64 vcc, exec, s[10:11]
	v_mov_b64_e32 v[8:9], v[2:3]
	s_cbranch_vccnz .LBB234_9
; %bb.8:
	v_mad_u64_u32 v[8:9], s[22:23], s2, v2, 0
	v_mov_b32_e32 v4, v9
	v_mad_u64_u32 v[4:5], s[22:23], s3, v2, v[4:5]
	v_mov_b32_e32 v9, v4
.LBB234_9:
	s_cbranch_execz .LBB234_11
	s_branch .LBB234_13
.LBB234_10:
                                        ; implicit-def: $vgpr8_vgpr9
.LBB234_11:
	s_andn2_b64 vcc, exec, s[20:21]
	v_mov_b64_e32 v[8:9], v[2:3]
	s_cbranch_vccnz .LBB234_13
; %bb.12:
	v_mad_u64_u32 v[8:9], s[20:21], s2, v2, 0
	v_mov_b32_e32 v4, v9
	v_mad_u64_u32 v[4:5], s[20:21], s3, v2, v[4:5]
	v_mov_b32_e32 v9, v4
.LBB234_13:
	v_lshl_add_u64 v[2:3], v[2:3], 3, s[14:15]
	global_load_dwordx4 v[2:5], v[2:3], off
	s_waitcnt vmcnt(0)
	v_cmp_lt_i64_e32 vcc, v[2:3], v[4:5]
	s_and_b64 exec, exec, vcc
	s_cbranch_execz .LBB234_34
; %bb.14:
	s_xor_b64 s[8:9], s[10:11], s[8:9]
	s_and_b64 s[8:9], s[8:9], exec
	s_cselect_b32 s9, 0, s3
	s_cselect_b32 s8, 1, s2
	s_cmp_lg_u32 s7, 1
	s_cselect_b64 s[20:21], -1, 0
	s_cmp_eq_u32 s7, 1
	s_cselect_b64 s[2:3], -1, 0
	s_cmpk_eq_i32 s5, 0x6f
	s_cselect_b64 s[6:7], -1, 0
	s_cmpk_lg_i32 s5, 0x6f
	s_cselect_b64 s[10:11], -1, 0
	s_xor_b64 s[2:3], s[6:7], s[2:3]
	s_and_b64 s[2:3], s[2:3], exec
	v_cndmask_b32_e64 v14, 0, 1, s[6:7]
	s_cselect_b32 s6, s12, 1
	v_and_b32_e32 v0, 3, v0
	v_lshlrev_b32_e32 v16, 4, v6
	v_mad_u64_u32 v[6:7], s[30:31], s6, v0, 0
	s_cselect_b32 s7, s13, 0
	v_mov_b32_e32 v10, v7
	s_load_dwordx2 s[26:27], s[0:1], 0x48
	s_load_dwordx2 s[22:23], s[0:1], 0x60
	;; [unrolled: 1-line block ×4, first 2 shown]
	v_mad_u64_u32 v[10:11], s[30:31], s7, v0, v[10:11]
	v_mov_b32_e32 v7, v10
	s_waitcnt lgkmcnt(0)
	v_lshl_add_u64 v[6:7], v[6:7], 1, s[26:27]
	s_lshl_b64 s[26:27], s[6:7], 3
	v_mad_u64_u32 v[10:11], s[6:7], s8, v0, 0
	s_load_dwordx2 s[14:15], s[0:1], 0x70
	v_mov_b32_e32 v12, v11
	v_subrev_co_u32_e32 v2, vcc, s16, v2
	v_mad_u64_u32 v[12:13], s[6:7], s9, v0, v[12:13]
	s_nop 0
	v_subbrev_co_u32_e32 v3, vcc, 0, v3, vcc
	v_mov_b32_e32 v11, v12
	v_lshlrev_b64 v[8:9], 1, v[8:9]
	v_mov_b32_e32 v1, 0
	v_subrev_co_u32_e32 v4, vcc, s16, v4
	v_lshl_add_u64 v[8:9], v[10:11], 1, v[8:9]
	v_cndmask_b32_e64 v10, 0, 1, s[10:11]
	v_cmp_gt_i64_e64 s[0:1], s[24:25], v[0:1]
	v_lshl_or_b32 v17, v0, 2, v16
	v_cmp_eq_u32_e64 s[2:3], 0, v0
	v_cmp_gt_u32_e64 s[4:5], 2, v0
	v_subbrev_co_u32_e32 v5, vcc, 0, v5, vcc
	v_lshl_add_u64 v[8:9], s[28:29], 0, v[8:9]
	s_lshl_b64 s[28:29], s[8:9], 3
	s_mov_b64 s[30:31], 0
	v_cmp_ne_u32_e64 s[6:7], 1, v10
	v_cmp_ne_u32_e64 s[8:9], 1, v14
	s_branch .LBB234_16
.LBB234_15:                             ;   in Loop: Header=BB234_16 Depth=1
	s_or_b64 exec, exec, s[10:11]
	v_lshl_add_u64 v[2:3], v[2:3], 0, 1
	v_cmp_ge_i64_e32 vcc, v[2:3], v[4:5]
	s_or_b64 s[30:31], vcc, s[30:31]
	s_andn2_b64 exec, exec, s[30:31]
	s_cbranch_execz .LBB234_34
.LBB234_16:                             ; =>This Loop Header: Depth=1
                                        ;     Child Loop BB234_26 Depth 2
	s_waitcnt lgkmcnt(0)
	v_lshl_add_u64 v[10:11], v[2:3], 3, s[14:15]
	global_load_dwordx2 v[10:11], v[10:11], off
	s_mov_b64 s[34:35], -1
	s_and_b64 vcc, exec, s[20:21]
                                        ; implicit-def: $vgpr12_vgpr13
	s_waitcnt vmcnt(0)
	v_subrev_co_u32_e64 v10, s[10:11], s16, v10
	s_nop 1
	v_subbrev_co_u32_e64 v11, s[10:11], 0, v11, s[10:11]
	s_cbranch_vccnz .LBB234_19
; %bb.17:                               ;   in Loop: Header=BB234_16 Depth=1
	s_andn2_b64 vcc, exec, s[34:35]
	s_cbranch_vccz .LBB234_22
.LBB234_18:                             ;   in Loop: Header=BB234_16 Depth=1
	v_mov_b32_e32 v18, 0
	s_and_saveexec_b64 s[10:11], s[0:1]
	s_cbranch_execnz .LBB234_25
	s_branch .LBB234_28
.LBB234_19:                             ;   in Loop: Header=BB234_16 Depth=1
	s_and_b64 vcc, exec, s[6:7]
	v_mov_b64_e32 v[12:13], v[10:11]
	s_cbranch_vccnz .LBB234_21
; %bb.20:                               ;   in Loop: Header=BB234_16 Depth=1
	v_mul_lo_u32 v14, v11, s12
	v_mul_lo_u32 v15, v10, s13
	v_mad_u64_u32 v[12:13], s[10:11], v10, s12, 0
	v_add3_u32 v13, v13, v15, v14
.LBB234_21:                             ;   in Loop: Header=BB234_16 Depth=1
	s_cbranch_execnz .LBB234_18
.LBB234_22:                             ;   in Loop: Header=BB234_16 Depth=1
	s_and_b64 vcc, exec, s[8:9]
	s_cbranch_vccnz .LBB234_24
; %bb.23:                               ;   in Loop: Header=BB234_16 Depth=1
	v_mul_lo_u32 v12, v11, s12
	v_mul_lo_u32 v13, v10, s13
	v_mad_u64_u32 v[10:11], s[10:11], v10, s12, 0
	v_add3_u32 v11, v11, v13, v12
.LBB234_24:                             ;   in Loop: Header=BB234_16 Depth=1
	v_mov_b64_e32 v[12:13], v[10:11]
	v_mov_b32_e32 v18, 0
	s_and_saveexec_b64 s[10:11], s[0:1]
	s_cbranch_execz .LBB234_28
.LBB234_25:                             ;   in Loop: Header=BB234_16 Depth=1
	v_lshl_add_u64 v[10:11], v[12:13], 1, v[6:7]
	v_mov_b32_e32 v18, 0
	s_mov_b64 s[34:35], 0
	v_mov_b64_e32 v[12:13], v[8:9]
	v_mov_b64_e32 v[14:15], v[0:1]
.LBB234_26:                             ;   Parent Loop BB234_16 Depth=1
                                        ; =>  This Inner Loop Header: Depth=2
	global_load_ushort v19, v[12:13], off
	global_load_ushort v20, v[10:11], off
	v_lshl_add_u64 v[14:15], v[14:15], 0, 4
	v_cmp_le_i64_e32 vcc, s[24:25], v[14:15]
	v_lshl_add_u64 v[10:11], v[10:11], 0, s[26:27]
	v_lshl_add_u64 v[12:13], v[12:13], 0, s[28:29]
	s_or_b64 s[34:35], vcc, s[34:35]
	s_waitcnt vmcnt(0)
	v_mul_f16_e32 v19, v19, v20
	v_cvt_f32_f16_e32 v19, v19
	v_add_f32_e32 v18, v18, v19
	s_andn2_b64 exec, exec, s[34:35]
	s_cbranch_execnz .LBB234_26
; %bb.27:                               ;   in Loop: Header=BB234_16 Depth=1
	s_or_b64 exec, exec, s[34:35]
.LBB234_28:                             ;   in Loop: Header=BB234_16 Depth=1
	s_or_b64 exec, exec, s[10:11]
	ds_write_b32 v17, v18
	s_waitcnt lgkmcnt(0)
	s_barrier
	s_and_saveexec_b64 s[10:11], s[4:5]
	s_cbranch_execz .LBB234_30
; %bb.29:                               ;   in Loop: Header=BB234_16 Depth=1
	ds_read2_b32 v[10:11], v17 offset1:2
	s_waitcnt lgkmcnt(0)
	v_add_f32_e32 v10, v11, v10
	ds_write_b32 v17, v10
.LBB234_30:                             ;   in Loop: Header=BB234_16 Depth=1
	s_or_b64 exec, exec, s[10:11]
	s_waitcnt lgkmcnt(0)
	s_barrier
	s_and_saveexec_b64 s[10:11], s[2:3]
	s_cbranch_execz .LBB234_32
; %bb.31:                               ;   in Loop: Header=BB234_16 Depth=1
	ds_read2_b32 v[10:11], v17 offset1:1
	s_waitcnt lgkmcnt(0)
	v_add_f32_e32 v10, v11, v10
	ds_write_b32 v17, v10
.LBB234_32:                             ;   in Loop: Header=BB234_16 Depth=1
	s_or_b64 exec, exec, s[10:11]
	s_waitcnt lgkmcnt(0)
	s_barrier
	s_and_saveexec_b64 s[10:11], s[2:3]
	s_cbranch_execz .LBB234_15
; %bb.33:                               ;   in Loop: Header=BB234_16 Depth=1
	v_lshl_add_u64 v[10:11], v[2:3], 2, s[22:23]
	global_load_dword v12, v[10:11], off
	ds_read_b32 v13, v16
	s_waitcnt vmcnt(0) lgkmcnt(0)
	v_pk_mul_f32 v[12:13], s[18:19], v[12:13]
	s_nop 0
	v_add_f32_e32 v12, v12, v13
	global_store_dword v[10:11], v12, off
	s_branch .LBB234_15
.LBB234_34:
	s_endpgm
	.section	.rodata,"a",@progbits
	.p2align	6, 0x0
	.amdhsa_kernel _ZN9rocsparseL16sddmm_csx_kernelILi512ELi4EL20rocsparse_direction_0EfllDF16_DF16_fEEv20rocsparse_operation_S2_16rocsparse_order_S3_T4_S4_S4_T3_NS_24const_host_device_scalarIT2_EEPKT5_lPKT6_lS8_PT7_PKS5_PKS4_21rocsparse_index_base_b
		.amdhsa_group_segment_fixed_size 2048
		.amdhsa_private_segment_fixed_size 0
		.amdhsa_kernarg_size 128
		.amdhsa_user_sgpr_count 2
		.amdhsa_user_sgpr_dispatch_ptr 0
		.amdhsa_user_sgpr_queue_ptr 0
		.amdhsa_user_sgpr_kernarg_segment_ptr 1
		.amdhsa_user_sgpr_dispatch_id 0
		.amdhsa_user_sgpr_kernarg_preload_length 0
		.amdhsa_user_sgpr_kernarg_preload_offset 0
		.amdhsa_user_sgpr_private_segment_size 0
		.amdhsa_uses_dynamic_stack 0
		.amdhsa_enable_private_segment 0
		.amdhsa_system_sgpr_workgroup_id_x 1
		.amdhsa_system_sgpr_workgroup_id_y 0
		.amdhsa_system_sgpr_workgroup_id_z 0
		.amdhsa_system_sgpr_workgroup_info 0
		.amdhsa_system_vgpr_workitem_id 0
		.amdhsa_next_free_vgpr 21
		.amdhsa_next_free_sgpr 36
		.amdhsa_accum_offset 24
		.amdhsa_reserve_vcc 1
		.amdhsa_float_round_mode_32 0
		.amdhsa_float_round_mode_16_64 0
		.amdhsa_float_denorm_mode_32 3
		.amdhsa_float_denorm_mode_16_64 3
		.amdhsa_dx10_clamp 1
		.amdhsa_ieee_mode 1
		.amdhsa_fp16_overflow 0
		.amdhsa_tg_split 0
		.amdhsa_exception_fp_ieee_invalid_op 0
		.amdhsa_exception_fp_denorm_src 0
		.amdhsa_exception_fp_ieee_div_zero 0
		.amdhsa_exception_fp_ieee_overflow 0
		.amdhsa_exception_fp_ieee_underflow 0
		.amdhsa_exception_fp_ieee_inexact 0
		.amdhsa_exception_int_div_zero 0
	.end_amdhsa_kernel
	.section	.text._ZN9rocsparseL16sddmm_csx_kernelILi512ELi4EL20rocsparse_direction_0EfllDF16_DF16_fEEv20rocsparse_operation_S2_16rocsparse_order_S3_T4_S4_S4_T3_NS_24const_host_device_scalarIT2_EEPKT5_lPKT6_lS8_PT7_PKS5_PKS4_21rocsparse_index_base_b,"axG",@progbits,_ZN9rocsparseL16sddmm_csx_kernelILi512ELi4EL20rocsparse_direction_0EfllDF16_DF16_fEEv20rocsparse_operation_S2_16rocsparse_order_S3_T4_S4_S4_T3_NS_24const_host_device_scalarIT2_EEPKT5_lPKT6_lS8_PT7_PKS5_PKS4_21rocsparse_index_base_b,comdat
.Lfunc_end234:
	.size	_ZN9rocsparseL16sddmm_csx_kernelILi512ELi4EL20rocsparse_direction_0EfllDF16_DF16_fEEv20rocsparse_operation_S2_16rocsparse_order_S3_T4_S4_S4_T3_NS_24const_host_device_scalarIT2_EEPKT5_lPKT6_lS8_PT7_PKS5_PKS4_21rocsparse_index_base_b, .Lfunc_end234-_ZN9rocsparseL16sddmm_csx_kernelILi512ELi4EL20rocsparse_direction_0EfllDF16_DF16_fEEv20rocsparse_operation_S2_16rocsparse_order_S3_T4_S4_S4_T3_NS_24const_host_device_scalarIT2_EEPKT5_lPKT6_lS8_PT7_PKS5_PKS4_21rocsparse_index_base_b
                                        ; -- End function
	.set _ZN9rocsparseL16sddmm_csx_kernelILi512ELi4EL20rocsparse_direction_0EfllDF16_DF16_fEEv20rocsparse_operation_S2_16rocsparse_order_S3_T4_S4_S4_T3_NS_24const_host_device_scalarIT2_EEPKT5_lPKT6_lS8_PT7_PKS5_PKS4_21rocsparse_index_base_b.num_vgpr, 21
	.set _ZN9rocsparseL16sddmm_csx_kernelILi512ELi4EL20rocsparse_direction_0EfllDF16_DF16_fEEv20rocsparse_operation_S2_16rocsparse_order_S3_T4_S4_S4_T3_NS_24const_host_device_scalarIT2_EEPKT5_lPKT6_lS8_PT7_PKS5_PKS4_21rocsparse_index_base_b.num_agpr, 0
	.set _ZN9rocsparseL16sddmm_csx_kernelILi512ELi4EL20rocsparse_direction_0EfllDF16_DF16_fEEv20rocsparse_operation_S2_16rocsparse_order_S3_T4_S4_S4_T3_NS_24const_host_device_scalarIT2_EEPKT5_lPKT6_lS8_PT7_PKS5_PKS4_21rocsparse_index_base_b.numbered_sgpr, 36
	.set _ZN9rocsparseL16sddmm_csx_kernelILi512ELi4EL20rocsparse_direction_0EfllDF16_DF16_fEEv20rocsparse_operation_S2_16rocsparse_order_S3_T4_S4_S4_T3_NS_24const_host_device_scalarIT2_EEPKT5_lPKT6_lS8_PT7_PKS5_PKS4_21rocsparse_index_base_b.num_named_barrier, 0
	.set _ZN9rocsparseL16sddmm_csx_kernelILi512ELi4EL20rocsparse_direction_0EfllDF16_DF16_fEEv20rocsparse_operation_S2_16rocsparse_order_S3_T4_S4_S4_T3_NS_24const_host_device_scalarIT2_EEPKT5_lPKT6_lS8_PT7_PKS5_PKS4_21rocsparse_index_base_b.private_seg_size, 0
	.set _ZN9rocsparseL16sddmm_csx_kernelILi512ELi4EL20rocsparse_direction_0EfllDF16_DF16_fEEv20rocsparse_operation_S2_16rocsparse_order_S3_T4_S4_S4_T3_NS_24const_host_device_scalarIT2_EEPKT5_lPKT6_lS8_PT7_PKS5_PKS4_21rocsparse_index_base_b.uses_vcc, 1
	.set _ZN9rocsparseL16sddmm_csx_kernelILi512ELi4EL20rocsparse_direction_0EfllDF16_DF16_fEEv20rocsparse_operation_S2_16rocsparse_order_S3_T4_S4_S4_T3_NS_24const_host_device_scalarIT2_EEPKT5_lPKT6_lS8_PT7_PKS5_PKS4_21rocsparse_index_base_b.uses_flat_scratch, 0
	.set _ZN9rocsparseL16sddmm_csx_kernelILi512ELi4EL20rocsparse_direction_0EfllDF16_DF16_fEEv20rocsparse_operation_S2_16rocsparse_order_S3_T4_S4_S4_T3_NS_24const_host_device_scalarIT2_EEPKT5_lPKT6_lS8_PT7_PKS5_PKS4_21rocsparse_index_base_b.has_dyn_sized_stack, 0
	.set _ZN9rocsparseL16sddmm_csx_kernelILi512ELi4EL20rocsparse_direction_0EfllDF16_DF16_fEEv20rocsparse_operation_S2_16rocsparse_order_S3_T4_S4_S4_T3_NS_24const_host_device_scalarIT2_EEPKT5_lPKT6_lS8_PT7_PKS5_PKS4_21rocsparse_index_base_b.has_recursion, 0
	.set _ZN9rocsparseL16sddmm_csx_kernelILi512ELi4EL20rocsparse_direction_0EfllDF16_DF16_fEEv20rocsparse_operation_S2_16rocsparse_order_S3_T4_S4_S4_T3_NS_24const_host_device_scalarIT2_EEPKT5_lPKT6_lS8_PT7_PKS5_PKS4_21rocsparse_index_base_b.has_indirect_call, 0
	.section	.AMDGPU.csdata,"",@progbits
; Kernel info:
; codeLenInByte = 1112
; TotalNumSgprs: 42
; NumVgprs: 21
; NumAgprs: 0
; TotalNumVgprs: 21
; ScratchSize: 0
; MemoryBound: 0
; FloatMode: 240
; IeeeMode: 1
; LDSByteSize: 2048 bytes/workgroup (compile time only)
; SGPRBlocks: 5
; VGPRBlocks: 2
; NumSGPRsForWavesPerEU: 42
; NumVGPRsForWavesPerEU: 21
; AccumOffset: 24
; Occupancy: 8
; WaveLimiterHint : 0
; COMPUTE_PGM_RSRC2:SCRATCH_EN: 0
; COMPUTE_PGM_RSRC2:USER_SGPR: 2
; COMPUTE_PGM_RSRC2:TRAP_HANDLER: 0
; COMPUTE_PGM_RSRC2:TGID_X_EN: 1
; COMPUTE_PGM_RSRC2:TGID_Y_EN: 0
; COMPUTE_PGM_RSRC2:TGID_Z_EN: 0
; COMPUTE_PGM_RSRC2:TIDIG_COMP_CNT: 0
; COMPUTE_PGM_RSRC3_GFX90A:ACCUM_OFFSET: 5
; COMPUTE_PGM_RSRC3_GFX90A:TG_SPLIT: 0
	.section	.text._ZN9rocsparseL16sddmm_csx_kernelILi512ELi2EL20rocsparse_direction_0EfllDF16_DF16_fEEv20rocsparse_operation_S2_16rocsparse_order_S3_T4_S4_S4_T3_NS_24const_host_device_scalarIT2_EEPKT5_lPKT6_lS8_PT7_PKS5_PKS4_21rocsparse_index_base_b,"axG",@progbits,_ZN9rocsparseL16sddmm_csx_kernelILi512ELi2EL20rocsparse_direction_0EfllDF16_DF16_fEEv20rocsparse_operation_S2_16rocsparse_order_S3_T4_S4_S4_T3_NS_24const_host_device_scalarIT2_EEPKT5_lPKT6_lS8_PT7_PKS5_PKS4_21rocsparse_index_base_b,comdat
	.globl	_ZN9rocsparseL16sddmm_csx_kernelILi512ELi2EL20rocsparse_direction_0EfllDF16_DF16_fEEv20rocsparse_operation_S2_16rocsparse_order_S3_T4_S4_S4_T3_NS_24const_host_device_scalarIT2_EEPKT5_lPKT6_lS8_PT7_PKS5_PKS4_21rocsparse_index_base_b ; -- Begin function _ZN9rocsparseL16sddmm_csx_kernelILi512ELi2EL20rocsparse_direction_0EfllDF16_DF16_fEEv20rocsparse_operation_S2_16rocsparse_order_S3_T4_S4_S4_T3_NS_24const_host_device_scalarIT2_EEPKT5_lPKT6_lS8_PT7_PKS5_PKS4_21rocsparse_index_base_b
	.p2align	8
	.type	_ZN9rocsparseL16sddmm_csx_kernelILi512ELi2EL20rocsparse_direction_0EfllDF16_DF16_fEEv20rocsparse_operation_S2_16rocsparse_order_S3_T4_S4_S4_T3_NS_24const_host_device_scalarIT2_EEPKT5_lPKT6_lS8_PT7_PKS5_PKS4_21rocsparse_index_base_b,@function
_ZN9rocsparseL16sddmm_csx_kernelILi512ELi2EL20rocsparse_direction_0EfllDF16_DF16_fEEv20rocsparse_operation_S2_16rocsparse_order_S3_T4_S4_S4_T3_NS_24const_host_device_scalarIT2_EEPKT5_lPKT6_lS8_PT7_PKS5_PKS4_21rocsparse_index_base_b: ; @_ZN9rocsparseL16sddmm_csx_kernelILi512ELi2EL20rocsparse_direction_0EfllDF16_DF16_fEEv20rocsparse_operation_S2_16rocsparse_order_S3_T4_S4_S4_T3_NS_24const_host_device_scalarIT2_EEPKT5_lPKT6_lS8_PT7_PKS5_PKS4_21rocsparse_index_base_b
; %bb.0:
	s_load_dwordx2 s[10:11], s[0:1], 0x78
	s_load_dwordx2 s[6:7], s[0:1], 0x30
	s_load_dwordx4 s[12:15], s[0:1], 0x50
	s_waitcnt lgkmcnt(0)
	s_bitcmp1_b32 s11, 0
	s_cselect_b64 s[8:9], -1, 0
	s_xor_b64 s[4:5], s[8:9], -1
	s_and_b64 vcc, exec, s[8:9]
	s_mov_b32 s17, s6
	s_cbranch_vccnz .LBB235_2
; %bb.1:
	s_load_dword s17, s[6:7], 0x0
.LBB235_2:
	s_andn2_b64 vcc, exec, s[4:5]
	s_mov_b32 s16, s14
	s_cbranch_vccnz .LBB235_4
; %bb.3:
	s_load_dword s16, s[14:15], 0x0
.LBB235_4:
	s_waitcnt lgkmcnt(0)
	v_cmp_eq_f32_e64 s[4:5], s17, 0
	v_cmp_eq_f32_e64 s[6:7], s16, 1.0
	s_and_b64 s[4:5], s[4:5], s[6:7]
	s_and_b64 vcc, exec, s[4:5]
	s_cbranch_vccnz .LBB235_32
; %bb.5:
	s_load_dwordx2 s[4:5], s[0:1], 0x10
	v_lshrrev_b32_e32 v6, 1, v0
	v_lshl_or_b32 v2, s2, 8, v6
	v_mov_b32_e32 v3, 0
	s_waitcnt lgkmcnt(0)
	v_cmp_gt_i64_e32 vcc, s[4:5], v[2:3]
	s_and_saveexec_b64 s[2:3], vcc
	s_cbranch_execz .LBB235_32
; %bb.6:
	s_load_dwordx4 s[4:7], s[0:1], 0x0
	s_load_dwordx2 s[14:15], s[0:1], 0x68
	s_load_dwordx2 s[2:3], s[0:1], 0x40
	s_waitcnt lgkmcnt(0)
	s_cmp_eq_u32 s6, 1
	s_cselect_b64 s[8:9], -1, 0
	s_cmpk_eq_i32 s4, 0x6f
	s_cselect_b64 s[18:19], -1, 0
	s_cmpk_lg_i32 s4, 0x6f
	s_cselect_b64 s[20:21], -1, 0
	s_cmp_lg_u32 s6, 1
	s_cbranch_scc0 .LBB235_10
; %bb.7:
	s_andn2_b64 vcc, exec, s[18:19]
	v_mov_b64_e32 v[8:9], v[2:3]
	s_cbranch_vccnz .LBB235_9
; %bb.8:
	v_mad_u64_u32 v[8:9], s[22:23], s2, v2, 0
	v_mov_b32_e32 v4, v9
	v_mad_u64_u32 v[4:5], s[22:23], s3, v2, v[4:5]
	v_mov_b32_e32 v9, v4
.LBB235_9:
	s_cbranch_execz .LBB235_11
	s_branch .LBB235_13
.LBB235_10:
                                        ; implicit-def: $vgpr8_vgpr9
.LBB235_11:
	s_andn2_b64 vcc, exec, s[20:21]
	v_mov_b64_e32 v[8:9], v[2:3]
	s_cbranch_vccnz .LBB235_13
; %bb.12:
	v_mad_u64_u32 v[8:9], s[20:21], s2, v2, 0
	v_mov_b32_e32 v4, v9
	v_mad_u64_u32 v[4:5], s[20:21], s3, v2, v[4:5]
	v_mov_b32_e32 v9, v4
.LBB235_13:
	v_lshl_add_u64 v[2:3], v[2:3], 3, s[14:15]
	global_load_dwordx4 v[2:5], v[2:3], off
	s_waitcnt vmcnt(0)
	v_cmp_lt_i64_e32 vcc, v[2:3], v[4:5]
	s_and_b64 exec, exec, vcc
	s_cbranch_execz .LBB235_32
; %bb.14:
	s_xor_b64 s[8:9], s[18:19], s[8:9]
	s_and_b64 s[8:9], s[8:9], exec
	s_cselect_b32 s9, 0, s3
	s_cselect_b32 s8, 1, s2
	s_cmp_lg_u32 s7, 1
	s_cselect_b64 s[18:19], -1, 0
	s_cmp_eq_u32 s7, 1
	s_cselect_b64 s[2:3], -1, 0
	s_cmpk_eq_i32 s5, 0x6f
	s_cselect_b64 s[6:7], -1, 0
	s_cmpk_lg_i32 s5, 0x6f
	s_load_dwordx2 s[24:25], s[0:1], 0x48
	s_load_dwordx2 s[20:21], s[0:1], 0x60
	s_load_dwordx2 s[26:27], s[0:1], 0x38
	s_load_dwordx2 s[22:23], s[0:1], 0x20
	s_load_dwordx2 s[14:15], s[0:1], 0x70
	s_cselect_b64 s[4:5], -1, 0
	s_xor_b64 s[2:3], s[6:7], s[2:3]
	s_and_b64 s[2:3], s[2:3], exec
	v_and_b32_e32 v0, 1, v0
	v_subrev_co_u32_e32 v2, vcc, s10, v2
	v_cndmask_b32_e64 v12, 0, 1, s[6:7]
	s_cselect_b32 s7, s13, 0
	s_cselect_b32 s6, s12, 1
	v_subbrev_co_u32_e32 v3, vcc, 0, v3, vcc
	v_mul_lo_u32 v11, s9, v0
	v_mul_lo_u32 v10, s8, v0
	v_lshlrev_b64 v[8:9], 1, v[8:9]
	v_mov_b32_e32 v1, 0
	v_lshlrev_b32_e32 v16, 3, v6
	v_subrev_co_u32_e32 v4, vcc, s10, v4
	v_mul_lo_u32 v7, s7, v0
	v_mul_lo_u32 v6, s6, v0
	v_lshl_add_u64 v[8:9], v[10:11], 1, v[8:9]
	v_cndmask_b32_e64 v10, 0, 1, s[4:5]
	s_waitcnt lgkmcnt(0)
	v_cmp_gt_i64_e64 s[0:1], s[22:23], v[0:1]
	v_lshl_or_b32 v17, v0, 2, v16
	v_cmp_eq_u32_e64 s[2:3], 0, v0
	v_subbrev_co_u32_e32 v5, vcc, 0, v5, vcc
	v_lshl_add_u64 v[6:7], v[6:7], 1, s[24:25]
	s_lshl_b64 s[24:25], s[6:7], 2
	v_lshl_add_u64 v[8:9], s[26:27], 0, v[8:9]
	s_lshl_b64 s[26:27], s[8:9], 2
	s_mov_b64 s[28:29], 0
	v_cmp_ne_u32_e64 s[4:5], 1, v10
	v_cmp_ne_u32_e64 s[6:7], 1, v12
	s_branch .LBB235_16
.LBB235_15:                             ;   in Loop: Header=BB235_16 Depth=1
	s_or_b64 exec, exec, s[8:9]
	v_lshl_add_u64 v[2:3], v[2:3], 0, 1
	v_cmp_ge_i64_e32 vcc, v[2:3], v[4:5]
	s_or_b64 s[28:29], vcc, s[28:29]
	s_andn2_b64 exec, exec, s[28:29]
	s_cbranch_execz .LBB235_32
.LBB235_16:                             ; =>This Loop Header: Depth=1
                                        ;     Child Loop BB235_26 Depth 2
	v_lshl_add_u64 v[10:11], v[2:3], 3, s[14:15]
	global_load_dwordx2 v[10:11], v[10:11], off
	s_mov_b64 s[30:31], -1
	s_and_b64 vcc, exec, s[18:19]
                                        ; implicit-def: $vgpr12_vgpr13
	s_waitcnt vmcnt(0)
	v_subrev_co_u32_e64 v10, s[8:9], s10, v10
	s_nop 1
	v_subbrev_co_u32_e64 v11, s[8:9], 0, v11, s[8:9]
	s_cbranch_vccnz .LBB235_19
; %bb.17:                               ;   in Loop: Header=BB235_16 Depth=1
	s_andn2_b64 vcc, exec, s[30:31]
	s_cbranch_vccz .LBB235_22
.LBB235_18:                             ;   in Loop: Header=BB235_16 Depth=1
	v_mov_b32_e32 v18, 0
	s_and_saveexec_b64 s[8:9], s[0:1]
	s_cbranch_execnz .LBB235_25
	s_branch .LBB235_28
.LBB235_19:                             ;   in Loop: Header=BB235_16 Depth=1
	s_and_b64 vcc, exec, s[4:5]
	v_mov_b64_e32 v[12:13], v[10:11]
	s_cbranch_vccnz .LBB235_21
; %bb.20:                               ;   in Loop: Header=BB235_16 Depth=1
	v_mul_lo_u32 v14, v11, s12
	v_mul_lo_u32 v15, v10, s13
	v_mad_u64_u32 v[12:13], s[8:9], v10, s12, 0
	v_add3_u32 v13, v13, v15, v14
.LBB235_21:                             ;   in Loop: Header=BB235_16 Depth=1
	s_cbranch_execnz .LBB235_18
.LBB235_22:                             ;   in Loop: Header=BB235_16 Depth=1
	s_and_b64 vcc, exec, s[6:7]
	s_cbranch_vccnz .LBB235_24
; %bb.23:                               ;   in Loop: Header=BB235_16 Depth=1
	v_mul_lo_u32 v12, v11, s12
	v_mul_lo_u32 v13, v10, s13
	v_mad_u64_u32 v[10:11], s[8:9], v10, s12, 0
	v_add3_u32 v11, v11, v13, v12
.LBB235_24:                             ;   in Loop: Header=BB235_16 Depth=1
	v_mov_b64_e32 v[12:13], v[10:11]
	v_mov_b32_e32 v18, 0
	s_and_saveexec_b64 s[8:9], s[0:1]
	s_cbranch_execz .LBB235_28
.LBB235_25:                             ;   in Loop: Header=BB235_16 Depth=1
	v_lshl_add_u64 v[10:11], v[12:13], 1, v[6:7]
	v_mov_b32_e32 v18, 0
	s_mov_b64 s[30:31], 0
	v_mov_b64_e32 v[12:13], v[8:9]
	v_mov_b64_e32 v[14:15], v[0:1]
.LBB235_26:                             ;   Parent Loop BB235_16 Depth=1
                                        ; =>  This Inner Loop Header: Depth=2
	global_load_ushort v19, v[12:13], off
	global_load_ushort v20, v[10:11], off
	v_lshl_add_u64 v[14:15], v[14:15], 0, 2
	v_cmp_le_i64_e32 vcc, s[22:23], v[14:15]
	v_lshl_add_u64 v[10:11], v[10:11], 0, s[24:25]
	v_lshl_add_u64 v[12:13], v[12:13], 0, s[26:27]
	s_or_b64 s[30:31], vcc, s[30:31]
	s_waitcnt vmcnt(0)
	v_mul_f16_e32 v19, v19, v20
	v_cvt_f32_f16_e32 v19, v19
	v_add_f32_e32 v18, v18, v19
	s_andn2_b64 exec, exec, s[30:31]
	s_cbranch_execnz .LBB235_26
; %bb.27:                               ;   in Loop: Header=BB235_16 Depth=1
	s_or_b64 exec, exec, s[30:31]
.LBB235_28:                             ;   in Loop: Header=BB235_16 Depth=1
	s_or_b64 exec, exec, s[8:9]
	ds_write_b32 v17, v18
	s_waitcnt lgkmcnt(0)
	s_barrier
	s_and_saveexec_b64 s[8:9], s[2:3]
	s_cbranch_execz .LBB235_30
; %bb.29:                               ;   in Loop: Header=BB235_16 Depth=1
	ds_read_b32 v10, v16 offset:4
	ds_read_b32 v11, v17
	s_waitcnt lgkmcnt(0)
	v_add_f32_e32 v10, v10, v11
	ds_write_b32 v17, v10
.LBB235_30:                             ;   in Loop: Header=BB235_16 Depth=1
	s_or_b64 exec, exec, s[8:9]
	s_waitcnt lgkmcnt(0)
	s_barrier
	s_and_saveexec_b64 s[8:9], s[2:3]
	s_cbranch_execz .LBB235_15
; %bb.31:                               ;   in Loop: Header=BB235_16 Depth=1
	v_lshl_add_u64 v[10:11], v[2:3], 2, s[20:21]
	global_load_dword v12, v[10:11], off
	ds_read_b32 v13, v16
	s_waitcnt vmcnt(0) lgkmcnt(0)
	v_pk_mul_f32 v[12:13], s[16:17], v[12:13]
	s_nop 0
	v_add_f32_e32 v12, v12, v13
	global_store_dword v[10:11], v12, off
	s_branch .LBB235_15
.LBB235_32:
	s_endpgm
	.section	.rodata,"a",@progbits
	.p2align	6, 0x0
	.amdhsa_kernel _ZN9rocsparseL16sddmm_csx_kernelILi512ELi2EL20rocsparse_direction_0EfllDF16_DF16_fEEv20rocsparse_operation_S2_16rocsparse_order_S3_T4_S4_S4_T3_NS_24const_host_device_scalarIT2_EEPKT5_lPKT6_lS8_PT7_PKS5_PKS4_21rocsparse_index_base_b
		.amdhsa_group_segment_fixed_size 2048
		.amdhsa_private_segment_fixed_size 0
		.amdhsa_kernarg_size 128
		.amdhsa_user_sgpr_count 2
		.amdhsa_user_sgpr_dispatch_ptr 0
		.amdhsa_user_sgpr_queue_ptr 0
		.amdhsa_user_sgpr_kernarg_segment_ptr 1
		.amdhsa_user_sgpr_dispatch_id 0
		.amdhsa_user_sgpr_kernarg_preload_length 0
		.amdhsa_user_sgpr_kernarg_preload_offset 0
		.amdhsa_user_sgpr_private_segment_size 0
		.amdhsa_uses_dynamic_stack 0
		.amdhsa_enable_private_segment 0
		.amdhsa_system_sgpr_workgroup_id_x 1
		.amdhsa_system_sgpr_workgroup_id_y 0
		.amdhsa_system_sgpr_workgroup_id_z 0
		.amdhsa_system_sgpr_workgroup_info 0
		.amdhsa_system_vgpr_workitem_id 0
		.amdhsa_next_free_vgpr 21
		.amdhsa_next_free_sgpr 32
		.amdhsa_accum_offset 24
		.amdhsa_reserve_vcc 1
		.amdhsa_float_round_mode_32 0
		.amdhsa_float_round_mode_16_64 0
		.amdhsa_float_denorm_mode_32 3
		.amdhsa_float_denorm_mode_16_64 3
		.amdhsa_dx10_clamp 1
		.amdhsa_ieee_mode 1
		.amdhsa_fp16_overflow 0
		.amdhsa_tg_split 0
		.amdhsa_exception_fp_ieee_invalid_op 0
		.amdhsa_exception_fp_denorm_src 0
		.amdhsa_exception_fp_ieee_div_zero 0
		.amdhsa_exception_fp_ieee_overflow 0
		.amdhsa_exception_fp_ieee_underflow 0
		.amdhsa_exception_fp_ieee_inexact 0
		.amdhsa_exception_int_div_zero 0
	.end_amdhsa_kernel
	.section	.text._ZN9rocsparseL16sddmm_csx_kernelILi512ELi2EL20rocsparse_direction_0EfllDF16_DF16_fEEv20rocsparse_operation_S2_16rocsparse_order_S3_T4_S4_S4_T3_NS_24const_host_device_scalarIT2_EEPKT5_lPKT6_lS8_PT7_PKS5_PKS4_21rocsparse_index_base_b,"axG",@progbits,_ZN9rocsparseL16sddmm_csx_kernelILi512ELi2EL20rocsparse_direction_0EfllDF16_DF16_fEEv20rocsparse_operation_S2_16rocsparse_order_S3_T4_S4_S4_T3_NS_24const_host_device_scalarIT2_EEPKT5_lPKT6_lS8_PT7_PKS5_PKS4_21rocsparse_index_base_b,comdat
.Lfunc_end235:
	.size	_ZN9rocsparseL16sddmm_csx_kernelILi512ELi2EL20rocsparse_direction_0EfllDF16_DF16_fEEv20rocsparse_operation_S2_16rocsparse_order_S3_T4_S4_S4_T3_NS_24const_host_device_scalarIT2_EEPKT5_lPKT6_lS8_PT7_PKS5_PKS4_21rocsparse_index_base_b, .Lfunc_end235-_ZN9rocsparseL16sddmm_csx_kernelILi512ELi2EL20rocsparse_direction_0EfllDF16_DF16_fEEv20rocsparse_operation_S2_16rocsparse_order_S3_T4_S4_S4_T3_NS_24const_host_device_scalarIT2_EEPKT5_lPKT6_lS8_PT7_PKS5_PKS4_21rocsparse_index_base_b
                                        ; -- End function
	.set _ZN9rocsparseL16sddmm_csx_kernelILi512ELi2EL20rocsparse_direction_0EfllDF16_DF16_fEEv20rocsparse_operation_S2_16rocsparse_order_S3_T4_S4_S4_T3_NS_24const_host_device_scalarIT2_EEPKT5_lPKT6_lS8_PT7_PKS5_PKS4_21rocsparse_index_base_b.num_vgpr, 21
	.set _ZN9rocsparseL16sddmm_csx_kernelILi512ELi2EL20rocsparse_direction_0EfllDF16_DF16_fEEv20rocsparse_operation_S2_16rocsparse_order_S3_T4_S4_S4_T3_NS_24const_host_device_scalarIT2_EEPKT5_lPKT6_lS8_PT7_PKS5_PKS4_21rocsparse_index_base_b.num_agpr, 0
	.set _ZN9rocsparseL16sddmm_csx_kernelILi512ELi2EL20rocsparse_direction_0EfllDF16_DF16_fEEv20rocsparse_operation_S2_16rocsparse_order_S3_T4_S4_S4_T3_NS_24const_host_device_scalarIT2_EEPKT5_lPKT6_lS8_PT7_PKS5_PKS4_21rocsparse_index_base_b.numbered_sgpr, 32
	.set _ZN9rocsparseL16sddmm_csx_kernelILi512ELi2EL20rocsparse_direction_0EfllDF16_DF16_fEEv20rocsparse_operation_S2_16rocsparse_order_S3_T4_S4_S4_T3_NS_24const_host_device_scalarIT2_EEPKT5_lPKT6_lS8_PT7_PKS5_PKS4_21rocsparse_index_base_b.num_named_barrier, 0
	.set _ZN9rocsparseL16sddmm_csx_kernelILi512ELi2EL20rocsparse_direction_0EfllDF16_DF16_fEEv20rocsparse_operation_S2_16rocsparse_order_S3_T4_S4_S4_T3_NS_24const_host_device_scalarIT2_EEPKT5_lPKT6_lS8_PT7_PKS5_PKS4_21rocsparse_index_base_b.private_seg_size, 0
	.set _ZN9rocsparseL16sddmm_csx_kernelILi512ELi2EL20rocsparse_direction_0EfllDF16_DF16_fEEv20rocsparse_operation_S2_16rocsparse_order_S3_T4_S4_S4_T3_NS_24const_host_device_scalarIT2_EEPKT5_lPKT6_lS8_PT7_PKS5_PKS4_21rocsparse_index_base_b.uses_vcc, 1
	.set _ZN9rocsparseL16sddmm_csx_kernelILi512ELi2EL20rocsparse_direction_0EfllDF16_DF16_fEEv20rocsparse_operation_S2_16rocsparse_order_S3_T4_S4_S4_T3_NS_24const_host_device_scalarIT2_EEPKT5_lPKT6_lS8_PT7_PKS5_PKS4_21rocsparse_index_base_b.uses_flat_scratch, 0
	.set _ZN9rocsparseL16sddmm_csx_kernelILi512ELi2EL20rocsparse_direction_0EfllDF16_DF16_fEEv20rocsparse_operation_S2_16rocsparse_order_S3_T4_S4_S4_T3_NS_24const_host_device_scalarIT2_EEPKT5_lPKT6_lS8_PT7_PKS5_PKS4_21rocsparse_index_base_b.has_dyn_sized_stack, 0
	.set _ZN9rocsparseL16sddmm_csx_kernelILi512ELi2EL20rocsparse_direction_0EfllDF16_DF16_fEEv20rocsparse_operation_S2_16rocsparse_order_S3_T4_S4_S4_T3_NS_24const_host_device_scalarIT2_EEPKT5_lPKT6_lS8_PT7_PKS5_PKS4_21rocsparse_index_base_b.has_recursion, 0
	.set _ZN9rocsparseL16sddmm_csx_kernelILi512ELi2EL20rocsparse_direction_0EfllDF16_DF16_fEEv20rocsparse_operation_S2_16rocsparse_order_S3_T4_S4_S4_T3_NS_24const_host_device_scalarIT2_EEPKT5_lPKT6_lS8_PT7_PKS5_PKS4_21rocsparse_index_base_b.has_indirect_call, 0
	.section	.AMDGPU.csdata,"",@progbits
; Kernel info:
; codeLenInByte = 1044
; TotalNumSgprs: 38
; NumVgprs: 21
; NumAgprs: 0
; TotalNumVgprs: 21
; ScratchSize: 0
; MemoryBound: 0
; FloatMode: 240
; IeeeMode: 1
; LDSByteSize: 2048 bytes/workgroup (compile time only)
; SGPRBlocks: 4
; VGPRBlocks: 2
; NumSGPRsForWavesPerEU: 38
; NumVGPRsForWavesPerEU: 21
; AccumOffset: 24
; Occupancy: 8
; WaveLimiterHint : 0
; COMPUTE_PGM_RSRC2:SCRATCH_EN: 0
; COMPUTE_PGM_RSRC2:USER_SGPR: 2
; COMPUTE_PGM_RSRC2:TRAP_HANDLER: 0
; COMPUTE_PGM_RSRC2:TGID_X_EN: 1
; COMPUTE_PGM_RSRC2:TGID_Y_EN: 0
; COMPUTE_PGM_RSRC2:TGID_Z_EN: 0
; COMPUTE_PGM_RSRC2:TIDIG_COMP_CNT: 0
; COMPUTE_PGM_RSRC3_GFX90A:ACCUM_OFFSET: 5
; COMPUTE_PGM_RSRC3_GFX90A:TG_SPLIT: 0
	.section	.text._ZN9rocsparseL16sddmm_csx_kernelILi512ELi1EL20rocsparse_direction_0EfllDF16_DF16_fEEv20rocsparse_operation_S2_16rocsparse_order_S3_T4_S4_S4_T3_NS_24const_host_device_scalarIT2_EEPKT5_lPKT6_lS8_PT7_PKS5_PKS4_21rocsparse_index_base_b,"axG",@progbits,_ZN9rocsparseL16sddmm_csx_kernelILi512ELi1EL20rocsparse_direction_0EfllDF16_DF16_fEEv20rocsparse_operation_S2_16rocsparse_order_S3_T4_S4_S4_T3_NS_24const_host_device_scalarIT2_EEPKT5_lPKT6_lS8_PT7_PKS5_PKS4_21rocsparse_index_base_b,comdat
	.globl	_ZN9rocsparseL16sddmm_csx_kernelILi512ELi1EL20rocsparse_direction_0EfllDF16_DF16_fEEv20rocsparse_operation_S2_16rocsparse_order_S3_T4_S4_S4_T3_NS_24const_host_device_scalarIT2_EEPKT5_lPKT6_lS8_PT7_PKS5_PKS4_21rocsparse_index_base_b ; -- Begin function _ZN9rocsparseL16sddmm_csx_kernelILi512ELi1EL20rocsparse_direction_0EfllDF16_DF16_fEEv20rocsparse_operation_S2_16rocsparse_order_S3_T4_S4_S4_T3_NS_24const_host_device_scalarIT2_EEPKT5_lPKT6_lS8_PT7_PKS5_PKS4_21rocsparse_index_base_b
	.p2align	8
	.type	_ZN9rocsparseL16sddmm_csx_kernelILi512ELi1EL20rocsparse_direction_0EfllDF16_DF16_fEEv20rocsparse_operation_S2_16rocsparse_order_S3_T4_S4_S4_T3_NS_24const_host_device_scalarIT2_EEPKT5_lPKT6_lS8_PT7_PKS5_PKS4_21rocsparse_index_base_b,@function
_ZN9rocsparseL16sddmm_csx_kernelILi512ELi1EL20rocsparse_direction_0EfllDF16_DF16_fEEv20rocsparse_operation_S2_16rocsparse_order_S3_T4_S4_S4_T3_NS_24const_host_device_scalarIT2_EEPKT5_lPKT6_lS8_PT7_PKS5_PKS4_21rocsparse_index_base_b: ; @_ZN9rocsparseL16sddmm_csx_kernelILi512ELi1EL20rocsparse_direction_0EfllDF16_DF16_fEEv20rocsparse_operation_S2_16rocsparse_order_S3_T4_S4_S4_T3_NS_24const_host_device_scalarIT2_EEPKT5_lPKT6_lS8_PT7_PKS5_PKS4_21rocsparse_index_base_b
; %bb.0:
	s_load_dwordx2 s[12:13], s[0:1], 0x78
	s_load_dwordx2 s[6:7], s[0:1], 0x30
	s_load_dwordx4 s[8:11], s[0:1], 0x50
	s_waitcnt lgkmcnt(0)
	s_bitcmp1_b32 s13, 0
	s_cselect_b64 s[14:15], -1, 0
	s_xor_b64 s[4:5], s[14:15], -1
	s_and_b64 vcc, exec, s[14:15]
	s_mov_b32 s15, s6
	s_cbranch_vccnz .LBB236_2
; %bb.1:
	s_load_dword s15, s[6:7], 0x0
.LBB236_2:
	s_andn2_b64 vcc, exec, s[4:5]
	s_mov_b32 s14, s10
	s_cbranch_vccnz .LBB236_4
; %bb.3:
	s_load_dword s14, s[10:11], 0x0
.LBB236_4:
	s_waitcnt lgkmcnt(0)
	v_cmp_eq_f32_e64 s[4:5], s15, 0
	v_cmp_eq_f32_e64 s[6:7], s14, 1.0
	s_and_b64 s[4:5], s[4:5], s[6:7]
	s_and_b64 vcc, exec, s[4:5]
	s_cbranch_vccnz .LBB236_28
; %bb.5:
	s_load_dwordx2 s[4:5], s[0:1], 0x10
	v_lshl_or_b32 v2, s2, 9, v0
	v_mov_b32_e32 v3, 0
	s_waitcnt lgkmcnt(0)
	v_cmp_gt_i64_e32 vcc, s[4:5], v[2:3]
	s_and_saveexec_b64 s[2:3], vcc
	s_cbranch_execz .LBB236_28
; %bb.6:
	s_load_dwordx4 s[4:7], s[0:1], 0x0
	s_load_dwordx2 s[10:11], s[0:1], 0x68
	s_load_dwordx2 s[2:3], s[0:1], 0x40
	s_waitcnt lgkmcnt(0)
	s_cmp_eq_u32 s6, 1
	s_cselect_b64 s[22:23], -1, 0
	s_cmpk_eq_i32 s4, 0x6f
	s_cselect_b64 s[24:25], -1, 0
	s_cmpk_lg_i32 s4, 0x6f
	s_cselect_b64 s[16:17], -1, 0
	s_cmp_lg_u32 s6, 1
	s_cbranch_scc0 .LBB236_10
; %bb.7:
	s_andn2_b64 vcc, exec, s[24:25]
	v_mov_b64_e32 v[6:7], v[2:3]
	s_cbranch_vccnz .LBB236_9
; %bb.8:
	v_mad_u64_u32 v[6:7], s[18:19], s2, v2, 0
	v_mov_b32_e32 v4, v7
	v_mad_u64_u32 v[4:5], s[18:19], s3, v2, v[4:5]
	v_mov_b32_e32 v7, v4
.LBB236_9:
	s_cbranch_execz .LBB236_11
	s_branch .LBB236_13
.LBB236_10:
                                        ; implicit-def: $vgpr6_vgpr7
.LBB236_11:
	s_andn2_b64 vcc, exec, s[16:17]
	v_mov_b64_e32 v[6:7], v[2:3]
	s_cbranch_vccnz .LBB236_13
; %bb.12:
	v_mad_u64_u32 v[6:7], s[16:17], s2, v2, 0
	v_mov_b32_e32 v4, v7
	v_mad_u64_u32 v[4:5], s[16:17], s3, v2, v[4:5]
	v_mov_b32_e32 v7, v4
.LBB236_13:
	v_lshl_add_u64 v[2:3], v[2:3], 3, s[10:11]
	global_load_dwordx4 v[2:5], v[2:3], off
	s_waitcnt vmcnt(0)
	v_cmp_lt_i64_e32 vcc, v[2:3], v[4:5]
	s_and_b64 exec, exec, vcc
	s_cbranch_execz .LBB236_28
; %bb.14:
	s_load_dwordx2 s[26:27], s[0:1], 0x38
	s_load_dwordx2 s[10:11], s[0:1], 0x70
	;; [unrolled: 1-line block ×5, first 2 shown]
	s_xor_b64 s[0:1], s[24:25], s[22:23]
	s_and_b64 s[0:1], s[0:1], exec
	s_cselect_b32 s1, 0, s3
	s_cselect_b32 s0, 1, s2
	s_cmp_lg_u32 s7, 1
	s_cselect_b64 s[22:23], -1, 0
	s_cmp_eq_u32 s7, 1
	s_cselect_b64 s[2:3], -1, 0
	s_cmpk_eq_i32 s5, 0x6f
	s_cselect_b64 s[6:7], -1, 0
	s_cmpk_lg_i32 s5, 0x6f
	v_subrev_co_u32_e32 v2, vcc, s12, v2
	s_cselect_b64 s[4:5], -1, 0
	s_xor_b64 s[2:3], s[6:7], s[2:3]
	v_subbrev_co_u32_e32 v3, vcc, 0, v3, vcc
	s_and_b64 s[2:3], s[2:3], exec
	v_lshlrev_b32_e32 v10, 2, v0
	v_subrev_co_u32_e32 v0, vcc, s12, v4
	v_cndmask_b32_e64 v4, 0, 1, s[4:5]
	s_waitcnt lgkmcnt(0)
	v_cmp_gt_i64_e64 s[4:5], s[20:21], 0
	v_cndmask_b32_e64 v8, 0, 1, s[6:7]
	s_cselect_b32 s3, s9, 0
	s_cselect_b32 s2, s8, 1
	s_lshl_b64 s[28:29], s[0:1], 1
	v_cmp_ne_u32_e64 s[0:1], 1, v4
	v_cndmask_b32_e64 v4, 0, 1, s[4:5]
	v_lshl_add_u64 v[6:7], v[6:7], 1, s[26:27]
	s_mov_b64 s[24:25], 0
	v_subbrev_co_u32_e32 v1, vcc, 0, v5, vcc
	s_lshl_b64 s[26:27], s[2:3], 1
	v_cmp_ne_u32_e64 s[2:3], 1, v8
	v_cmp_ne_u32_e64 s[4:5], 1, v4
	s_branch .LBB236_17
.LBB236_15:                             ;   in Loop: Header=BB236_17 Depth=1
	v_mov_b32_e32 v11, 0
.LBB236_16:                             ;   in Loop: Header=BB236_17 Depth=1
	v_lshl_add_u64 v[4:5], v[2:3], 2, s[18:19]
	ds_write_b32 v10, v11
	s_waitcnt lgkmcnt(0)
	s_barrier
	global_load_dword v8, v[4:5], off
	ds_read_b32 v9, v10
	v_lshl_add_u64 v[2:3], v[2:3], 0, 1
	v_cmp_ge_i64_e32 vcc, v[2:3], v[0:1]
	s_or_b64 s[24:25], vcc, s[24:25]
	s_waitcnt vmcnt(0) lgkmcnt(0)
	v_pk_mul_f32 v[8:9], s[14:15], v[8:9]
	s_nop 0
	v_add_f32_e32 v8, v8, v9
	global_store_dword v[4:5], v8, off
	s_andn2_b64 exec, exec, s[24:25]
	s_cbranch_execz .LBB236_28
.LBB236_17:                             ; =>This Loop Header: Depth=1
                                        ;     Child Loop BB236_27 Depth 2
	v_lshl_add_u64 v[4:5], v[2:3], 3, s[10:11]
	global_load_dwordx2 v[4:5], v[4:5], off
	s_and_b64 vcc, exec, s[22:23]
	s_mov_b64 s[30:31], -1
                                        ; implicit-def: $vgpr8_vgpr9
	s_waitcnt vmcnt(0)
	v_subrev_co_u32_e64 v4, s[6:7], s12, v4
	s_nop 1
	v_subbrev_co_u32_e64 v5, s[6:7], 0, v5, s[6:7]
	s_cbranch_vccnz .LBB236_20
; %bb.18:                               ;   in Loop: Header=BB236_17 Depth=1
	s_andn2_b64 vcc, exec, s[30:31]
	s_cbranch_vccz .LBB236_23
.LBB236_19:                             ;   in Loop: Header=BB236_17 Depth=1
	s_and_b64 vcc, exec, s[4:5]
	s_cbranch_vccz .LBB236_26
	s_branch .LBB236_15
.LBB236_20:                             ;   in Loop: Header=BB236_17 Depth=1
	s_and_b64 vcc, exec, s[0:1]
	v_mov_b64_e32 v[8:9], v[4:5]
	s_cbranch_vccnz .LBB236_22
; %bb.21:                               ;   in Loop: Header=BB236_17 Depth=1
	v_mul_lo_u32 v11, v5, s8
	v_mul_lo_u32 v12, v4, s9
	v_mad_u64_u32 v[8:9], s[6:7], v4, s8, 0
	v_add3_u32 v9, v9, v12, v11
.LBB236_22:                             ;   in Loop: Header=BB236_17 Depth=1
	s_cbranch_execnz .LBB236_19
.LBB236_23:                             ;   in Loop: Header=BB236_17 Depth=1
	s_and_b64 vcc, exec, s[2:3]
	s_cbranch_vccnz .LBB236_25
; %bb.24:                               ;   in Loop: Header=BB236_17 Depth=1
	v_mul_lo_u32 v8, v5, s8
	v_mul_lo_u32 v9, v4, s9
	v_mad_u64_u32 v[4:5], s[6:7], v4, s8, 0
	v_add3_u32 v5, v5, v9, v8
.LBB236_25:                             ;   in Loop: Header=BB236_17 Depth=1
	v_mov_b64_e32 v[8:9], v[4:5]
	s_and_b64 vcc, exec, s[4:5]
	s_cbranch_vccnz .LBB236_15
.LBB236_26:                             ;   in Loop: Header=BB236_17 Depth=1
	v_lshl_add_u64 v[4:5], v[8:9], 1, s[16:17]
	v_mov_b32_e32 v11, 0
	v_mov_b64_e32 v[8:9], v[6:7]
	s_mov_b64 s[6:7], s[20:21]
.LBB236_27:                             ;   Parent Loop BB236_17 Depth=1
                                        ; =>  This Inner Loop Header: Depth=2
	global_load_ushort v12, v[8:9], off
	global_load_ushort v13, v[4:5], off
	s_add_u32 s6, s6, -1
	s_addc_u32 s7, s7, -1
	v_lshl_add_u64 v[4:5], v[4:5], 0, s[26:27]
	v_lshl_add_u64 v[8:9], v[8:9], 0, s[28:29]
	s_cmp_eq_u64 s[6:7], 0
	s_waitcnt vmcnt(0)
	v_mul_f16_e32 v12, v12, v13
	v_cvt_f32_f16_e32 v12, v12
	v_add_f32_e32 v11, v11, v12
	s_cbranch_scc0 .LBB236_27
	s_branch .LBB236_16
.LBB236_28:
	s_endpgm
	.section	.rodata,"a",@progbits
	.p2align	6, 0x0
	.amdhsa_kernel _ZN9rocsparseL16sddmm_csx_kernelILi512ELi1EL20rocsparse_direction_0EfllDF16_DF16_fEEv20rocsparse_operation_S2_16rocsparse_order_S3_T4_S4_S4_T3_NS_24const_host_device_scalarIT2_EEPKT5_lPKT6_lS8_PT7_PKS5_PKS4_21rocsparse_index_base_b
		.amdhsa_group_segment_fixed_size 2048
		.amdhsa_private_segment_fixed_size 0
		.amdhsa_kernarg_size 128
		.amdhsa_user_sgpr_count 2
		.amdhsa_user_sgpr_dispatch_ptr 0
		.amdhsa_user_sgpr_queue_ptr 0
		.amdhsa_user_sgpr_kernarg_segment_ptr 1
		.amdhsa_user_sgpr_dispatch_id 0
		.amdhsa_user_sgpr_kernarg_preload_length 0
		.amdhsa_user_sgpr_kernarg_preload_offset 0
		.amdhsa_user_sgpr_private_segment_size 0
		.amdhsa_uses_dynamic_stack 0
		.amdhsa_enable_private_segment 0
		.amdhsa_system_sgpr_workgroup_id_x 1
		.amdhsa_system_sgpr_workgroup_id_y 0
		.amdhsa_system_sgpr_workgroup_id_z 0
		.amdhsa_system_sgpr_workgroup_info 0
		.amdhsa_system_vgpr_workitem_id 0
		.amdhsa_next_free_vgpr 14
		.amdhsa_next_free_sgpr 32
		.amdhsa_accum_offset 16
		.amdhsa_reserve_vcc 1
		.amdhsa_float_round_mode_32 0
		.amdhsa_float_round_mode_16_64 0
		.amdhsa_float_denorm_mode_32 3
		.amdhsa_float_denorm_mode_16_64 3
		.amdhsa_dx10_clamp 1
		.amdhsa_ieee_mode 1
		.amdhsa_fp16_overflow 0
		.amdhsa_tg_split 0
		.amdhsa_exception_fp_ieee_invalid_op 0
		.amdhsa_exception_fp_denorm_src 0
		.amdhsa_exception_fp_ieee_div_zero 0
		.amdhsa_exception_fp_ieee_overflow 0
		.amdhsa_exception_fp_ieee_underflow 0
		.amdhsa_exception_fp_ieee_inexact 0
		.amdhsa_exception_int_div_zero 0
	.end_amdhsa_kernel
	.section	.text._ZN9rocsparseL16sddmm_csx_kernelILi512ELi1EL20rocsparse_direction_0EfllDF16_DF16_fEEv20rocsparse_operation_S2_16rocsparse_order_S3_T4_S4_S4_T3_NS_24const_host_device_scalarIT2_EEPKT5_lPKT6_lS8_PT7_PKS5_PKS4_21rocsparse_index_base_b,"axG",@progbits,_ZN9rocsparseL16sddmm_csx_kernelILi512ELi1EL20rocsparse_direction_0EfllDF16_DF16_fEEv20rocsparse_operation_S2_16rocsparse_order_S3_T4_S4_S4_T3_NS_24const_host_device_scalarIT2_EEPKT5_lPKT6_lS8_PT7_PKS5_PKS4_21rocsparse_index_base_b,comdat
.Lfunc_end236:
	.size	_ZN9rocsparseL16sddmm_csx_kernelILi512ELi1EL20rocsparse_direction_0EfllDF16_DF16_fEEv20rocsparse_operation_S2_16rocsparse_order_S3_T4_S4_S4_T3_NS_24const_host_device_scalarIT2_EEPKT5_lPKT6_lS8_PT7_PKS5_PKS4_21rocsparse_index_base_b, .Lfunc_end236-_ZN9rocsparseL16sddmm_csx_kernelILi512ELi1EL20rocsparse_direction_0EfllDF16_DF16_fEEv20rocsparse_operation_S2_16rocsparse_order_S3_T4_S4_S4_T3_NS_24const_host_device_scalarIT2_EEPKT5_lPKT6_lS8_PT7_PKS5_PKS4_21rocsparse_index_base_b
                                        ; -- End function
	.set _ZN9rocsparseL16sddmm_csx_kernelILi512ELi1EL20rocsparse_direction_0EfllDF16_DF16_fEEv20rocsparse_operation_S2_16rocsparse_order_S3_T4_S4_S4_T3_NS_24const_host_device_scalarIT2_EEPKT5_lPKT6_lS8_PT7_PKS5_PKS4_21rocsparse_index_base_b.num_vgpr, 14
	.set _ZN9rocsparseL16sddmm_csx_kernelILi512ELi1EL20rocsparse_direction_0EfllDF16_DF16_fEEv20rocsparse_operation_S2_16rocsparse_order_S3_T4_S4_S4_T3_NS_24const_host_device_scalarIT2_EEPKT5_lPKT6_lS8_PT7_PKS5_PKS4_21rocsparse_index_base_b.num_agpr, 0
	.set _ZN9rocsparseL16sddmm_csx_kernelILi512ELi1EL20rocsparse_direction_0EfllDF16_DF16_fEEv20rocsparse_operation_S2_16rocsparse_order_S3_T4_S4_S4_T3_NS_24const_host_device_scalarIT2_EEPKT5_lPKT6_lS8_PT7_PKS5_PKS4_21rocsparse_index_base_b.numbered_sgpr, 32
	.set _ZN9rocsparseL16sddmm_csx_kernelILi512ELi1EL20rocsparse_direction_0EfllDF16_DF16_fEEv20rocsparse_operation_S2_16rocsparse_order_S3_T4_S4_S4_T3_NS_24const_host_device_scalarIT2_EEPKT5_lPKT6_lS8_PT7_PKS5_PKS4_21rocsparse_index_base_b.num_named_barrier, 0
	.set _ZN9rocsparseL16sddmm_csx_kernelILi512ELi1EL20rocsparse_direction_0EfllDF16_DF16_fEEv20rocsparse_operation_S2_16rocsparse_order_S3_T4_S4_S4_T3_NS_24const_host_device_scalarIT2_EEPKT5_lPKT6_lS8_PT7_PKS5_PKS4_21rocsparse_index_base_b.private_seg_size, 0
	.set _ZN9rocsparseL16sddmm_csx_kernelILi512ELi1EL20rocsparse_direction_0EfllDF16_DF16_fEEv20rocsparse_operation_S2_16rocsparse_order_S3_T4_S4_S4_T3_NS_24const_host_device_scalarIT2_EEPKT5_lPKT6_lS8_PT7_PKS5_PKS4_21rocsparse_index_base_b.uses_vcc, 1
	.set _ZN9rocsparseL16sddmm_csx_kernelILi512ELi1EL20rocsparse_direction_0EfllDF16_DF16_fEEv20rocsparse_operation_S2_16rocsparse_order_S3_T4_S4_S4_T3_NS_24const_host_device_scalarIT2_EEPKT5_lPKT6_lS8_PT7_PKS5_PKS4_21rocsparse_index_base_b.uses_flat_scratch, 0
	.set _ZN9rocsparseL16sddmm_csx_kernelILi512ELi1EL20rocsparse_direction_0EfllDF16_DF16_fEEv20rocsparse_operation_S2_16rocsparse_order_S3_T4_S4_S4_T3_NS_24const_host_device_scalarIT2_EEPKT5_lPKT6_lS8_PT7_PKS5_PKS4_21rocsparse_index_base_b.has_dyn_sized_stack, 0
	.set _ZN9rocsparseL16sddmm_csx_kernelILi512ELi1EL20rocsparse_direction_0EfllDF16_DF16_fEEv20rocsparse_operation_S2_16rocsparse_order_S3_T4_S4_S4_T3_NS_24const_host_device_scalarIT2_EEPKT5_lPKT6_lS8_PT7_PKS5_PKS4_21rocsparse_index_base_b.has_recursion, 0
	.set _ZN9rocsparseL16sddmm_csx_kernelILi512ELi1EL20rocsparse_direction_0EfllDF16_DF16_fEEv20rocsparse_operation_S2_16rocsparse_order_S3_T4_S4_S4_T3_NS_24const_host_device_scalarIT2_EEPKT5_lPKT6_lS8_PT7_PKS5_PKS4_21rocsparse_index_base_b.has_indirect_call, 0
	.section	.AMDGPU.csdata,"",@progbits
; Kernel info:
; codeLenInByte = 888
; TotalNumSgprs: 38
; NumVgprs: 14
; NumAgprs: 0
; TotalNumVgprs: 14
; ScratchSize: 0
; MemoryBound: 0
; FloatMode: 240
; IeeeMode: 1
; LDSByteSize: 2048 bytes/workgroup (compile time only)
; SGPRBlocks: 4
; VGPRBlocks: 1
; NumSGPRsForWavesPerEU: 38
; NumVGPRsForWavesPerEU: 14
; AccumOffset: 16
; Occupancy: 8
; WaveLimiterHint : 0
; COMPUTE_PGM_RSRC2:SCRATCH_EN: 0
; COMPUTE_PGM_RSRC2:USER_SGPR: 2
; COMPUTE_PGM_RSRC2:TRAP_HANDLER: 0
; COMPUTE_PGM_RSRC2:TGID_X_EN: 1
; COMPUTE_PGM_RSRC2:TGID_Y_EN: 0
; COMPUTE_PGM_RSRC2:TGID_Z_EN: 0
; COMPUTE_PGM_RSRC2:TIDIG_COMP_CNT: 0
; COMPUTE_PGM_RSRC3_GFX90A:ACCUM_OFFSET: 3
; COMPUTE_PGM_RSRC3_GFX90A:TG_SPLIT: 0
	.section	.AMDGPU.gpr_maximums,"",@progbits
	.set amdgpu.max_num_vgpr, 0
	.set amdgpu.max_num_agpr, 0
	.set amdgpu.max_num_sgpr, 0
	.section	.AMDGPU.csdata,"",@progbits
	.type	__hip_cuid_14551cf626424ecd,@object ; @__hip_cuid_14551cf626424ecd
	.section	.bss,"aw",@nobits
	.globl	__hip_cuid_14551cf626424ecd
__hip_cuid_14551cf626424ecd:
	.byte	0                               ; 0x0
	.size	__hip_cuid_14551cf626424ecd, 1

	.ident	"AMD clang version 22.0.0git (https://github.com/RadeonOpenCompute/llvm-project roc-7.2.4 26084 f58b06dce1f9c15707c5f808fd002e18c2accf7e)"
	.section	".note.GNU-stack","",@progbits
	.addrsig
	.addrsig_sym __hip_cuid_14551cf626424ecd
	.amdgpu_metadata
---
amdhsa.kernels:
  - .agpr_count:     0
    .args:
      - .offset:         0
        .size:           4
        .value_kind:     by_value
      - .offset:         4
        .size:           4
        .value_kind:     by_value
      - .offset:         8
        .size:           4
        .value_kind:     by_value
      - .actual_access:  read_only
        .address_space:  global
        .offset:         16
        .size:           8
        .value_kind:     global_buffer
      - .actual_access:  read_only
        .address_space:  global
        .offset:         24
        .size:           8
        .value_kind:     global_buffer
      - .actual_access:  read_only
        .address_space:  global
        .offset:         32
        .size:           8
        .value_kind:     global_buffer
      - .actual_access:  write_only
        .address_space:  global
        .offset:         40
        .size:           8
        .value_kind:     global_buffer
      - .offset:         48
        .size:           8
        .value_kind:     by_value
      - .offset:         56
        .size:           4
        .value_kind:     by_value
    .group_segment_fixed_size: 0
    .kernarg_segment_align: 8
    .kernarg_segment_size: 60
    .language:       OpenCL C
    .language_version:
      - 2
      - 0
    .max_flat_workgroup_size: 512
    .name:           _ZN9rocsparseL16csr2dense_kernelILi16ELi32EiiDF16_EEviT2_S1_PKT3_PKT1_PKS1_PS2_l16rocsparse_order_
    .private_segment_fixed_size: 0
    .sgpr_count:     20
    .sgpr_spill_count: 0
    .symbol:         _ZN9rocsparseL16csr2dense_kernelILi16ELi32EiiDF16_EEviT2_S1_PKT3_PKT1_PKS1_PS2_l16rocsparse_order_.kd
    .uniform_work_group_size: 1
    .uses_dynamic_stack: false
    .vgpr_count:     12
    .vgpr_spill_count: 0
    .wavefront_size: 64
  - .agpr_count:     0
    .args:
      - .offset:         0
        .size:           4
        .value_kind:     by_value
      - .offset:         4
        .size:           4
        .value_kind:     by_value
      - .offset:         8
        .size:           4
        .value_kind:     by_value
      - .actual_access:  read_only
        .address_space:  global
        .offset:         16
        .size:           8
        .value_kind:     global_buffer
      - .actual_access:  read_only
        .address_space:  global
        .offset:         24
        .size:           8
        .value_kind:     global_buffer
      - .actual_access:  read_only
        .address_space:  global
        .offset:         32
        .size:           8
        .value_kind:     global_buffer
      - .actual_access:  write_only
        .address_space:  global
        .offset:         40
        .size:           8
        .value_kind:     global_buffer
      - .offset:         48
        .size:           8
        .value_kind:     by_value
      - .offset:         56
        .size:           4
        .value_kind:     by_value
    .group_segment_fixed_size: 0
    .kernarg_segment_align: 8
    .kernarg_segment_size: 60
    .language:       OpenCL C
    .language_version:
      - 2
      - 0
    .max_flat_workgroup_size: 1024
    .name:           _ZN9rocsparseL16csr2dense_kernelILi16ELi64EiiDF16_EEviT2_S1_PKT3_PKT1_PKS1_PS2_l16rocsparse_order_
    .private_segment_fixed_size: 0
    .sgpr_count:     20
    .sgpr_spill_count: 0
    .symbol:         _ZN9rocsparseL16csr2dense_kernelILi16ELi64EiiDF16_EEviT2_S1_PKT3_PKT1_PKS1_PS2_l16rocsparse_order_.kd
    .uniform_work_group_size: 1
    .uses_dynamic_stack: false
    .vgpr_count:     12
    .vgpr_spill_count: 0
    .wavefront_size: 64
  - .agpr_count:     0
    .args:
      - .offset:         0
        .size:           4
        .value_kind:     by_value
      - .offset:         4
        .size:           4
        .value_kind:     by_value
      - .offset:         8
        .size:           4
        .value_kind:     by_value
      - .actual_access:  read_only
        .address_space:  global
        .offset:         16
        .size:           8
        .value_kind:     global_buffer
      - .actual_access:  read_only
        .address_space:  global
        .offset:         24
        .size:           8
        .value_kind:     global_buffer
      - .actual_access:  read_only
        .address_space:  global
        .offset:         32
        .size:           8
        .value_kind:     global_buffer
      - .actual_access:  write_only
        .address_space:  global
        .offset:         40
        .size:           8
        .value_kind:     global_buffer
      - .offset:         48
        .size:           8
        .value_kind:     by_value
      - .offset:         56
        .size:           4
        .value_kind:     by_value
    .group_segment_fixed_size: 0
    .kernarg_segment_align: 8
    .kernarg_segment_size: 60
    .language:       OpenCL C
    .language_version:
      - 2
      - 0
    .max_flat_workgroup_size: 512
    .name:           _ZN9rocsparseL16csc2dense_kernelILi16ELi32EiiDF16_EEviT2_S1_PKT3_PKT1_PKS1_PS2_l16rocsparse_order_
    .private_segment_fixed_size: 0
    .sgpr_count:     19
    .sgpr_spill_count: 0
    .symbol:         _ZN9rocsparseL16csc2dense_kernelILi16ELi32EiiDF16_EEviT2_S1_PKT3_PKT1_PKS1_PS2_l16rocsparse_order_.kd
    .uniform_work_group_size: 1
    .uses_dynamic_stack: false
    .vgpr_count:     14
    .vgpr_spill_count: 0
    .wavefront_size: 64
  - .agpr_count:     0
    .args:
      - .offset:         0
        .size:           4
        .value_kind:     by_value
      - .offset:         4
        .size:           4
        .value_kind:     by_value
      - .offset:         8
        .size:           4
        .value_kind:     by_value
      - .actual_access:  read_only
        .address_space:  global
        .offset:         16
        .size:           8
        .value_kind:     global_buffer
      - .actual_access:  read_only
        .address_space:  global
        .offset:         24
        .size:           8
        .value_kind:     global_buffer
      - .actual_access:  read_only
        .address_space:  global
        .offset:         32
        .size:           8
        .value_kind:     global_buffer
      - .actual_access:  write_only
        .address_space:  global
        .offset:         40
        .size:           8
        .value_kind:     global_buffer
      - .offset:         48
        .size:           8
        .value_kind:     by_value
      - .offset:         56
        .size:           4
        .value_kind:     by_value
    .group_segment_fixed_size: 0
    .kernarg_segment_align: 8
    .kernarg_segment_size: 60
    .language:       OpenCL C
    .language_version:
      - 2
      - 0
    .max_flat_workgroup_size: 1024
    .name:           _ZN9rocsparseL16csc2dense_kernelILi16ELi64EiiDF16_EEviT2_S1_PKT3_PKT1_PKS1_PS2_l16rocsparse_order_
    .private_segment_fixed_size: 0
    .sgpr_count:     19
    .sgpr_spill_count: 0
    .symbol:         _ZN9rocsparseL16csc2dense_kernelILi16ELi64EiiDF16_EEviT2_S1_PKT3_PKT1_PKS1_PS2_l16rocsparse_order_.kd
    .uniform_work_group_size: 1
    .uses_dynamic_stack: false
    .vgpr_count:     14
    .vgpr_spill_count: 0
    .wavefront_size: 64
  - .agpr_count:     0
    .args:
      - .offset:         0
        .size:           4
        .value_kind:     by_value
      - .offset:         4
        .size:           4
        .value_kind:     by_value
      - .offset:         8
        .size:           4
        .value_kind:     by_value
      - .actual_access:  read_only
        .address_space:  global
        .offset:         16
        .size:           8
        .value_kind:     global_buffer
      - .offset:         24
        .size:           4
        .value_kind:     by_value
      - .actual_access:  write_only
        .address_space:  global
        .offset:         32
        .size:           8
        .value_kind:     global_buffer
      - .actual_access:  read_only
        .address_space:  global
        .offset:         40
        .size:           8
        .value_kind:     global_buffer
      - .actual_access:  read_only
        .address_space:  global
        .offset:         48
        .size:           8
        .value_kind:     global_buffer
      - .offset:         56
        .size:           4
        .value_kind:     by_value
    .group_segment_fixed_size: 0
    .kernarg_segment_align: 8
    .kernarg_segment_size: 60
    .language:       OpenCL C
    .language_version:
      - 2
      - 0
    .max_flat_workgroup_size: 512
    .name:           _ZN9rocsparseL23sddmm_csx_sample_kernelILi512ELi64EL20rocsparse_direction_1EDF16_iiDF16_EEvT4_S2_T3_PKT5_S2_PS4_PKS3_PKS2_21rocsparse_index_base_
    .private_segment_fixed_size: 0
    .sgpr_count:     16
    .sgpr_spill_count: 0
    .symbol:         _ZN9rocsparseL23sddmm_csx_sample_kernelILi512ELi64EL20rocsparse_direction_1EDF16_iiDF16_EEvT4_S2_T3_PKT5_S2_PS4_PKS3_PKS2_21rocsparse_index_base_.kd
    .uniform_work_group_size: 1
    .uses_dynamic_stack: false
    .vgpr_count:     19
    .vgpr_spill_count: 0
    .wavefront_size: 64
  - .agpr_count:     0
    .args:
      - .offset:         0
        .size:           4
        .value_kind:     by_value
      - .offset:         4
        .size:           4
        .value_kind:     by_value
      - .offset:         8
        .size:           4
        .value_kind:     by_value
      - .actual_access:  read_only
        .address_space:  global
        .offset:         16
        .size:           8
        .value_kind:     global_buffer
      - .offset:         24
        .size:           4
        .value_kind:     by_value
      - .actual_access:  write_only
        .address_space:  global
        .offset:         32
        .size:           8
        .value_kind:     global_buffer
      - .actual_access:  read_only
        .address_space:  global
        .offset:         40
        .size:           8
        .value_kind:     global_buffer
      - .actual_access:  read_only
        .address_space:  global
        .offset:         48
        .size:           8
        .value_kind:     global_buffer
      - .offset:         56
        .size:           4
        .value_kind:     by_value
    .group_segment_fixed_size: 0
    .kernarg_segment_align: 8
    .kernarg_segment_size: 60
    .language:       OpenCL C
    .language_version:
      - 2
      - 0
    .max_flat_workgroup_size: 512
    .name:           _ZN9rocsparseL23sddmm_csx_sample_kernelILi512ELi32EL20rocsparse_direction_1EDF16_iiDF16_EEvT4_S2_T3_PKT5_S2_PS4_PKS3_PKS2_21rocsparse_index_base_
    .private_segment_fixed_size: 0
    .sgpr_count:     16
    .sgpr_spill_count: 0
    .symbol:         _ZN9rocsparseL23sddmm_csx_sample_kernelILi512ELi32EL20rocsparse_direction_1EDF16_iiDF16_EEvT4_S2_T3_PKT5_S2_PS4_PKS3_PKS2_21rocsparse_index_base_.kd
    .uniform_work_group_size: 1
    .uses_dynamic_stack: false
    .vgpr_count:     19
    .vgpr_spill_count: 0
    .wavefront_size: 64
  - .agpr_count:     0
    .args:
      - .offset:         0
        .size:           4
        .value_kind:     by_value
      - .offset:         4
        .size:           4
        .value_kind:     by_value
      - .offset:         8
        .size:           4
        .value_kind:     by_value
      - .actual_access:  read_only
        .address_space:  global
        .offset:         16
        .size:           8
        .value_kind:     global_buffer
      - .offset:         24
        .size:           4
        .value_kind:     by_value
      - .actual_access:  write_only
        .address_space:  global
        .offset:         32
        .size:           8
        .value_kind:     global_buffer
      - .actual_access:  read_only
        .address_space:  global
        .offset:         40
        .size:           8
        .value_kind:     global_buffer
      - .actual_access:  read_only
        .address_space:  global
        .offset:         48
        .size:           8
        .value_kind:     global_buffer
      - .offset:         56
        .size:           4
        .value_kind:     by_value
    .group_segment_fixed_size: 0
    .kernarg_segment_align: 8
    .kernarg_segment_size: 60
    .language:       OpenCL C
    .language_version:
      - 2
      - 0
    .max_flat_workgroup_size: 512
    .name:           _ZN9rocsparseL23sddmm_csx_sample_kernelILi512ELi16EL20rocsparse_direction_1EDF16_iiDF16_EEvT4_S2_T3_PKT5_S2_PS4_PKS3_PKS2_21rocsparse_index_base_
    .private_segment_fixed_size: 0
    .sgpr_count:     16
    .sgpr_spill_count: 0
    .symbol:         _ZN9rocsparseL23sddmm_csx_sample_kernelILi512ELi16EL20rocsparse_direction_1EDF16_iiDF16_EEvT4_S2_T3_PKT5_S2_PS4_PKS3_PKS2_21rocsparse_index_base_.kd
    .uniform_work_group_size: 1
    .uses_dynamic_stack: false
    .vgpr_count:     19
    .vgpr_spill_count: 0
    .wavefront_size: 64
  - .agpr_count:     0
    .args:
      - .offset:         0
        .size:           4
        .value_kind:     by_value
      - .offset:         4
        .size:           4
        .value_kind:     by_value
      - .offset:         8
        .size:           4
        .value_kind:     by_value
      - .actual_access:  read_only
        .address_space:  global
        .offset:         16
        .size:           8
        .value_kind:     global_buffer
      - .offset:         24
        .size:           4
        .value_kind:     by_value
      - .actual_access:  write_only
        .address_space:  global
        .offset:         32
        .size:           8
        .value_kind:     global_buffer
      - .actual_access:  read_only
        .address_space:  global
        .offset:         40
        .size:           8
        .value_kind:     global_buffer
      - .actual_access:  read_only
        .address_space:  global
        .offset:         48
        .size:           8
        .value_kind:     global_buffer
      - .offset:         56
        .size:           4
        .value_kind:     by_value
    .group_segment_fixed_size: 0
    .kernarg_segment_align: 8
    .kernarg_segment_size: 60
    .language:       OpenCL C
    .language_version:
      - 2
      - 0
    .max_flat_workgroup_size: 512
    .name:           _ZN9rocsparseL23sddmm_csx_sample_kernelILi512ELi8EL20rocsparse_direction_1EDF16_iiDF16_EEvT4_S2_T3_PKT5_S2_PS4_PKS3_PKS2_21rocsparse_index_base_
    .private_segment_fixed_size: 0
    .sgpr_count:     16
    .sgpr_spill_count: 0
    .symbol:         _ZN9rocsparseL23sddmm_csx_sample_kernelILi512ELi8EL20rocsparse_direction_1EDF16_iiDF16_EEvT4_S2_T3_PKT5_S2_PS4_PKS3_PKS2_21rocsparse_index_base_.kd
    .uniform_work_group_size: 1
    .uses_dynamic_stack: false
    .vgpr_count:     19
    .vgpr_spill_count: 0
    .wavefront_size: 64
  - .agpr_count:     0
    .args:
      - .offset:         0
        .size:           4
        .value_kind:     by_value
      - .offset:         4
        .size:           4
        .value_kind:     by_value
      - .offset:         8
        .size:           4
        .value_kind:     by_value
      - .actual_access:  read_only
        .address_space:  global
        .offset:         16
        .size:           8
        .value_kind:     global_buffer
      - .offset:         24
        .size:           4
        .value_kind:     by_value
      - .actual_access:  write_only
        .address_space:  global
        .offset:         32
        .size:           8
        .value_kind:     global_buffer
      - .actual_access:  read_only
        .address_space:  global
        .offset:         40
        .size:           8
        .value_kind:     global_buffer
      - .actual_access:  read_only
        .address_space:  global
        .offset:         48
        .size:           8
        .value_kind:     global_buffer
      - .offset:         56
        .size:           4
        .value_kind:     by_value
    .group_segment_fixed_size: 0
    .kernarg_segment_align: 8
    .kernarg_segment_size: 60
    .language:       OpenCL C
    .language_version:
      - 2
      - 0
    .max_flat_workgroup_size: 512
    .name:           _ZN9rocsparseL23sddmm_csx_sample_kernelILi512ELi4EL20rocsparse_direction_1EDF16_iiDF16_EEvT4_S2_T3_PKT5_S2_PS4_PKS3_PKS2_21rocsparse_index_base_
    .private_segment_fixed_size: 0
    .sgpr_count:     16
    .sgpr_spill_count: 0
    .symbol:         _ZN9rocsparseL23sddmm_csx_sample_kernelILi512ELi4EL20rocsparse_direction_1EDF16_iiDF16_EEvT4_S2_T3_PKT5_S2_PS4_PKS3_PKS2_21rocsparse_index_base_.kd
    .uniform_work_group_size: 1
    .uses_dynamic_stack: false
    .vgpr_count:     19
    .vgpr_spill_count: 0
    .wavefront_size: 64
  - .agpr_count:     0
    .args:
      - .offset:         0
        .size:           4
        .value_kind:     by_value
      - .offset:         4
        .size:           4
        .value_kind:     by_value
      - .offset:         8
        .size:           4
        .value_kind:     by_value
      - .actual_access:  read_only
        .address_space:  global
        .offset:         16
        .size:           8
        .value_kind:     global_buffer
      - .offset:         24
        .size:           4
        .value_kind:     by_value
      - .actual_access:  write_only
        .address_space:  global
        .offset:         32
        .size:           8
        .value_kind:     global_buffer
      - .actual_access:  read_only
        .address_space:  global
        .offset:         40
        .size:           8
        .value_kind:     global_buffer
      - .actual_access:  read_only
        .address_space:  global
        .offset:         48
        .size:           8
        .value_kind:     global_buffer
      - .offset:         56
        .size:           4
        .value_kind:     by_value
    .group_segment_fixed_size: 0
    .kernarg_segment_align: 8
    .kernarg_segment_size: 60
    .language:       OpenCL C
    .language_version:
      - 2
      - 0
    .max_flat_workgroup_size: 512
    .name:           _ZN9rocsparseL23sddmm_csx_sample_kernelILi512ELi2EL20rocsparse_direction_1EDF16_iiDF16_EEvT4_S2_T3_PKT5_S2_PS4_PKS3_PKS2_21rocsparse_index_base_
    .private_segment_fixed_size: 0
    .sgpr_count:     16
    .sgpr_spill_count: 0
    .symbol:         _ZN9rocsparseL23sddmm_csx_sample_kernelILi512ELi2EL20rocsparse_direction_1EDF16_iiDF16_EEvT4_S2_T3_PKT5_S2_PS4_PKS3_PKS2_21rocsparse_index_base_.kd
    .uniform_work_group_size: 1
    .uses_dynamic_stack: false
    .vgpr_count:     19
    .vgpr_spill_count: 0
    .wavefront_size: 64
  - .agpr_count:     0
    .args:
      - .offset:         0
        .size:           4
        .value_kind:     by_value
      - .offset:         4
        .size:           4
        .value_kind:     by_value
      - .offset:         8
        .size:           4
        .value_kind:     by_value
      - .actual_access:  read_only
        .address_space:  global
        .offset:         16
        .size:           8
        .value_kind:     global_buffer
      - .offset:         24
        .size:           4
        .value_kind:     by_value
      - .actual_access:  write_only
        .address_space:  global
        .offset:         32
        .size:           8
        .value_kind:     global_buffer
      - .actual_access:  read_only
        .address_space:  global
        .offset:         40
        .size:           8
        .value_kind:     global_buffer
      - .actual_access:  read_only
        .address_space:  global
        .offset:         48
        .size:           8
        .value_kind:     global_buffer
      - .offset:         56
        .size:           4
        .value_kind:     by_value
    .group_segment_fixed_size: 0
    .kernarg_segment_align: 8
    .kernarg_segment_size: 60
    .language:       OpenCL C
    .language_version:
      - 2
      - 0
    .max_flat_workgroup_size: 512
    .name:           _ZN9rocsparseL23sddmm_csx_sample_kernelILi512ELi1EL20rocsparse_direction_1EDF16_iiDF16_EEvT4_S2_T3_PKT5_S2_PS4_PKS3_PKS2_21rocsparse_index_base_
    .private_segment_fixed_size: 0
    .sgpr_count:     17
    .sgpr_spill_count: 0
    .symbol:         _ZN9rocsparseL23sddmm_csx_sample_kernelILi512ELi1EL20rocsparse_direction_1EDF16_iiDF16_EEvT4_S2_T3_PKT5_S2_PS4_PKS3_PKS2_21rocsparse_index_base_.kd
    .uniform_work_group_size: 1
    .uses_dynamic_stack: false
    .vgpr_count:     15
    .vgpr_spill_count: 0
    .wavefront_size: 64
  - .agpr_count:     0
    .args:
      - .offset:         0
        .size:           4
        .value_kind:     by_value
      - .offset:         4
        .size:           4
        .value_kind:     by_value
      - .offset:         8
        .size:           4
        .value_kind:     by_value
      - .offset:         12
        .size:           4
        .value_kind:     by_value
      - .offset:         16
        .size:           4
        .value_kind:     by_value
      - .offset:         20
        .size:           4
        .value_kind:     by_value
      - .offset:         24
        .size:           4
        .value_kind:     by_value
      - .offset:         28
        .size:           4
        .value_kind:     by_value
      - .offset:         32
        .size:           8
        .value_kind:     by_value
      - .actual_access:  read_only
        .address_space:  global
        .offset:         40
        .size:           8
        .value_kind:     global_buffer
      - .offset:         48
        .size:           8
        .value_kind:     by_value
      - .actual_access:  read_only
        .address_space:  global
        .offset:         56
        .size:           8
        .value_kind:     global_buffer
      - .offset:         64
        .size:           8
        .value_kind:     by_value
      - .offset:         72
        .size:           8
        .value_kind:     by_value
      - .address_space:  global
        .offset:         80
        .size:           8
        .value_kind:     global_buffer
      - .actual_access:  read_only
        .address_space:  global
        .offset:         88
        .size:           8
        .value_kind:     global_buffer
      - .actual_access:  read_only
        .address_space:  global
        .offset:         96
        .size:           8
        .value_kind:     global_buffer
      - .offset:         104
        .size:           4
        .value_kind:     by_value
      - .offset:         108
        .size:           1
        .value_kind:     by_value
    .group_segment_fixed_size: 1024
    .kernarg_segment_align: 8
    .kernarg_segment_size: 112
    .language:       OpenCL C
    .language_version:
      - 2
      - 0
    .max_flat_workgroup_size: 512
    .name:           _ZN9rocsparseL16sddmm_csx_kernelILi512ELi8EL20rocsparse_direction_0EDF16_iiDF16_DF16_DF16_EEv20rocsparse_operation_S2_16rocsparse_order_S3_T4_S4_S4_T3_NS_24const_host_device_scalarIT2_EEPKT5_lPKT6_lS8_PT7_PKS5_PKS4_21rocsparse_index_base_b
    .private_segment_fixed_size: 0
    .sgpr_count:     38
    .sgpr_spill_count: 0
    .symbol:         _ZN9rocsparseL16sddmm_csx_kernelILi512ELi8EL20rocsparse_direction_0EDF16_iiDF16_DF16_DF16_EEv20rocsparse_operation_S2_16rocsparse_order_S3_T4_S4_S4_T3_NS_24const_host_device_scalarIT2_EEPKT5_lPKT6_lS8_PT7_PKS5_PKS4_21rocsparse_index_base_b.kd
    .uniform_work_group_size: 1
    .uses_dynamic_stack: false
    .vgpr_count:     20
    .vgpr_spill_count: 0
    .wavefront_size: 64
  - .agpr_count:     0
    .args:
      - .offset:         0
        .size:           4
        .value_kind:     by_value
      - .offset:         4
        .size:           4
        .value_kind:     by_value
      - .offset:         8
        .size:           4
        .value_kind:     by_value
      - .offset:         12
        .size:           4
        .value_kind:     by_value
      - .offset:         16
        .size:           4
        .value_kind:     by_value
      - .offset:         20
        .size:           4
        .value_kind:     by_value
      - .offset:         24
        .size:           4
        .value_kind:     by_value
      - .offset:         28
        .size:           4
        .value_kind:     by_value
      - .offset:         32
        .size:           8
        .value_kind:     by_value
      - .actual_access:  read_only
        .address_space:  global
        .offset:         40
        .size:           8
        .value_kind:     global_buffer
      - .offset:         48
        .size:           8
        .value_kind:     by_value
      - .actual_access:  read_only
        .address_space:  global
        .offset:         56
        .size:           8
        .value_kind:     global_buffer
      - .offset:         64
        .size:           8
        .value_kind:     by_value
      - .offset:         72
        .size:           8
        .value_kind:     by_value
      - .address_space:  global
        .offset:         80
        .size:           8
        .value_kind:     global_buffer
      - .actual_access:  read_only
        .address_space:  global
        .offset:         88
        .size:           8
        .value_kind:     global_buffer
      - .actual_access:  read_only
        .address_space:  global
        .offset:         96
        .size:           8
        .value_kind:     global_buffer
      - .offset:         104
        .size:           4
        .value_kind:     by_value
      - .offset:         108
        .size:           1
        .value_kind:     by_value
    .group_segment_fixed_size: 1024
    .kernarg_segment_align: 8
    .kernarg_segment_size: 112
    .language:       OpenCL C
    .language_version:
      - 2
      - 0
    .max_flat_workgroup_size: 512
    .name:           _ZN9rocsparseL16sddmm_csx_kernelILi512ELi4EL20rocsparse_direction_0EDF16_iiDF16_DF16_DF16_EEv20rocsparse_operation_S2_16rocsparse_order_S3_T4_S4_S4_T3_NS_24const_host_device_scalarIT2_EEPKT5_lPKT6_lS8_PT7_PKS5_PKS4_21rocsparse_index_base_b
    .private_segment_fixed_size: 0
    .sgpr_count:     36
    .sgpr_spill_count: 0
    .symbol:         _ZN9rocsparseL16sddmm_csx_kernelILi512ELi4EL20rocsparse_direction_0EDF16_iiDF16_DF16_DF16_EEv20rocsparse_operation_S2_16rocsparse_order_S3_T4_S4_S4_T3_NS_24const_host_device_scalarIT2_EEPKT5_lPKT6_lS8_PT7_PKS5_PKS4_21rocsparse_index_base_b.kd
    .uniform_work_group_size: 1
    .uses_dynamic_stack: false
    .vgpr_count:     20
    .vgpr_spill_count: 0
    .wavefront_size: 64
  - .agpr_count:     0
    .args:
      - .offset:         0
        .size:           4
        .value_kind:     by_value
      - .offset:         4
        .size:           4
        .value_kind:     by_value
      - .offset:         8
        .size:           4
        .value_kind:     by_value
      - .offset:         12
        .size:           4
        .value_kind:     by_value
      - .offset:         16
        .size:           4
        .value_kind:     by_value
      - .offset:         20
        .size:           4
        .value_kind:     by_value
      - .offset:         24
        .size:           4
        .value_kind:     by_value
      - .offset:         28
        .size:           4
        .value_kind:     by_value
      - .offset:         32
        .size:           8
        .value_kind:     by_value
      - .actual_access:  read_only
        .address_space:  global
        .offset:         40
        .size:           8
        .value_kind:     global_buffer
      - .offset:         48
        .size:           8
        .value_kind:     by_value
      - .actual_access:  read_only
        .address_space:  global
        .offset:         56
        .size:           8
        .value_kind:     global_buffer
      - .offset:         64
        .size:           8
        .value_kind:     by_value
      - .offset:         72
        .size:           8
        .value_kind:     by_value
      - .address_space:  global
        .offset:         80
        .size:           8
        .value_kind:     global_buffer
      - .actual_access:  read_only
        .address_space:  global
        .offset:         88
        .size:           8
        .value_kind:     global_buffer
      - .actual_access:  read_only
        .address_space:  global
        .offset:         96
        .size:           8
        .value_kind:     global_buffer
      - .offset:         104
        .size:           4
        .value_kind:     by_value
      - .offset:         108
        .size:           1
        .value_kind:     by_value
    .group_segment_fixed_size: 1024
    .kernarg_segment_align: 8
    .kernarg_segment_size: 112
    .language:       OpenCL C
    .language_version:
      - 2
      - 0
    .max_flat_workgroup_size: 512
    .name:           _ZN9rocsparseL16sddmm_csx_kernelILi512ELi2EL20rocsparse_direction_0EDF16_iiDF16_DF16_DF16_EEv20rocsparse_operation_S2_16rocsparse_order_S3_T4_S4_S4_T3_NS_24const_host_device_scalarIT2_EEPKT5_lPKT6_lS8_PT7_PKS5_PKS4_21rocsparse_index_base_b
    .private_segment_fixed_size: 0
    .sgpr_count:     34
    .sgpr_spill_count: 0
    .symbol:         _ZN9rocsparseL16sddmm_csx_kernelILi512ELi2EL20rocsparse_direction_0EDF16_iiDF16_DF16_DF16_EEv20rocsparse_operation_S2_16rocsparse_order_S3_T4_S4_S4_T3_NS_24const_host_device_scalarIT2_EEPKT5_lPKT6_lS8_PT7_PKS5_PKS4_21rocsparse_index_base_b.kd
    .uniform_work_group_size: 1
    .uses_dynamic_stack: false
    .vgpr_count:     20
    .vgpr_spill_count: 0
    .wavefront_size: 64
  - .agpr_count:     0
    .args:
      - .offset:         0
        .size:           4
        .value_kind:     by_value
      - .offset:         4
        .size:           4
        .value_kind:     by_value
      - .offset:         8
        .size:           4
        .value_kind:     by_value
      - .offset:         12
        .size:           4
        .value_kind:     by_value
      - .offset:         16
        .size:           4
        .value_kind:     by_value
      - .offset:         20
        .size:           4
        .value_kind:     by_value
      - .offset:         24
        .size:           4
        .value_kind:     by_value
      - .offset:         28
        .size:           4
        .value_kind:     by_value
      - .offset:         32
        .size:           8
        .value_kind:     by_value
      - .actual_access:  read_only
        .address_space:  global
        .offset:         40
        .size:           8
        .value_kind:     global_buffer
      - .offset:         48
        .size:           8
        .value_kind:     by_value
      - .actual_access:  read_only
        .address_space:  global
        .offset:         56
        .size:           8
        .value_kind:     global_buffer
      - .offset:         64
        .size:           8
        .value_kind:     by_value
      - .offset:         72
        .size:           8
        .value_kind:     by_value
      - .address_space:  global
        .offset:         80
        .size:           8
        .value_kind:     global_buffer
      - .actual_access:  read_only
        .address_space:  global
        .offset:         88
        .size:           8
        .value_kind:     global_buffer
      - .actual_access:  read_only
        .address_space:  global
        .offset:         96
        .size:           8
        .value_kind:     global_buffer
      - .offset:         104
        .size:           4
        .value_kind:     by_value
      - .offset:         108
        .size:           1
        .value_kind:     by_value
    .group_segment_fixed_size: 1024
    .kernarg_segment_align: 8
    .kernarg_segment_size: 112
    .language:       OpenCL C
    .language_version:
      - 2
      - 0
    .max_flat_workgroup_size: 512
    .name:           _ZN9rocsparseL16sddmm_csx_kernelILi512ELi1EL20rocsparse_direction_0EDF16_iiDF16_DF16_DF16_EEv20rocsparse_operation_S2_16rocsparse_order_S3_T4_S4_S4_T3_NS_24const_host_device_scalarIT2_EEPKT5_lPKT6_lS8_PT7_PKS5_PKS4_21rocsparse_index_base_b
    .private_segment_fixed_size: 0
    .sgpr_count:     32
    .sgpr_spill_count: 0
    .symbol:         _ZN9rocsparseL16sddmm_csx_kernelILi512ELi1EL20rocsparse_direction_0EDF16_iiDF16_DF16_DF16_EEv20rocsparse_operation_S2_16rocsparse_order_S3_T4_S4_S4_T3_NS_24const_host_device_scalarIT2_EEPKT5_lPKT6_lS8_PT7_PKS5_PKS4_21rocsparse_index_base_b.kd
    .uniform_work_group_size: 1
    .uses_dynamic_stack: false
    .vgpr_count:     15
    .vgpr_spill_count: 0
    .wavefront_size: 64
  - .agpr_count:     0
    .args:
      - .offset:         0
        .size:           4
        .value_kind:     by_value
      - .offset:         4
        .size:           4
        .value_kind:     by_value
      - .offset:         8
        .size:           4
        .value_kind:     by_value
      - .actual_access:  read_only
        .address_space:  global
        .offset:         16
        .size:           8
        .value_kind:     global_buffer
      - .actual_access:  read_only
        .address_space:  global
        .offset:         24
        .size:           8
        .value_kind:     global_buffer
      - .actual_access:  read_only
        .address_space:  global
        .offset:         32
        .size:           8
        .value_kind:     global_buffer
      - .actual_access:  write_only
        .address_space:  global
        .offset:         40
        .size:           8
        .value_kind:     global_buffer
      - .offset:         48
        .size:           8
        .value_kind:     by_value
      - .offset:         56
        .size:           4
        .value_kind:     by_value
    .group_segment_fixed_size: 0
    .kernarg_segment_align: 8
    .kernarg_segment_size: 60
    .language:       OpenCL C
    .language_version:
      - 2
      - 0
    .max_flat_workgroup_size: 512
    .name:           _ZN9rocsparseL16csr2dense_kernelILi16ELi32EiifEEviT2_S1_PKT3_PKT1_PKS1_PS2_l16rocsparse_order_
    .private_segment_fixed_size: 0
    .sgpr_count:     20
    .sgpr_spill_count: 0
    .symbol:         _ZN9rocsparseL16csr2dense_kernelILi16ELi32EiifEEviT2_S1_PKT3_PKT1_PKS1_PS2_l16rocsparse_order_.kd
    .uniform_work_group_size: 1
    .uses_dynamic_stack: false
    .vgpr_count:     12
    .vgpr_spill_count: 0
    .wavefront_size: 64
  - .agpr_count:     0
    .args:
      - .offset:         0
        .size:           4
        .value_kind:     by_value
      - .offset:         4
        .size:           4
        .value_kind:     by_value
      - .offset:         8
        .size:           4
        .value_kind:     by_value
      - .actual_access:  read_only
        .address_space:  global
        .offset:         16
        .size:           8
        .value_kind:     global_buffer
      - .actual_access:  read_only
        .address_space:  global
        .offset:         24
        .size:           8
        .value_kind:     global_buffer
      - .actual_access:  read_only
        .address_space:  global
        .offset:         32
        .size:           8
        .value_kind:     global_buffer
      - .actual_access:  write_only
        .address_space:  global
        .offset:         40
        .size:           8
        .value_kind:     global_buffer
      - .offset:         48
        .size:           8
        .value_kind:     by_value
      - .offset:         56
        .size:           4
        .value_kind:     by_value
    .group_segment_fixed_size: 0
    .kernarg_segment_align: 8
    .kernarg_segment_size: 60
    .language:       OpenCL C
    .language_version:
      - 2
      - 0
    .max_flat_workgroup_size: 1024
    .name:           _ZN9rocsparseL16csr2dense_kernelILi16ELi64EiifEEviT2_S1_PKT3_PKT1_PKS1_PS2_l16rocsparse_order_
    .private_segment_fixed_size: 0
    .sgpr_count:     20
    .sgpr_spill_count: 0
    .symbol:         _ZN9rocsparseL16csr2dense_kernelILi16ELi64EiifEEviT2_S1_PKT3_PKT1_PKS1_PS2_l16rocsparse_order_.kd
    .uniform_work_group_size: 1
    .uses_dynamic_stack: false
    .vgpr_count:     12
    .vgpr_spill_count: 0
    .wavefront_size: 64
  - .agpr_count:     0
    .args:
      - .offset:         0
        .size:           4
        .value_kind:     by_value
      - .offset:         4
        .size:           4
        .value_kind:     by_value
      - .offset:         8
        .size:           4
        .value_kind:     by_value
      - .actual_access:  read_only
        .address_space:  global
        .offset:         16
        .size:           8
        .value_kind:     global_buffer
      - .actual_access:  read_only
        .address_space:  global
        .offset:         24
        .size:           8
        .value_kind:     global_buffer
      - .actual_access:  read_only
        .address_space:  global
        .offset:         32
        .size:           8
        .value_kind:     global_buffer
      - .actual_access:  write_only
        .address_space:  global
        .offset:         40
        .size:           8
        .value_kind:     global_buffer
      - .offset:         48
        .size:           8
        .value_kind:     by_value
      - .offset:         56
        .size:           4
        .value_kind:     by_value
    .group_segment_fixed_size: 0
    .kernarg_segment_align: 8
    .kernarg_segment_size: 60
    .language:       OpenCL C
    .language_version:
      - 2
      - 0
    .max_flat_workgroup_size: 512
    .name:           _ZN9rocsparseL16csc2dense_kernelILi16ELi32EiifEEviT2_S1_PKT3_PKT1_PKS1_PS2_l16rocsparse_order_
    .private_segment_fixed_size: 0
    .sgpr_count:     19
    .sgpr_spill_count: 0
    .symbol:         _ZN9rocsparseL16csc2dense_kernelILi16ELi32EiifEEviT2_S1_PKT3_PKT1_PKS1_PS2_l16rocsparse_order_.kd
    .uniform_work_group_size: 1
    .uses_dynamic_stack: false
    .vgpr_count:     14
    .vgpr_spill_count: 0
    .wavefront_size: 64
  - .agpr_count:     0
    .args:
      - .offset:         0
        .size:           4
        .value_kind:     by_value
      - .offset:         4
        .size:           4
        .value_kind:     by_value
      - .offset:         8
        .size:           4
        .value_kind:     by_value
      - .actual_access:  read_only
        .address_space:  global
        .offset:         16
        .size:           8
        .value_kind:     global_buffer
      - .actual_access:  read_only
        .address_space:  global
        .offset:         24
        .size:           8
        .value_kind:     global_buffer
      - .actual_access:  read_only
        .address_space:  global
        .offset:         32
        .size:           8
        .value_kind:     global_buffer
      - .actual_access:  write_only
        .address_space:  global
        .offset:         40
        .size:           8
        .value_kind:     global_buffer
      - .offset:         48
        .size:           8
        .value_kind:     by_value
      - .offset:         56
        .size:           4
        .value_kind:     by_value
    .group_segment_fixed_size: 0
    .kernarg_segment_align: 8
    .kernarg_segment_size: 60
    .language:       OpenCL C
    .language_version:
      - 2
      - 0
    .max_flat_workgroup_size: 1024
    .name:           _ZN9rocsparseL16csc2dense_kernelILi16ELi64EiifEEviT2_S1_PKT3_PKT1_PKS1_PS2_l16rocsparse_order_
    .private_segment_fixed_size: 0
    .sgpr_count:     19
    .sgpr_spill_count: 0
    .symbol:         _ZN9rocsparseL16csc2dense_kernelILi16ELi64EiifEEviT2_S1_PKT3_PKT1_PKS1_PS2_l16rocsparse_order_.kd
    .uniform_work_group_size: 1
    .uses_dynamic_stack: false
    .vgpr_count:     14
    .vgpr_spill_count: 0
    .wavefront_size: 64
  - .agpr_count:     0
    .args:
      - .offset:         0
        .size:           4
        .value_kind:     by_value
      - .offset:         4
        .size:           4
        .value_kind:     by_value
      - .offset:         8
        .size:           4
        .value_kind:     by_value
      - .actual_access:  read_only
        .address_space:  global
        .offset:         16
        .size:           8
        .value_kind:     global_buffer
      - .offset:         24
        .size:           4
        .value_kind:     by_value
      - .actual_access:  write_only
        .address_space:  global
        .offset:         32
        .size:           8
        .value_kind:     global_buffer
      - .actual_access:  read_only
        .address_space:  global
        .offset:         40
        .size:           8
        .value_kind:     global_buffer
      - .actual_access:  read_only
        .address_space:  global
        .offset:         48
        .size:           8
        .value_kind:     global_buffer
      - .offset:         56
        .size:           4
        .value_kind:     by_value
    .group_segment_fixed_size: 0
    .kernarg_segment_align: 8
    .kernarg_segment_size: 60
    .language:       OpenCL C
    .language_version:
      - 2
      - 0
    .max_flat_workgroup_size: 512
    .name:           _ZN9rocsparseL23sddmm_csx_sample_kernelILi512ELi64EL20rocsparse_direction_1EfiifEEvT4_S2_T3_PKT5_S2_PS4_PKS3_PKS2_21rocsparse_index_base_
    .private_segment_fixed_size: 0
    .sgpr_count:     16
    .sgpr_spill_count: 0
    .symbol:         _ZN9rocsparseL23sddmm_csx_sample_kernelILi512ELi64EL20rocsparse_direction_1EfiifEEvT4_S2_T3_PKT5_S2_PS4_PKS3_PKS2_21rocsparse_index_base_.kd
    .uniform_work_group_size: 1
    .uses_dynamic_stack: false
    .vgpr_count:     19
    .vgpr_spill_count: 0
    .wavefront_size: 64
  - .agpr_count:     0
    .args:
      - .offset:         0
        .size:           4
        .value_kind:     by_value
      - .offset:         4
        .size:           4
        .value_kind:     by_value
      - .offset:         8
        .size:           4
        .value_kind:     by_value
      - .actual_access:  read_only
        .address_space:  global
        .offset:         16
        .size:           8
        .value_kind:     global_buffer
      - .offset:         24
        .size:           4
        .value_kind:     by_value
      - .actual_access:  write_only
        .address_space:  global
        .offset:         32
        .size:           8
        .value_kind:     global_buffer
      - .actual_access:  read_only
        .address_space:  global
        .offset:         40
        .size:           8
        .value_kind:     global_buffer
      - .actual_access:  read_only
        .address_space:  global
        .offset:         48
        .size:           8
        .value_kind:     global_buffer
      - .offset:         56
        .size:           4
        .value_kind:     by_value
    .group_segment_fixed_size: 0
    .kernarg_segment_align: 8
    .kernarg_segment_size: 60
    .language:       OpenCL C
    .language_version:
      - 2
      - 0
    .max_flat_workgroup_size: 512
    .name:           _ZN9rocsparseL23sddmm_csx_sample_kernelILi512ELi32EL20rocsparse_direction_1EfiifEEvT4_S2_T3_PKT5_S2_PS4_PKS3_PKS2_21rocsparse_index_base_
    .private_segment_fixed_size: 0
    .sgpr_count:     16
    .sgpr_spill_count: 0
    .symbol:         _ZN9rocsparseL23sddmm_csx_sample_kernelILi512ELi32EL20rocsparse_direction_1EfiifEEvT4_S2_T3_PKT5_S2_PS4_PKS3_PKS2_21rocsparse_index_base_.kd
    .uniform_work_group_size: 1
    .uses_dynamic_stack: false
    .vgpr_count:     19
    .vgpr_spill_count: 0
    .wavefront_size: 64
  - .agpr_count:     0
    .args:
      - .offset:         0
        .size:           4
        .value_kind:     by_value
      - .offset:         4
        .size:           4
        .value_kind:     by_value
      - .offset:         8
        .size:           4
        .value_kind:     by_value
      - .actual_access:  read_only
        .address_space:  global
        .offset:         16
        .size:           8
        .value_kind:     global_buffer
      - .offset:         24
        .size:           4
        .value_kind:     by_value
      - .actual_access:  write_only
        .address_space:  global
        .offset:         32
        .size:           8
        .value_kind:     global_buffer
      - .actual_access:  read_only
        .address_space:  global
        .offset:         40
        .size:           8
        .value_kind:     global_buffer
      - .actual_access:  read_only
        .address_space:  global
        .offset:         48
        .size:           8
        .value_kind:     global_buffer
      - .offset:         56
        .size:           4
        .value_kind:     by_value
    .group_segment_fixed_size: 0
    .kernarg_segment_align: 8
    .kernarg_segment_size: 60
    .language:       OpenCL C
    .language_version:
      - 2
      - 0
    .max_flat_workgroup_size: 512
    .name:           _ZN9rocsparseL23sddmm_csx_sample_kernelILi512ELi16EL20rocsparse_direction_1EfiifEEvT4_S2_T3_PKT5_S2_PS4_PKS3_PKS2_21rocsparse_index_base_
    .private_segment_fixed_size: 0
    .sgpr_count:     16
    .sgpr_spill_count: 0
    .symbol:         _ZN9rocsparseL23sddmm_csx_sample_kernelILi512ELi16EL20rocsparse_direction_1EfiifEEvT4_S2_T3_PKT5_S2_PS4_PKS3_PKS2_21rocsparse_index_base_.kd
    .uniform_work_group_size: 1
    .uses_dynamic_stack: false
    .vgpr_count:     19
    .vgpr_spill_count: 0
    .wavefront_size: 64
  - .agpr_count:     0
    .args:
      - .offset:         0
        .size:           4
        .value_kind:     by_value
      - .offset:         4
        .size:           4
        .value_kind:     by_value
      - .offset:         8
        .size:           4
        .value_kind:     by_value
      - .actual_access:  read_only
        .address_space:  global
        .offset:         16
        .size:           8
        .value_kind:     global_buffer
      - .offset:         24
        .size:           4
        .value_kind:     by_value
      - .actual_access:  write_only
        .address_space:  global
        .offset:         32
        .size:           8
        .value_kind:     global_buffer
      - .actual_access:  read_only
        .address_space:  global
        .offset:         40
        .size:           8
        .value_kind:     global_buffer
      - .actual_access:  read_only
        .address_space:  global
        .offset:         48
        .size:           8
        .value_kind:     global_buffer
      - .offset:         56
        .size:           4
        .value_kind:     by_value
    .group_segment_fixed_size: 0
    .kernarg_segment_align: 8
    .kernarg_segment_size: 60
    .language:       OpenCL C
    .language_version:
      - 2
      - 0
    .max_flat_workgroup_size: 512
    .name:           _ZN9rocsparseL23sddmm_csx_sample_kernelILi512ELi8EL20rocsparse_direction_1EfiifEEvT4_S2_T3_PKT5_S2_PS4_PKS3_PKS2_21rocsparse_index_base_
    .private_segment_fixed_size: 0
    .sgpr_count:     16
    .sgpr_spill_count: 0
    .symbol:         _ZN9rocsparseL23sddmm_csx_sample_kernelILi512ELi8EL20rocsparse_direction_1EfiifEEvT4_S2_T3_PKT5_S2_PS4_PKS3_PKS2_21rocsparse_index_base_.kd
    .uniform_work_group_size: 1
    .uses_dynamic_stack: false
    .vgpr_count:     19
    .vgpr_spill_count: 0
    .wavefront_size: 64
  - .agpr_count:     0
    .args:
      - .offset:         0
        .size:           4
        .value_kind:     by_value
      - .offset:         4
        .size:           4
        .value_kind:     by_value
      - .offset:         8
        .size:           4
        .value_kind:     by_value
      - .actual_access:  read_only
        .address_space:  global
        .offset:         16
        .size:           8
        .value_kind:     global_buffer
      - .offset:         24
        .size:           4
        .value_kind:     by_value
      - .actual_access:  write_only
        .address_space:  global
        .offset:         32
        .size:           8
        .value_kind:     global_buffer
      - .actual_access:  read_only
        .address_space:  global
        .offset:         40
        .size:           8
        .value_kind:     global_buffer
      - .actual_access:  read_only
        .address_space:  global
        .offset:         48
        .size:           8
        .value_kind:     global_buffer
      - .offset:         56
        .size:           4
        .value_kind:     by_value
    .group_segment_fixed_size: 0
    .kernarg_segment_align: 8
    .kernarg_segment_size: 60
    .language:       OpenCL C
    .language_version:
      - 2
      - 0
    .max_flat_workgroup_size: 512
    .name:           _ZN9rocsparseL23sddmm_csx_sample_kernelILi512ELi4EL20rocsparse_direction_1EfiifEEvT4_S2_T3_PKT5_S2_PS4_PKS3_PKS2_21rocsparse_index_base_
    .private_segment_fixed_size: 0
    .sgpr_count:     16
    .sgpr_spill_count: 0
    .symbol:         _ZN9rocsparseL23sddmm_csx_sample_kernelILi512ELi4EL20rocsparse_direction_1EfiifEEvT4_S2_T3_PKT5_S2_PS4_PKS3_PKS2_21rocsparse_index_base_.kd
    .uniform_work_group_size: 1
    .uses_dynamic_stack: false
    .vgpr_count:     19
    .vgpr_spill_count: 0
    .wavefront_size: 64
  - .agpr_count:     0
    .args:
      - .offset:         0
        .size:           4
        .value_kind:     by_value
      - .offset:         4
        .size:           4
        .value_kind:     by_value
      - .offset:         8
        .size:           4
        .value_kind:     by_value
      - .actual_access:  read_only
        .address_space:  global
        .offset:         16
        .size:           8
        .value_kind:     global_buffer
      - .offset:         24
        .size:           4
        .value_kind:     by_value
      - .actual_access:  write_only
        .address_space:  global
        .offset:         32
        .size:           8
        .value_kind:     global_buffer
      - .actual_access:  read_only
        .address_space:  global
        .offset:         40
        .size:           8
        .value_kind:     global_buffer
      - .actual_access:  read_only
        .address_space:  global
        .offset:         48
        .size:           8
        .value_kind:     global_buffer
      - .offset:         56
        .size:           4
        .value_kind:     by_value
    .group_segment_fixed_size: 0
    .kernarg_segment_align: 8
    .kernarg_segment_size: 60
    .language:       OpenCL C
    .language_version:
      - 2
      - 0
    .max_flat_workgroup_size: 512
    .name:           _ZN9rocsparseL23sddmm_csx_sample_kernelILi512ELi2EL20rocsparse_direction_1EfiifEEvT4_S2_T3_PKT5_S2_PS4_PKS3_PKS2_21rocsparse_index_base_
    .private_segment_fixed_size: 0
    .sgpr_count:     16
    .sgpr_spill_count: 0
    .symbol:         _ZN9rocsparseL23sddmm_csx_sample_kernelILi512ELi2EL20rocsparse_direction_1EfiifEEvT4_S2_T3_PKT5_S2_PS4_PKS3_PKS2_21rocsparse_index_base_.kd
    .uniform_work_group_size: 1
    .uses_dynamic_stack: false
    .vgpr_count:     19
    .vgpr_spill_count: 0
    .wavefront_size: 64
  - .agpr_count:     0
    .args:
      - .offset:         0
        .size:           4
        .value_kind:     by_value
      - .offset:         4
        .size:           4
        .value_kind:     by_value
      - .offset:         8
        .size:           4
        .value_kind:     by_value
      - .actual_access:  read_only
        .address_space:  global
        .offset:         16
        .size:           8
        .value_kind:     global_buffer
      - .offset:         24
        .size:           4
        .value_kind:     by_value
      - .actual_access:  write_only
        .address_space:  global
        .offset:         32
        .size:           8
        .value_kind:     global_buffer
      - .actual_access:  read_only
        .address_space:  global
        .offset:         40
        .size:           8
        .value_kind:     global_buffer
      - .actual_access:  read_only
        .address_space:  global
        .offset:         48
        .size:           8
        .value_kind:     global_buffer
      - .offset:         56
        .size:           4
        .value_kind:     by_value
    .group_segment_fixed_size: 0
    .kernarg_segment_align: 8
    .kernarg_segment_size: 60
    .language:       OpenCL C
    .language_version:
      - 2
      - 0
    .max_flat_workgroup_size: 512
    .name:           _ZN9rocsparseL23sddmm_csx_sample_kernelILi512ELi1EL20rocsparse_direction_1EfiifEEvT4_S2_T3_PKT5_S2_PS4_PKS3_PKS2_21rocsparse_index_base_
    .private_segment_fixed_size: 0
    .sgpr_count:     16
    .sgpr_spill_count: 0
    .symbol:         _ZN9rocsparseL23sddmm_csx_sample_kernelILi512ELi1EL20rocsparse_direction_1EfiifEEvT4_S2_T3_PKT5_S2_PS4_PKS3_PKS2_21rocsparse_index_base_.kd
    .uniform_work_group_size: 1
    .uses_dynamic_stack: false
    .vgpr_count:     18
    .vgpr_spill_count: 0
    .wavefront_size: 64
  - .agpr_count:     0
    .args:
      - .offset:         0
        .size:           4
        .value_kind:     by_value
      - .offset:         4
        .size:           4
        .value_kind:     by_value
      - .offset:         8
        .size:           4
        .value_kind:     by_value
      - .offset:         12
        .size:           4
        .value_kind:     by_value
      - .offset:         16
        .size:           4
        .value_kind:     by_value
      - .offset:         20
        .size:           4
        .value_kind:     by_value
      - .offset:         24
        .size:           4
        .value_kind:     by_value
      - .offset:         28
        .size:           4
        .value_kind:     by_value
      - .offset:         32
        .size:           8
        .value_kind:     by_value
      - .actual_access:  read_only
        .address_space:  global
        .offset:         40
        .size:           8
        .value_kind:     global_buffer
      - .offset:         48
        .size:           8
        .value_kind:     by_value
      - .actual_access:  read_only
        .address_space:  global
        .offset:         56
        .size:           8
        .value_kind:     global_buffer
      - .offset:         64
        .size:           8
        .value_kind:     by_value
      - .offset:         72
        .size:           8
        .value_kind:     by_value
      - .address_space:  global
        .offset:         80
        .size:           8
        .value_kind:     global_buffer
      - .actual_access:  read_only
        .address_space:  global
        .offset:         88
        .size:           8
        .value_kind:     global_buffer
      - .actual_access:  read_only
        .address_space:  global
        .offset:         96
        .size:           8
        .value_kind:     global_buffer
      - .offset:         104
        .size:           4
        .value_kind:     by_value
      - .offset:         108
        .size:           1
        .value_kind:     by_value
    .group_segment_fixed_size: 2048
    .kernarg_segment_align: 8
    .kernarg_segment_size: 112
    .language:       OpenCL C
    .language_version:
      - 2
      - 0
    .max_flat_workgroup_size: 512
    .name:           _ZN9rocsparseL16sddmm_csx_kernelILi512ELi8EL20rocsparse_direction_0EfiifffEEv20rocsparse_operation_S2_16rocsparse_order_S3_T4_S4_S4_T3_NS_24const_host_device_scalarIT2_EEPKT5_lPKT6_lS8_PT7_PKS5_PKS4_21rocsparse_index_base_b
    .private_segment_fixed_size: 0
    .sgpr_count:     42
    .sgpr_spill_count: 0
    .symbol:         _ZN9rocsparseL16sddmm_csx_kernelILi512ELi8EL20rocsparse_direction_0EfiifffEEv20rocsparse_operation_S2_16rocsparse_order_S3_T4_S4_S4_T3_NS_24const_host_device_scalarIT2_EEPKT5_lPKT6_lS8_PT7_PKS5_PKS4_21rocsparse_index_base_b.kd
    .uniform_work_group_size: 1
    .uses_dynamic_stack: false
    .vgpr_count:     18
    .vgpr_spill_count: 0
    .wavefront_size: 64
  - .agpr_count:     0
    .args:
      - .offset:         0
        .size:           4
        .value_kind:     by_value
      - .offset:         4
        .size:           4
        .value_kind:     by_value
      - .offset:         8
        .size:           4
        .value_kind:     by_value
      - .offset:         12
        .size:           4
        .value_kind:     by_value
      - .offset:         16
        .size:           4
        .value_kind:     by_value
      - .offset:         20
        .size:           4
        .value_kind:     by_value
      - .offset:         24
        .size:           4
        .value_kind:     by_value
      - .offset:         28
        .size:           4
        .value_kind:     by_value
      - .offset:         32
        .size:           8
        .value_kind:     by_value
      - .actual_access:  read_only
        .address_space:  global
        .offset:         40
        .size:           8
        .value_kind:     global_buffer
      - .offset:         48
        .size:           8
        .value_kind:     by_value
      - .actual_access:  read_only
        .address_space:  global
        .offset:         56
        .size:           8
        .value_kind:     global_buffer
      - .offset:         64
        .size:           8
        .value_kind:     by_value
      - .offset:         72
        .size:           8
        .value_kind:     by_value
      - .address_space:  global
        .offset:         80
        .size:           8
        .value_kind:     global_buffer
      - .actual_access:  read_only
        .address_space:  global
        .offset:         88
        .size:           8
        .value_kind:     global_buffer
      - .actual_access:  read_only
        .address_space:  global
        .offset:         96
        .size:           8
        .value_kind:     global_buffer
      - .offset:         104
        .size:           4
        .value_kind:     by_value
      - .offset:         108
        .size:           1
        .value_kind:     by_value
    .group_segment_fixed_size: 2048
    .kernarg_segment_align: 8
    .kernarg_segment_size: 112
    .language:       OpenCL C
    .language_version:
      - 2
      - 0
    .max_flat_workgroup_size: 512
    .name:           _ZN9rocsparseL16sddmm_csx_kernelILi512ELi4EL20rocsparse_direction_0EfiifffEEv20rocsparse_operation_S2_16rocsparse_order_S3_T4_S4_S4_T3_NS_24const_host_device_scalarIT2_EEPKT5_lPKT6_lS8_PT7_PKS5_PKS4_21rocsparse_index_base_b
    .private_segment_fixed_size: 0
    .sgpr_count:     38
    .sgpr_spill_count: 0
    .symbol:         _ZN9rocsparseL16sddmm_csx_kernelILi512ELi4EL20rocsparse_direction_0EfiifffEEv20rocsparse_operation_S2_16rocsparse_order_S3_T4_S4_S4_T3_NS_24const_host_device_scalarIT2_EEPKT5_lPKT6_lS8_PT7_PKS5_PKS4_21rocsparse_index_base_b.kd
    .uniform_work_group_size: 1
    .uses_dynamic_stack: false
    .vgpr_count:     18
    .vgpr_spill_count: 0
    .wavefront_size: 64
  - .agpr_count:     0
    .args:
      - .offset:         0
        .size:           4
        .value_kind:     by_value
      - .offset:         4
        .size:           4
        .value_kind:     by_value
      - .offset:         8
        .size:           4
        .value_kind:     by_value
      - .offset:         12
        .size:           4
        .value_kind:     by_value
      - .offset:         16
        .size:           4
        .value_kind:     by_value
      - .offset:         20
        .size:           4
        .value_kind:     by_value
      - .offset:         24
        .size:           4
        .value_kind:     by_value
      - .offset:         28
        .size:           4
        .value_kind:     by_value
      - .offset:         32
        .size:           8
        .value_kind:     by_value
      - .actual_access:  read_only
        .address_space:  global
        .offset:         40
        .size:           8
        .value_kind:     global_buffer
      - .offset:         48
        .size:           8
        .value_kind:     by_value
      - .actual_access:  read_only
        .address_space:  global
        .offset:         56
        .size:           8
        .value_kind:     global_buffer
      - .offset:         64
        .size:           8
        .value_kind:     by_value
      - .offset:         72
        .size:           8
        .value_kind:     by_value
      - .address_space:  global
        .offset:         80
        .size:           8
        .value_kind:     global_buffer
      - .actual_access:  read_only
        .address_space:  global
        .offset:         88
        .size:           8
        .value_kind:     global_buffer
      - .actual_access:  read_only
        .address_space:  global
        .offset:         96
        .size:           8
        .value_kind:     global_buffer
      - .offset:         104
        .size:           4
        .value_kind:     by_value
      - .offset:         108
        .size:           1
        .value_kind:     by_value
    .group_segment_fixed_size: 2048
    .kernarg_segment_align: 8
    .kernarg_segment_size: 112
    .language:       OpenCL C
    .language_version:
      - 2
      - 0
    .max_flat_workgroup_size: 512
    .name:           _ZN9rocsparseL16sddmm_csx_kernelILi512ELi2EL20rocsparse_direction_0EfiifffEEv20rocsparse_operation_S2_16rocsparse_order_S3_T4_S4_S4_T3_NS_24const_host_device_scalarIT2_EEPKT5_lPKT6_lS8_PT7_PKS5_PKS4_21rocsparse_index_base_b
    .private_segment_fixed_size: 0
    .sgpr_count:     36
    .sgpr_spill_count: 0
    .symbol:         _ZN9rocsparseL16sddmm_csx_kernelILi512ELi2EL20rocsparse_direction_0EfiifffEEv20rocsparse_operation_S2_16rocsparse_order_S3_T4_S4_S4_T3_NS_24const_host_device_scalarIT2_EEPKT5_lPKT6_lS8_PT7_PKS5_PKS4_21rocsparse_index_base_b.kd
    .uniform_work_group_size: 1
    .uses_dynamic_stack: false
    .vgpr_count:     18
    .vgpr_spill_count: 0
    .wavefront_size: 64
  - .agpr_count:     0
    .args:
      - .offset:         0
        .size:           4
        .value_kind:     by_value
      - .offset:         4
        .size:           4
        .value_kind:     by_value
      - .offset:         8
        .size:           4
        .value_kind:     by_value
      - .offset:         12
        .size:           4
        .value_kind:     by_value
      - .offset:         16
        .size:           4
        .value_kind:     by_value
      - .offset:         20
        .size:           4
        .value_kind:     by_value
      - .offset:         24
        .size:           4
        .value_kind:     by_value
      - .offset:         28
        .size:           4
        .value_kind:     by_value
      - .offset:         32
        .size:           8
        .value_kind:     by_value
      - .actual_access:  read_only
        .address_space:  global
        .offset:         40
        .size:           8
        .value_kind:     global_buffer
      - .offset:         48
        .size:           8
        .value_kind:     by_value
      - .actual_access:  read_only
        .address_space:  global
        .offset:         56
        .size:           8
        .value_kind:     global_buffer
      - .offset:         64
        .size:           8
        .value_kind:     by_value
      - .offset:         72
        .size:           8
        .value_kind:     by_value
      - .address_space:  global
        .offset:         80
        .size:           8
        .value_kind:     global_buffer
      - .actual_access:  read_only
        .address_space:  global
        .offset:         88
        .size:           8
        .value_kind:     global_buffer
      - .actual_access:  read_only
        .address_space:  global
        .offset:         96
        .size:           8
        .value_kind:     global_buffer
      - .offset:         104
        .size:           4
        .value_kind:     by_value
      - .offset:         108
        .size:           1
        .value_kind:     by_value
    .group_segment_fixed_size: 2048
    .kernarg_segment_align: 8
    .kernarg_segment_size: 112
    .language:       OpenCL C
    .language_version:
      - 2
      - 0
    .max_flat_workgroup_size: 512
    .name:           _ZN9rocsparseL16sddmm_csx_kernelILi512ELi1EL20rocsparse_direction_0EfiifffEEv20rocsparse_operation_S2_16rocsparse_order_S3_T4_S4_S4_T3_NS_24const_host_device_scalarIT2_EEPKT5_lPKT6_lS8_PT7_PKS5_PKS4_21rocsparse_index_base_b
    .private_segment_fixed_size: 0
    .sgpr_count:     34
    .sgpr_spill_count: 0
    .symbol:         _ZN9rocsparseL16sddmm_csx_kernelILi512ELi1EL20rocsparse_direction_0EfiifffEEv20rocsparse_operation_S2_16rocsparse_order_S3_T4_S4_S4_T3_NS_24const_host_device_scalarIT2_EEPKT5_lPKT6_lS8_PT7_PKS5_PKS4_21rocsparse_index_base_b.kd
    .uniform_work_group_size: 1
    .uses_dynamic_stack: false
    .vgpr_count:     13
    .vgpr_spill_count: 0
    .wavefront_size: 64
  - .agpr_count:     0
    .args:
      - .offset:         0
        .size:           4
        .value_kind:     by_value
      - .offset:         4
        .size:           4
        .value_kind:     by_value
      - .offset:         8
        .size:           4
        .value_kind:     by_value
      - .actual_access:  read_only
        .address_space:  global
        .offset:         16
        .size:           8
        .value_kind:     global_buffer
      - .actual_access:  read_only
        .address_space:  global
        .offset:         24
        .size:           8
        .value_kind:     global_buffer
      - .actual_access:  read_only
        .address_space:  global
        .offset:         32
        .size:           8
        .value_kind:     global_buffer
      - .actual_access:  write_only
        .address_space:  global
        .offset:         40
        .size:           8
        .value_kind:     global_buffer
      - .offset:         48
        .size:           8
        .value_kind:     by_value
      - .offset:         56
        .size:           4
        .value_kind:     by_value
    .group_segment_fixed_size: 0
    .kernarg_segment_align: 8
    .kernarg_segment_size: 60
    .language:       OpenCL C
    .language_version:
      - 2
      - 0
    .max_flat_workgroup_size: 512
    .name:           _ZN9rocsparseL16csr2dense_kernelILi16ELi32EiidEEviT2_S1_PKT3_PKT1_PKS1_PS2_l16rocsparse_order_
    .private_segment_fixed_size: 0
    .sgpr_count:     20
    .sgpr_spill_count: 0
    .symbol:         _ZN9rocsparseL16csr2dense_kernelILi16ELi32EiidEEviT2_S1_PKT3_PKT1_PKS1_PS2_l16rocsparse_order_.kd
    .uniform_work_group_size: 1
    .uses_dynamic_stack: false
    .vgpr_count:     14
    .vgpr_spill_count: 0
    .wavefront_size: 64
  - .agpr_count:     0
    .args:
      - .offset:         0
        .size:           4
        .value_kind:     by_value
      - .offset:         4
        .size:           4
        .value_kind:     by_value
      - .offset:         8
        .size:           4
        .value_kind:     by_value
      - .actual_access:  read_only
        .address_space:  global
        .offset:         16
        .size:           8
        .value_kind:     global_buffer
      - .actual_access:  read_only
        .address_space:  global
        .offset:         24
        .size:           8
        .value_kind:     global_buffer
      - .actual_access:  read_only
        .address_space:  global
        .offset:         32
        .size:           8
        .value_kind:     global_buffer
      - .actual_access:  write_only
        .address_space:  global
        .offset:         40
        .size:           8
        .value_kind:     global_buffer
      - .offset:         48
        .size:           8
        .value_kind:     by_value
      - .offset:         56
        .size:           4
        .value_kind:     by_value
    .group_segment_fixed_size: 0
    .kernarg_segment_align: 8
    .kernarg_segment_size: 60
    .language:       OpenCL C
    .language_version:
      - 2
      - 0
    .max_flat_workgroup_size: 1024
    .name:           _ZN9rocsparseL16csr2dense_kernelILi16ELi64EiidEEviT2_S1_PKT3_PKT1_PKS1_PS2_l16rocsparse_order_
    .private_segment_fixed_size: 0
    .sgpr_count:     20
    .sgpr_spill_count: 0
    .symbol:         _ZN9rocsparseL16csr2dense_kernelILi16ELi64EiidEEviT2_S1_PKT3_PKT1_PKS1_PS2_l16rocsparse_order_.kd
    .uniform_work_group_size: 1
    .uses_dynamic_stack: false
    .vgpr_count:     14
    .vgpr_spill_count: 0
    .wavefront_size: 64
  - .agpr_count:     0
    .args:
      - .offset:         0
        .size:           4
        .value_kind:     by_value
      - .offset:         4
        .size:           4
        .value_kind:     by_value
      - .offset:         8
        .size:           4
        .value_kind:     by_value
      - .actual_access:  read_only
        .address_space:  global
        .offset:         16
        .size:           8
        .value_kind:     global_buffer
      - .actual_access:  read_only
        .address_space:  global
        .offset:         24
        .size:           8
        .value_kind:     global_buffer
      - .actual_access:  read_only
        .address_space:  global
        .offset:         32
        .size:           8
        .value_kind:     global_buffer
      - .actual_access:  write_only
        .address_space:  global
        .offset:         40
        .size:           8
        .value_kind:     global_buffer
      - .offset:         48
        .size:           8
        .value_kind:     by_value
      - .offset:         56
        .size:           4
        .value_kind:     by_value
    .group_segment_fixed_size: 0
    .kernarg_segment_align: 8
    .kernarg_segment_size: 60
    .language:       OpenCL C
    .language_version:
      - 2
      - 0
    .max_flat_workgroup_size: 512
    .name:           _ZN9rocsparseL16csc2dense_kernelILi16ELi32EiidEEviT2_S1_PKT3_PKT1_PKS1_PS2_l16rocsparse_order_
    .private_segment_fixed_size: 0
    .sgpr_count:     19
    .sgpr_spill_count: 0
    .symbol:         _ZN9rocsparseL16csc2dense_kernelILi16ELi32EiidEEviT2_S1_PKT3_PKT1_PKS1_PS2_l16rocsparse_order_.kd
    .uniform_work_group_size: 1
    .uses_dynamic_stack: false
    .vgpr_count:     15
    .vgpr_spill_count: 0
    .wavefront_size: 64
  - .agpr_count:     0
    .args:
      - .offset:         0
        .size:           4
        .value_kind:     by_value
      - .offset:         4
        .size:           4
        .value_kind:     by_value
      - .offset:         8
        .size:           4
        .value_kind:     by_value
      - .actual_access:  read_only
        .address_space:  global
        .offset:         16
        .size:           8
        .value_kind:     global_buffer
      - .actual_access:  read_only
        .address_space:  global
        .offset:         24
        .size:           8
        .value_kind:     global_buffer
      - .actual_access:  read_only
        .address_space:  global
        .offset:         32
        .size:           8
        .value_kind:     global_buffer
      - .actual_access:  write_only
        .address_space:  global
        .offset:         40
        .size:           8
        .value_kind:     global_buffer
      - .offset:         48
        .size:           8
        .value_kind:     by_value
      - .offset:         56
        .size:           4
        .value_kind:     by_value
    .group_segment_fixed_size: 0
    .kernarg_segment_align: 8
    .kernarg_segment_size: 60
    .language:       OpenCL C
    .language_version:
      - 2
      - 0
    .max_flat_workgroup_size: 1024
    .name:           _ZN9rocsparseL16csc2dense_kernelILi16ELi64EiidEEviT2_S1_PKT3_PKT1_PKS1_PS2_l16rocsparse_order_
    .private_segment_fixed_size: 0
    .sgpr_count:     19
    .sgpr_spill_count: 0
    .symbol:         _ZN9rocsparseL16csc2dense_kernelILi16ELi64EiidEEviT2_S1_PKT3_PKT1_PKS1_PS2_l16rocsparse_order_.kd
    .uniform_work_group_size: 1
    .uses_dynamic_stack: false
    .vgpr_count:     15
    .vgpr_spill_count: 0
    .wavefront_size: 64
  - .agpr_count:     0
    .args:
      - .offset:         0
        .size:           4
        .value_kind:     by_value
      - .offset:         4
        .size:           4
        .value_kind:     by_value
      - .offset:         8
        .size:           4
        .value_kind:     by_value
      - .actual_access:  read_only
        .address_space:  global
        .offset:         16
        .size:           8
        .value_kind:     global_buffer
      - .offset:         24
        .size:           4
        .value_kind:     by_value
      - .actual_access:  write_only
        .address_space:  global
        .offset:         32
        .size:           8
        .value_kind:     global_buffer
      - .actual_access:  read_only
        .address_space:  global
        .offset:         40
        .size:           8
        .value_kind:     global_buffer
      - .actual_access:  read_only
        .address_space:  global
        .offset:         48
        .size:           8
        .value_kind:     global_buffer
      - .offset:         56
        .size:           4
        .value_kind:     by_value
    .group_segment_fixed_size: 0
    .kernarg_segment_align: 8
    .kernarg_segment_size: 60
    .language:       OpenCL C
    .language_version:
      - 2
      - 0
    .max_flat_workgroup_size: 512
    .name:           _ZN9rocsparseL23sddmm_csx_sample_kernelILi512ELi64EL20rocsparse_direction_1EdiidEEvT4_S2_T3_PKT5_S2_PS4_PKS3_PKS2_21rocsparse_index_base_
    .private_segment_fixed_size: 0
    .sgpr_count:     16
    .sgpr_spill_count: 0
    .symbol:         _ZN9rocsparseL23sddmm_csx_sample_kernelILi512ELi64EL20rocsparse_direction_1EdiidEEvT4_S2_T3_PKT5_S2_PS4_PKS3_PKS2_21rocsparse_index_base_.kd
    .uniform_work_group_size: 1
    .uses_dynamic_stack: false
    .vgpr_count:     10
    .vgpr_spill_count: 0
    .wavefront_size: 64
  - .agpr_count:     0
    .args:
      - .offset:         0
        .size:           4
        .value_kind:     by_value
      - .offset:         4
        .size:           4
        .value_kind:     by_value
      - .offset:         8
        .size:           4
        .value_kind:     by_value
      - .actual_access:  read_only
        .address_space:  global
        .offset:         16
        .size:           8
        .value_kind:     global_buffer
      - .offset:         24
        .size:           4
        .value_kind:     by_value
      - .actual_access:  write_only
        .address_space:  global
        .offset:         32
        .size:           8
        .value_kind:     global_buffer
      - .actual_access:  read_only
        .address_space:  global
        .offset:         40
        .size:           8
        .value_kind:     global_buffer
      - .actual_access:  read_only
        .address_space:  global
        .offset:         48
        .size:           8
        .value_kind:     global_buffer
      - .offset:         56
        .size:           4
        .value_kind:     by_value
    .group_segment_fixed_size: 0
    .kernarg_segment_align: 8
    .kernarg_segment_size: 60
    .language:       OpenCL C
    .language_version:
      - 2
      - 0
    .max_flat_workgroup_size: 512
    .name:           _ZN9rocsparseL23sddmm_csx_sample_kernelILi512ELi32EL20rocsparse_direction_1EdiidEEvT4_S2_T3_PKT5_S2_PS4_PKS3_PKS2_21rocsparse_index_base_
    .private_segment_fixed_size: 0
    .sgpr_count:     16
    .sgpr_spill_count: 0
    .symbol:         _ZN9rocsparseL23sddmm_csx_sample_kernelILi512ELi32EL20rocsparse_direction_1EdiidEEvT4_S2_T3_PKT5_S2_PS4_PKS3_PKS2_21rocsparse_index_base_.kd
    .uniform_work_group_size: 1
    .uses_dynamic_stack: false
    .vgpr_count:     10
    .vgpr_spill_count: 0
    .wavefront_size: 64
  - .agpr_count:     0
    .args:
      - .offset:         0
        .size:           4
        .value_kind:     by_value
      - .offset:         4
        .size:           4
        .value_kind:     by_value
      - .offset:         8
        .size:           4
        .value_kind:     by_value
      - .actual_access:  read_only
        .address_space:  global
        .offset:         16
        .size:           8
        .value_kind:     global_buffer
      - .offset:         24
        .size:           4
        .value_kind:     by_value
      - .actual_access:  write_only
        .address_space:  global
        .offset:         32
        .size:           8
        .value_kind:     global_buffer
      - .actual_access:  read_only
        .address_space:  global
        .offset:         40
        .size:           8
        .value_kind:     global_buffer
      - .actual_access:  read_only
        .address_space:  global
        .offset:         48
        .size:           8
        .value_kind:     global_buffer
      - .offset:         56
        .size:           4
        .value_kind:     by_value
    .group_segment_fixed_size: 0
    .kernarg_segment_align: 8
    .kernarg_segment_size: 60
    .language:       OpenCL C
    .language_version:
      - 2
      - 0
    .max_flat_workgroup_size: 512
    .name:           _ZN9rocsparseL23sddmm_csx_sample_kernelILi512ELi16EL20rocsparse_direction_1EdiidEEvT4_S2_T3_PKT5_S2_PS4_PKS3_PKS2_21rocsparse_index_base_
    .private_segment_fixed_size: 0
    .sgpr_count:     16
    .sgpr_spill_count: 0
    .symbol:         _ZN9rocsparseL23sddmm_csx_sample_kernelILi512ELi16EL20rocsparse_direction_1EdiidEEvT4_S2_T3_PKT5_S2_PS4_PKS3_PKS2_21rocsparse_index_base_.kd
    .uniform_work_group_size: 1
    .uses_dynamic_stack: false
    .vgpr_count:     10
    .vgpr_spill_count: 0
    .wavefront_size: 64
  - .agpr_count:     0
    .args:
      - .offset:         0
        .size:           4
        .value_kind:     by_value
      - .offset:         4
        .size:           4
        .value_kind:     by_value
      - .offset:         8
        .size:           4
        .value_kind:     by_value
      - .actual_access:  read_only
        .address_space:  global
        .offset:         16
        .size:           8
        .value_kind:     global_buffer
      - .offset:         24
        .size:           4
        .value_kind:     by_value
      - .actual_access:  write_only
        .address_space:  global
        .offset:         32
        .size:           8
        .value_kind:     global_buffer
      - .actual_access:  read_only
        .address_space:  global
        .offset:         40
        .size:           8
        .value_kind:     global_buffer
      - .actual_access:  read_only
        .address_space:  global
        .offset:         48
        .size:           8
        .value_kind:     global_buffer
      - .offset:         56
        .size:           4
        .value_kind:     by_value
    .group_segment_fixed_size: 0
    .kernarg_segment_align: 8
    .kernarg_segment_size: 60
    .language:       OpenCL C
    .language_version:
      - 2
      - 0
    .max_flat_workgroup_size: 512
    .name:           _ZN9rocsparseL23sddmm_csx_sample_kernelILi512ELi8EL20rocsparse_direction_1EdiidEEvT4_S2_T3_PKT5_S2_PS4_PKS3_PKS2_21rocsparse_index_base_
    .private_segment_fixed_size: 0
    .sgpr_count:     16
    .sgpr_spill_count: 0
    .symbol:         _ZN9rocsparseL23sddmm_csx_sample_kernelILi512ELi8EL20rocsparse_direction_1EdiidEEvT4_S2_T3_PKT5_S2_PS4_PKS3_PKS2_21rocsparse_index_base_.kd
    .uniform_work_group_size: 1
    .uses_dynamic_stack: false
    .vgpr_count:     10
    .vgpr_spill_count: 0
    .wavefront_size: 64
  - .agpr_count:     0
    .args:
      - .offset:         0
        .size:           4
        .value_kind:     by_value
      - .offset:         4
        .size:           4
        .value_kind:     by_value
      - .offset:         8
        .size:           4
        .value_kind:     by_value
      - .actual_access:  read_only
        .address_space:  global
        .offset:         16
        .size:           8
        .value_kind:     global_buffer
      - .offset:         24
        .size:           4
        .value_kind:     by_value
      - .actual_access:  write_only
        .address_space:  global
        .offset:         32
        .size:           8
        .value_kind:     global_buffer
      - .actual_access:  read_only
        .address_space:  global
        .offset:         40
        .size:           8
        .value_kind:     global_buffer
      - .actual_access:  read_only
        .address_space:  global
        .offset:         48
        .size:           8
        .value_kind:     global_buffer
      - .offset:         56
        .size:           4
        .value_kind:     by_value
    .group_segment_fixed_size: 0
    .kernarg_segment_align: 8
    .kernarg_segment_size: 60
    .language:       OpenCL C
    .language_version:
      - 2
      - 0
    .max_flat_workgroup_size: 512
    .name:           _ZN9rocsparseL23sddmm_csx_sample_kernelILi512ELi4EL20rocsparse_direction_1EdiidEEvT4_S2_T3_PKT5_S2_PS4_PKS3_PKS2_21rocsparse_index_base_
    .private_segment_fixed_size: 0
    .sgpr_count:     16
    .sgpr_spill_count: 0
    .symbol:         _ZN9rocsparseL23sddmm_csx_sample_kernelILi512ELi4EL20rocsparse_direction_1EdiidEEvT4_S2_T3_PKT5_S2_PS4_PKS3_PKS2_21rocsparse_index_base_.kd
    .uniform_work_group_size: 1
    .uses_dynamic_stack: false
    .vgpr_count:     10
    .vgpr_spill_count: 0
    .wavefront_size: 64
  - .agpr_count:     0
    .args:
      - .offset:         0
        .size:           4
        .value_kind:     by_value
      - .offset:         4
        .size:           4
        .value_kind:     by_value
      - .offset:         8
        .size:           4
        .value_kind:     by_value
      - .actual_access:  read_only
        .address_space:  global
        .offset:         16
        .size:           8
        .value_kind:     global_buffer
      - .offset:         24
        .size:           4
        .value_kind:     by_value
      - .actual_access:  write_only
        .address_space:  global
        .offset:         32
        .size:           8
        .value_kind:     global_buffer
      - .actual_access:  read_only
        .address_space:  global
        .offset:         40
        .size:           8
        .value_kind:     global_buffer
      - .actual_access:  read_only
        .address_space:  global
        .offset:         48
        .size:           8
        .value_kind:     global_buffer
      - .offset:         56
        .size:           4
        .value_kind:     by_value
    .group_segment_fixed_size: 0
    .kernarg_segment_align: 8
    .kernarg_segment_size: 60
    .language:       OpenCL C
    .language_version:
      - 2
      - 0
    .max_flat_workgroup_size: 512
    .name:           _ZN9rocsparseL23sddmm_csx_sample_kernelILi512ELi2EL20rocsparse_direction_1EdiidEEvT4_S2_T3_PKT5_S2_PS4_PKS3_PKS2_21rocsparse_index_base_
    .private_segment_fixed_size: 0
    .sgpr_count:     16
    .sgpr_spill_count: 0
    .symbol:         _ZN9rocsparseL23sddmm_csx_sample_kernelILi512ELi2EL20rocsparse_direction_1EdiidEEvT4_S2_T3_PKT5_S2_PS4_PKS3_PKS2_21rocsparse_index_base_.kd
    .uniform_work_group_size: 1
    .uses_dynamic_stack: false
    .vgpr_count:     10
    .vgpr_spill_count: 0
    .wavefront_size: 64
  - .agpr_count:     0
    .args:
      - .offset:         0
        .size:           4
        .value_kind:     by_value
      - .offset:         4
        .size:           4
        .value_kind:     by_value
      - .offset:         8
        .size:           4
        .value_kind:     by_value
      - .actual_access:  read_only
        .address_space:  global
        .offset:         16
        .size:           8
        .value_kind:     global_buffer
      - .offset:         24
        .size:           4
        .value_kind:     by_value
      - .actual_access:  write_only
        .address_space:  global
        .offset:         32
        .size:           8
        .value_kind:     global_buffer
      - .actual_access:  read_only
        .address_space:  global
        .offset:         40
        .size:           8
        .value_kind:     global_buffer
      - .actual_access:  read_only
        .address_space:  global
        .offset:         48
        .size:           8
        .value_kind:     global_buffer
      - .offset:         56
        .size:           4
        .value_kind:     by_value
    .group_segment_fixed_size: 0
    .kernarg_segment_align: 8
    .kernarg_segment_size: 60
    .language:       OpenCL C
    .language_version:
      - 2
      - 0
    .max_flat_workgroup_size: 512
    .name:           _ZN9rocsparseL23sddmm_csx_sample_kernelILi512ELi1EL20rocsparse_direction_1EdiidEEvT4_S2_T3_PKT5_S2_PS4_PKS3_PKS2_21rocsparse_index_base_
    .private_segment_fixed_size: 0
    .sgpr_count:     16
    .sgpr_spill_count: 0
    .symbol:         _ZN9rocsparseL23sddmm_csx_sample_kernelILi512ELi1EL20rocsparse_direction_1EdiidEEvT4_S2_T3_PKT5_S2_PS4_PKS3_PKS2_21rocsparse_index_base_.kd
    .uniform_work_group_size: 1
    .uses_dynamic_stack: false
    .vgpr_count:     10
    .vgpr_spill_count: 0
    .wavefront_size: 64
  - .agpr_count:     0
    .args:
      - .offset:         0
        .size:           4
        .value_kind:     by_value
      - .offset:         4
        .size:           4
        .value_kind:     by_value
      - .offset:         8
        .size:           4
        .value_kind:     by_value
      - .offset:         12
        .size:           4
        .value_kind:     by_value
      - .offset:         16
        .size:           4
        .value_kind:     by_value
      - .offset:         20
        .size:           4
        .value_kind:     by_value
      - .offset:         24
        .size:           4
        .value_kind:     by_value
      - .offset:         28
        .size:           4
        .value_kind:     by_value
      - .offset:         32
        .size:           8
        .value_kind:     by_value
      - .actual_access:  read_only
        .address_space:  global
        .offset:         40
        .size:           8
        .value_kind:     global_buffer
      - .offset:         48
        .size:           8
        .value_kind:     by_value
      - .actual_access:  read_only
        .address_space:  global
        .offset:         56
        .size:           8
        .value_kind:     global_buffer
      - .offset:         64
        .size:           8
        .value_kind:     by_value
      - .offset:         72
        .size:           8
        .value_kind:     by_value
      - .address_space:  global
        .offset:         80
        .size:           8
        .value_kind:     global_buffer
      - .actual_access:  read_only
        .address_space:  global
        .offset:         88
        .size:           8
        .value_kind:     global_buffer
      - .actual_access:  read_only
        .address_space:  global
        .offset:         96
        .size:           8
        .value_kind:     global_buffer
      - .offset:         104
        .size:           4
        .value_kind:     by_value
      - .offset:         108
        .size:           1
        .value_kind:     by_value
    .group_segment_fixed_size: 4096
    .kernarg_segment_align: 8
    .kernarg_segment_size: 112
    .language:       OpenCL C
    .language_version:
      - 2
      - 0
    .max_flat_workgroup_size: 512
    .name:           _ZN9rocsparseL16sddmm_csx_kernelILi512ELi8EL20rocsparse_direction_0EdiidddEEv20rocsparse_operation_S2_16rocsparse_order_S3_T4_S4_S4_T3_NS_24const_host_device_scalarIT2_EEPKT5_lPKT6_lS8_PT7_PKS5_PKS4_21rocsparse_index_base_b
    .private_segment_fixed_size: 0
    .sgpr_count:     38
    .sgpr_spill_count: 0
    .symbol:         _ZN9rocsparseL16sddmm_csx_kernelILi512ELi8EL20rocsparse_direction_0EdiidddEEv20rocsparse_operation_S2_16rocsparse_order_S3_T4_S4_S4_T3_NS_24const_host_device_scalarIT2_EEPKT5_lPKT6_lS8_PT7_PKS5_PKS4_21rocsparse_index_base_b.kd
    .uniform_work_group_size: 1
    .uses_dynamic_stack: false
    .vgpr_count:     26
    .vgpr_spill_count: 0
    .wavefront_size: 64
  - .agpr_count:     0
    .args:
      - .offset:         0
        .size:           4
        .value_kind:     by_value
      - .offset:         4
        .size:           4
        .value_kind:     by_value
      - .offset:         8
        .size:           4
        .value_kind:     by_value
      - .offset:         12
        .size:           4
        .value_kind:     by_value
      - .offset:         16
        .size:           4
        .value_kind:     by_value
      - .offset:         20
        .size:           4
        .value_kind:     by_value
      - .offset:         24
        .size:           4
        .value_kind:     by_value
      - .offset:         28
        .size:           4
        .value_kind:     by_value
      - .offset:         32
        .size:           8
        .value_kind:     by_value
      - .actual_access:  read_only
        .address_space:  global
        .offset:         40
        .size:           8
        .value_kind:     global_buffer
      - .offset:         48
        .size:           8
        .value_kind:     by_value
      - .actual_access:  read_only
        .address_space:  global
        .offset:         56
        .size:           8
        .value_kind:     global_buffer
      - .offset:         64
        .size:           8
        .value_kind:     by_value
      - .offset:         72
        .size:           8
        .value_kind:     by_value
      - .address_space:  global
        .offset:         80
        .size:           8
        .value_kind:     global_buffer
      - .actual_access:  read_only
        .address_space:  global
        .offset:         88
        .size:           8
        .value_kind:     global_buffer
      - .actual_access:  read_only
        .address_space:  global
        .offset:         96
        .size:           8
        .value_kind:     global_buffer
      - .offset:         104
        .size:           4
        .value_kind:     by_value
      - .offset:         108
        .size:           1
        .value_kind:     by_value
    .group_segment_fixed_size: 4096
    .kernarg_segment_align: 8
    .kernarg_segment_size: 112
    .language:       OpenCL C
    .language_version:
      - 2
      - 0
    .max_flat_workgroup_size: 512
    .name:           _ZN9rocsparseL16sddmm_csx_kernelILi512ELi4EL20rocsparse_direction_0EdiidddEEv20rocsparse_operation_S2_16rocsparse_order_S3_T4_S4_S4_T3_NS_24const_host_device_scalarIT2_EEPKT5_lPKT6_lS8_PT7_PKS5_PKS4_21rocsparse_index_base_b
    .private_segment_fixed_size: 0
    .sgpr_count:     36
    .sgpr_spill_count: 0
    .symbol:         _ZN9rocsparseL16sddmm_csx_kernelILi512ELi4EL20rocsparse_direction_0EdiidddEEv20rocsparse_operation_S2_16rocsparse_order_S3_T4_S4_S4_T3_NS_24const_host_device_scalarIT2_EEPKT5_lPKT6_lS8_PT7_PKS5_PKS4_21rocsparse_index_base_b.kd
    .uniform_work_group_size: 1
    .uses_dynamic_stack: false
    .vgpr_count:     26
    .vgpr_spill_count: 0
    .wavefront_size: 64
  - .agpr_count:     0
    .args:
      - .offset:         0
        .size:           4
        .value_kind:     by_value
      - .offset:         4
        .size:           4
        .value_kind:     by_value
      - .offset:         8
        .size:           4
        .value_kind:     by_value
      - .offset:         12
        .size:           4
        .value_kind:     by_value
      - .offset:         16
        .size:           4
        .value_kind:     by_value
      - .offset:         20
        .size:           4
        .value_kind:     by_value
      - .offset:         24
        .size:           4
        .value_kind:     by_value
      - .offset:         28
        .size:           4
        .value_kind:     by_value
      - .offset:         32
        .size:           8
        .value_kind:     by_value
      - .actual_access:  read_only
        .address_space:  global
        .offset:         40
        .size:           8
        .value_kind:     global_buffer
      - .offset:         48
        .size:           8
        .value_kind:     by_value
      - .actual_access:  read_only
        .address_space:  global
        .offset:         56
        .size:           8
        .value_kind:     global_buffer
      - .offset:         64
        .size:           8
        .value_kind:     by_value
      - .offset:         72
        .size:           8
        .value_kind:     by_value
      - .address_space:  global
        .offset:         80
        .size:           8
        .value_kind:     global_buffer
      - .actual_access:  read_only
        .address_space:  global
        .offset:         88
        .size:           8
        .value_kind:     global_buffer
      - .actual_access:  read_only
        .address_space:  global
        .offset:         96
        .size:           8
        .value_kind:     global_buffer
      - .offset:         104
        .size:           4
        .value_kind:     by_value
      - .offset:         108
        .size:           1
        .value_kind:     by_value
    .group_segment_fixed_size: 4096
    .kernarg_segment_align: 8
    .kernarg_segment_size: 112
    .language:       OpenCL C
    .language_version:
      - 2
      - 0
    .max_flat_workgroup_size: 512
    .name:           _ZN9rocsparseL16sddmm_csx_kernelILi512ELi2EL20rocsparse_direction_0EdiidddEEv20rocsparse_operation_S2_16rocsparse_order_S3_T4_S4_S4_T3_NS_24const_host_device_scalarIT2_EEPKT5_lPKT6_lS8_PT7_PKS5_PKS4_21rocsparse_index_base_b
    .private_segment_fixed_size: 0
    .sgpr_count:     34
    .sgpr_spill_count: 0
    .symbol:         _ZN9rocsparseL16sddmm_csx_kernelILi512ELi2EL20rocsparse_direction_0EdiidddEEv20rocsparse_operation_S2_16rocsparse_order_S3_T4_S4_S4_T3_NS_24const_host_device_scalarIT2_EEPKT5_lPKT6_lS8_PT7_PKS5_PKS4_21rocsparse_index_base_b.kd
    .uniform_work_group_size: 1
    .uses_dynamic_stack: false
    .vgpr_count:     26
    .vgpr_spill_count: 0
    .wavefront_size: 64
  - .agpr_count:     0
    .args:
      - .offset:         0
        .size:           4
        .value_kind:     by_value
      - .offset:         4
        .size:           4
        .value_kind:     by_value
      - .offset:         8
        .size:           4
        .value_kind:     by_value
      - .offset:         12
        .size:           4
        .value_kind:     by_value
      - .offset:         16
        .size:           4
        .value_kind:     by_value
      - .offset:         20
        .size:           4
        .value_kind:     by_value
      - .offset:         24
        .size:           4
        .value_kind:     by_value
      - .offset:         28
        .size:           4
        .value_kind:     by_value
      - .offset:         32
        .size:           8
        .value_kind:     by_value
      - .actual_access:  read_only
        .address_space:  global
        .offset:         40
        .size:           8
        .value_kind:     global_buffer
      - .offset:         48
        .size:           8
        .value_kind:     by_value
      - .actual_access:  read_only
        .address_space:  global
        .offset:         56
        .size:           8
        .value_kind:     global_buffer
      - .offset:         64
        .size:           8
        .value_kind:     by_value
      - .offset:         72
        .size:           8
        .value_kind:     by_value
      - .address_space:  global
        .offset:         80
        .size:           8
        .value_kind:     global_buffer
      - .actual_access:  read_only
        .address_space:  global
        .offset:         88
        .size:           8
        .value_kind:     global_buffer
      - .actual_access:  read_only
        .address_space:  global
        .offset:         96
        .size:           8
        .value_kind:     global_buffer
      - .offset:         104
        .size:           4
        .value_kind:     by_value
      - .offset:         108
        .size:           1
        .value_kind:     by_value
    .group_segment_fixed_size: 4096
    .kernarg_segment_align: 8
    .kernarg_segment_size: 112
    .language:       OpenCL C
    .language_version:
      - 2
      - 0
    .max_flat_workgroup_size: 512
    .name:           _ZN9rocsparseL16sddmm_csx_kernelILi512ELi1EL20rocsparse_direction_0EdiidddEEv20rocsparse_operation_S2_16rocsparse_order_S3_T4_S4_S4_T3_NS_24const_host_device_scalarIT2_EEPKT5_lPKT6_lS8_PT7_PKS5_PKS4_21rocsparse_index_base_b
    .private_segment_fixed_size: 0
    .sgpr_count:     32
    .sgpr_spill_count: 0
    .symbol:         _ZN9rocsparseL16sddmm_csx_kernelILi512ELi1EL20rocsparse_direction_0EdiidddEEv20rocsparse_operation_S2_16rocsparse_order_S3_T4_S4_S4_T3_NS_24const_host_device_scalarIT2_EEPKT5_lPKT6_lS8_PT7_PKS5_PKS4_21rocsparse_index_base_b.kd
    .uniform_work_group_size: 1
    .uses_dynamic_stack: false
    .vgpr_count:     20
    .vgpr_spill_count: 0
    .wavefront_size: 64
  - .agpr_count:     0
    .args:
      - .offset:         0
        .size:           4
        .value_kind:     by_value
      - .offset:         4
        .size:           4
        .value_kind:     by_value
      - .offset:         8
        .size:           4
        .value_kind:     by_value
      - .actual_access:  read_only
        .address_space:  global
        .offset:         16
        .size:           8
        .value_kind:     global_buffer
      - .actual_access:  read_only
        .address_space:  global
        .offset:         24
        .size:           8
        .value_kind:     global_buffer
      - .actual_access:  read_only
        .address_space:  global
        .offset:         32
        .size:           8
        .value_kind:     global_buffer
      - .actual_access:  write_only
        .address_space:  global
        .offset:         40
        .size:           8
        .value_kind:     global_buffer
      - .offset:         48
        .size:           8
        .value_kind:     by_value
      - .offset:         56
        .size:           4
        .value_kind:     by_value
    .group_segment_fixed_size: 0
    .kernarg_segment_align: 8
    .kernarg_segment_size: 60
    .language:       OpenCL C
    .language_version:
      - 2
      - 0
    .max_flat_workgroup_size: 512
    .name:           _ZN9rocsparseL16csr2dense_kernelILi16ELi32Eii21rocsparse_complex_numIfEEEviT2_S3_PKT3_PKT1_PKS3_PS4_l16rocsparse_order_
    .private_segment_fixed_size: 0
    .sgpr_count:     20
    .sgpr_spill_count: 0
    .symbol:         _ZN9rocsparseL16csr2dense_kernelILi16ELi32Eii21rocsparse_complex_numIfEEEviT2_S3_PKT3_PKT1_PKS3_PS4_l16rocsparse_order_.kd
    .uniform_work_group_size: 1
    .uses_dynamic_stack: false
    .vgpr_count:     16
    .vgpr_spill_count: 0
    .wavefront_size: 64
  - .agpr_count:     0
    .args:
      - .offset:         0
        .size:           4
        .value_kind:     by_value
      - .offset:         4
        .size:           4
        .value_kind:     by_value
      - .offset:         8
        .size:           4
        .value_kind:     by_value
      - .actual_access:  read_only
        .address_space:  global
        .offset:         16
        .size:           8
        .value_kind:     global_buffer
      - .actual_access:  read_only
        .address_space:  global
        .offset:         24
        .size:           8
        .value_kind:     global_buffer
      - .actual_access:  read_only
        .address_space:  global
        .offset:         32
        .size:           8
        .value_kind:     global_buffer
      - .actual_access:  write_only
        .address_space:  global
        .offset:         40
        .size:           8
        .value_kind:     global_buffer
      - .offset:         48
        .size:           8
        .value_kind:     by_value
      - .offset:         56
        .size:           4
        .value_kind:     by_value
    .group_segment_fixed_size: 0
    .kernarg_segment_align: 8
    .kernarg_segment_size: 60
    .language:       OpenCL C
    .language_version:
      - 2
      - 0
    .max_flat_workgroup_size: 1024
    .name:           _ZN9rocsparseL16csr2dense_kernelILi16ELi64Eii21rocsparse_complex_numIfEEEviT2_S3_PKT3_PKT1_PKS3_PS4_l16rocsparse_order_
    .private_segment_fixed_size: 0
    .sgpr_count:     20
    .sgpr_spill_count: 0
    .symbol:         _ZN9rocsparseL16csr2dense_kernelILi16ELi64Eii21rocsparse_complex_numIfEEEviT2_S3_PKT3_PKT1_PKS3_PS4_l16rocsparse_order_.kd
    .uniform_work_group_size: 1
    .uses_dynamic_stack: false
    .vgpr_count:     16
    .vgpr_spill_count: 0
    .wavefront_size: 64
  - .agpr_count:     0
    .args:
      - .offset:         0
        .size:           4
        .value_kind:     by_value
      - .offset:         4
        .size:           4
        .value_kind:     by_value
      - .offset:         8
        .size:           4
        .value_kind:     by_value
      - .actual_access:  read_only
        .address_space:  global
        .offset:         16
        .size:           8
        .value_kind:     global_buffer
      - .actual_access:  read_only
        .address_space:  global
        .offset:         24
        .size:           8
        .value_kind:     global_buffer
      - .actual_access:  read_only
        .address_space:  global
        .offset:         32
        .size:           8
        .value_kind:     global_buffer
      - .actual_access:  write_only
        .address_space:  global
        .offset:         40
        .size:           8
        .value_kind:     global_buffer
      - .offset:         48
        .size:           8
        .value_kind:     by_value
      - .offset:         56
        .size:           4
        .value_kind:     by_value
    .group_segment_fixed_size: 0
    .kernarg_segment_align: 8
    .kernarg_segment_size: 60
    .language:       OpenCL C
    .language_version:
      - 2
      - 0
    .max_flat_workgroup_size: 512
    .name:           _ZN9rocsparseL16csc2dense_kernelILi16ELi32Eii21rocsparse_complex_numIfEEEviT2_S3_PKT3_PKT1_PKS3_PS4_l16rocsparse_order_
    .private_segment_fixed_size: 0
    .sgpr_count:     19
    .sgpr_spill_count: 0
    .symbol:         _ZN9rocsparseL16csc2dense_kernelILi16ELi32Eii21rocsparse_complex_numIfEEEviT2_S3_PKT3_PKT1_PKS3_PS4_l16rocsparse_order_.kd
    .uniform_work_group_size: 1
    .uses_dynamic_stack: false
    .vgpr_count:     17
    .vgpr_spill_count: 0
    .wavefront_size: 64
  - .agpr_count:     0
    .args:
      - .offset:         0
        .size:           4
        .value_kind:     by_value
      - .offset:         4
        .size:           4
        .value_kind:     by_value
      - .offset:         8
        .size:           4
        .value_kind:     by_value
      - .actual_access:  read_only
        .address_space:  global
        .offset:         16
        .size:           8
        .value_kind:     global_buffer
      - .actual_access:  read_only
        .address_space:  global
        .offset:         24
        .size:           8
        .value_kind:     global_buffer
      - .actual_access:  read_only
        .address_space:  global
        .offset:         32
        .size:           8
        .value_kind:     global_buffer
      - .actual_access:  write_only
        .address_space:  global
        .offset:         40
        .size:           8
        .value_kind:     global_buffer
      - .offset:         48
        .size:           8
        .value_kind:     by_value
      - .offset:         56
        .size:           4
        .value_kind:     by_value
    .group_segment_fixed_size: 0
    .kernarg_segment_align: 8
    .kernarg_segment_size: 60
    .language:       OpenCL C
    .language_version:
      - 2
      - 0
    .max_flat_workgroup_size: 1024
    .name:           _ZN9rocsparseL16csc2dense_kernelILi16ELi64Eii21rocsparse_complex_numIfEEEviT2_S3_PKT3_PKT1_PKS3_PS4_l16rocsparse_order_
    .private_segment_fixed_size: 0
    .sgpr_count:     19
    .sgpr_spill_count: 0
    .symbol:         _ZN9rocsparseL16csc2dense_kernelILi16ELi64Eii21rocsparse_complex_numIfEEEviT2_S3_PKT3_PKT1_PKS3_PS4_l16rocsparse_order_.kd
    .uniform_work_group_size: 1
    .uses_dynamic_stack: false
    .vgpr_count:     17
    .vgpr_spill_count: 0
    .wavefront_size: 64
  - .agpr_count:     0
    .args:
      - .offset:         0
        .size:           4
        .value_kind:     by_value
      - .offset:         4
        .size:           4
        .value_kind:     by_value
      - .offset:         8
        .size:           4
        .value_kind:     by_value
      - .actual_access:  read_only
        .address_space:  global
        .offset:         16
        .size:           8
        .value_kind:     global_buffer
      - .offset:         24
        .size:           4
        .value_kind:     by_value
      - .actual_access:  write_only
        .address_space:  global
        .offset:         32
        .size:           8
        .value_kind:     global_buffer
      - .actual_access:  read_only
        .address_space:  global
        .offset:         40
        .size:           8
        .value_kind:     global_buffer
      - .actual_access:  read_only
        .address_space:  global
        .offset:         48
        .size:           8
        .value_kind:     global_buffer
      - .offset:         56
        .size:           4
        .value_kind:     by_value
    .group_segment_fixed_size: 0
    .kernarg_segment_align: 8
    .kernarg_segment_size: 60
    .language:       OpenCL C
    .language_version:
      - 2
      - 0
    .max_flat_workgroup_size: 512
    .name:           _ZN9rocsparseL23sddmm_csx_sample_kernelILi512ELi64EL20rocsparse_direction_1E21rocsparse_complex_numIfEiiS3_EEvT4_S4_T3_PKT5_S4_PS6_PKS5_PKS4_21rocsparse_index_base_
    .private_segment_fixed_size: 0
    .sgpr_count:     16
    .sgpr_spill_count: 0
    .symbol:         _ZN9rocsparseL23sddmm_csx_sample_kernelILi512ELi64EL20rocsparse_direction_1E21rocsparse_complex_numIfEiiS3_EEvT4_S4_T3_PKT5_S4_PS6_PKS5_PKS4_21rocsparse_index_base_.kd
    .uniform_work_group_size: 1
    .uses_dynamic_stack: false
    .vgpr_count:     10
    .vgpr_spill_count: 0
    .wavefront_size: 64
  - .agpr_count:     0
    .args:
      - .offset:         0
        .size:           4
        .value_kind:     by_value
      - .offset:         4
        .size:           4
        .value_kind:     by_value
      - .offset:         8
        .size:           4
        .value_kind:     by_value
      - .actual_access:  read_only
        .address_space:  global
        .offset:         16
        .size:           8
        .value_kind:     global_buffer
      - .offset:         24
        .size:           4
        .value_kind:     by_value
      - .actual_access:  write_only
        .address_space:  global
        .offset:         32
        .size:           8
        .value_kind:     global_buffer
      - .actual_access:  read_only
        .address_space:  global
        .offset:         40
        .size:           8
        .value_kind:     global_buffer
      - .actual_access:  read_only
        .address_space:  global
        .offset:         48
        .size:           8
        .value_kind:     global_buffer
      - .offset:         56
        .size:           4
        .value_kind:     by_value
    .group_segment_fixed_size: 0
    .kernarg_segment_align: 8
    .kernarg_segment_size: 60
    .language:       OpenCL C
    .language_version:
      - 2
      - 0
    .max_flat_workgroup_size: 512
    .name:           _ZN9rocsparseL23sddmm_csx_sample_kernelILi512ELi32EL20rocsparse_direction_1E21rocsparse_complex_numIfEiiS3_EEvT4_S4_T3_PKT5_S4_PS6_PKS5_PKS4_21rocsparse_index_base_
    .private_segment_fixed_size: 0
    .sgpr_count:     16
    .sgpr_spill_count: 0
    .symbol:         _ZN9rocsparseL23sddmm_csx_sample_kernelILi512ELi32EL20rocsparse_direction_1E21rocsparse_complex_numIfEiiS3_EEvT4_S4_T3_PKT5_S4_PS6_PKS5_PKS4_21rocsparse_index_base_.kd
    .uniform_work_group_size: 1
    .uses_dynamic_stack: false
    .vgpr_count:     10
    .vgpr_spill_count: 0
    .wavefront_size: 64
  - .agpr_count:     0
    .args:
      - .offset:         0
        .size:           4
        .value_kind:     by_value
      - .offset:         4
        .size:           4
        .value_kind:     by_value
      - .offset:         8
        .size:           4
        .value_kind:     by_value
      - .actual_access:  read_only
        .address_space:  global
        .offset:         16
        .size:           8
        .value_kind:     global_buffer
      - .offset:         24
        .size:           4
        .value_kind:     by_value
      - .actual_access:  write_only
        .address_space:  global
        .offset:         32
        .size:           8
        .value_kind:     global_buffer
      - .actual_access:  read_only
        .address_space:  global
        .offset:         40
        .size:           8
        .value_kind:     global_buffer
      - .actual_access:  read_only
        .address_space:  global
        .offset:         48
        .size:           8
        .value_kind:     global_buffer
      - .offset:         56
        .size:           4
        .value_kind:     by_value
    .group_segment_fixed_size: 0
    .kernarg_segment_align: 8
    .kernarg_segment_size: 60
    .language:       OpenCL C
    .language_version:
      - 2
      - 0
    .max_flat_workgroup_size: 512
    .name:           _ZN9rocsparseL23sddmm_csx_sample_kernelILi512ELi16EL20rocsparse_direction_1E21rocsparse_complex_numIfEiiS3_EEvT4_S4_T3_PKT5_S4_PS6_PKS5_PKS4_21rocsparse_index_base_
    .private_segment_fixed_size: 0
    .sgpr_count:     16
    .sgpr_spill_count: 0
    .symbol:         _ZN9rocsparseL23sddmm_csx_sample_kernelILi512ELi16EL20rocsparse_direction_1E21rocsparse_complex_numIfEiiS3_EEvT4_S4_T3_PKT5_S4_PS6_PKS5_PKS4_21rocsparse_index_base_.kd
    .uniform_work_group_size: 1
    .uses_dynamic_stack: false
    .vgpr_count:     10
    .vgpr_spill_count: 0
    .wavefront_size: 64
  - .agpr_count:     0
    .args:
      - .offset:         0
        .size:           4
        .value_kind:     by_value
      - .offset:         4
        .size:           4
        .value_kind:     by_value
      - .offset:         8
        .size:           4
        .value_kind:     by_value
      - .actual_access:  read_only
        .address_space:  global
        .offset:         16
        .size:           8
        .value_kind:     global_buffer
      - .offset:         24
        .size:           4
        .value_kind:     by_value
      - .actual_access:  write_only
        .address_space:  global
        .offset:         32
        .size:           8
        .value_kind:     global_buffer
      - .actual_access:  read_only
        .address_space:  global
        .offset:         40
        .size:           8
        .value_kind:     global_buffer
      - .actual_access:  read_only
        .address_space:  global
        .offset:         48
        .size:           8
        .value_kind:     global_buffer
      - .offset:         56
        .size:           4
        .value_kind:     by_value
    .group_segment_fixed_size: 0
    .kernarg_segment_align: 8
    .kernarg_segment_size: 60
    .language:       OpenCL C
    .language_version:
      - 2
      - 0
    .max_flat_workgroup_size: 512
    .name:           _ZN9rocsparseL23sddmm_csx_sample_kernelILi512ELi8EL20rocsparse_direction_1E21rocsparse_complex_numIfEiiS3_EEvT4_S4_T3_PKT5_S4_PS6_PKS5_PKS4_21rocsparse_index_base_
    .private_segment_fixed_size: 0
    .sgpr_count:     16
    .sgpr_spill_count: 0
    .symbol:         _ZN9rocsparseL23sddmm_csx_sample_kernelILi512ELi8EL20rocsparse_direction_1E21rocsparse_complex_numIfEiiS3_EEvT4_S4_T3_PKT5_S4_PS6_PKS5_PKS4_21rocsparse_index_base_.kd
    .uniform_work_group_size: 1
    .uses_dynamic_stack: false
    .vgpr_count:     10
    .vgpr_spill_count: 0
    .wavefront_size: 64
  - .agpr_count:     0
    .args:
      - .offset:         0
        .size:           4
        .value_kind:     by_value
      - .offset:         4
        .size:           4
        .value_kind:     by_value
      - .offset:         8
        .size:           4
        .value_kind:     by_value
      - .actual_access:  read_only
        .address_space:  global
        .offset:         16
        .size:           8
        .value_kind:     global_buffer
      - .offset:         24
        .size:           4
        .value_kind:     by_value
      - .actual_access:  write_only
        .address_space:  global
        .offset:         32
        .size:           8
        .value_kind:     global_buffer
      - .actual_access:  read_only
        .address_space:  global
        .offset:         40
        .size:           8
        .value_kind:     global_buffer
      - .actual_access:  read_only
        .address_space:  global
        .offset:         48
        .size:           8
        .value_kind:     global_buffer
      - .offset:         56
        .size:           4
        .value_kind:     by_value
    .group_segment_fixed_size: 0
    .kernarg_segment_align: 8
    .kernarg_segment_size: 60
    .language:       OpenCL C
    .language_version:
      - 2
      - 0
    .max_flat_workgroup_size: 512
    .name:           _ZN9rocsparseL23sddmm_csx_sample_kernelILi512ELi4EL20rocsparse_direction_1E21rocsparse_complex_numIfEiiS3_EEvT4_S4_T3_PKT5_S4_PS6_PKS5_PKS4_21rocsparse_index_base_
    .private_segment_fixed_size: 0
    .sgpr_count:     16
    .sgpr_spill_count: 0
    .symbol:         _ZN9rocsparseL23sddmm_csx_sample_kernelILi512ELi4EL20rocsparse_direction_1E21rocsparse_complex_numIfEiiS3_EEvT4_S4_T3_PKT5_S4_PS6_PKS5_PKS4_21rocsparse_index_base_.kd
    .uniform_work_group_size: 1
    .uses_dynamic_stack: false
    .vgpr_count:     10
    .vgpr_spill_count: 0
    .wavefront_size: 64
  - .agpr_count:     0
    .args:
      - .offset:         0
        .size:           4
        .value_kind:     by_value
      - .offset:         4
        .size:           4
        .value_kind:     by_value
      - .offset:         8
        .size:           4
        .value_kind:     by_value
      - .actual_access:  read_only
        .address_space:  global
        .offset:         16
        .size:           8
        .value_kind:     global_buffer
      - .offset:         24
        .size:           4
        .value_kind:     by_value
      - .actual_access:  write_only
        .address_space:  global
        .offset:         32
        .size:           8
        .value_kind:     global_buffer
      - .actual_access:  read_only
        .address_space:  global
        .offset:         40
        .size:           8
        .value_kind:     global_buffer
      - .actual_access:  read_only
        .address_space:  global
        .offset:         48
        .size:           8
        .value_kind:     global_buffer
      - .offset:         56
        .size:           4
        .value_kind:     by_value
    .group_segment_fixed_size: 0
    .kernarg_segment_align: 8
    .kernarg_segment_size: 60
    .language:       OpenCL C
    .language_version:
      - 2
      - 0
    .max_flat_workgroup_size: 512
    .name:           _ZN9rocsparseL23sddmm_csx_sample_kernelILi512ELi2EL20rocsparse_direction_1E21rocsparse_complex_numIfEiiS3_EEvT4_S4_T3_PKT5_S4_PS6_PKS5_PKS4_21rocsparse_index_base_
    .private_segment_fixed_size: 0
    .sgpr_count:     16
    .sgpr_spill_count: 0
    .symbol:         _ZN9rocsparseL23sddmm_csx_sample_kernelILi512ELi2EL20rocsparse_direction_1E21rocsparse_complex_numIfEiiS3_EEvT4_S4_T3_PKT5_S4_PS6_PKS5_PKS4_21rocsparse_index_base_.kd
    .uniform_work_group_size: 1
    .uses_dynamic_stack: false
    .vgpr_count:     10
    .vgpr_spill_count: 0
    .wavefront_size: 64
  - .agpr_count:     0
    .args:
      - .offset:         0
        .size:           4
        .value_kind:     by_value
      - .offset:         4
        .size:           4
        .value_kind:     by_value
      - .offset:         8
        .size:           4
        .value_kind:     by_value
      - .actual_access:  read_only
        .address_space:  global
        .offset:         16
        .size:           8
        .value_kind:     global_buffer
      - .offset:         24
        .size:           4
        .value_kind:     by_value
      - .actual_access:  write_only
        .address_space:  global
        .offset:         32
        .size:           8
        .value_kind:     global_buffer
      - .actual_access:  read_only
        .address_space:  global
        .offset:         40
        .size:           8
        .value_kind:     global_buffer
      - .actual_access:  read_only
        .address_space:  global
        .offset:         48
        .size:           8
        .value_kind:     global_buffer
      - .offset:         56
        .size:           4
        .value_kind:     by_value
    .group_segment_fixed_size: 0
    .kernarg_segment_align: 8
    .kernarg_segment_size: 60
    .language:       OpenCL C
    .language_version:
      - 2
      - 0
    .max_flat_workgroup_size: 512
    .name:           _ZN9rocsparseL23sddmm_csx_sample_kernelILi512ELi1EL20rocsparse_direction_1E21rocsparse_complex_numIfEiiS3_EEvT4_S4_T3_PKT5_S4_PS6_PKS5_PKS4_21rocsparse_index_base_
    .private_segment_fixed_size: 0
    .sgpr_count:     16
    .sgpr_spill_count: 0
    .symbol:         _ZN9rocsparseL23sddmm_csx_sample_kernelILi512ELi1EL20rocsparse_direction_1E21rocsparse_complex_numIfEiiS3_EEvT4_S4_T3_PKT5_S4_PS6_PKS5_PKS4_21rocsparse_index_base_.kd
    .uniform_work_group_size: 1
    .uses_dynamic_stack: false
    .vgpr_count:     10
    .vgpr_spill_count: 0
    .wavefront_size: 64
  - .agpr_count:     0
    .args:
      - .offset:         0
        .size:           4
        .value_kind:     by_value
      - .offset:         4
        .size:           4
        .value_kind:     by_value
      - .offset:         8
        .size:           4
        .value_kind:     by_value
      - .offset:         12
        .size:           4
        .value_kind:     by_value
      - .offset:         16
        .size:           4
        .value_kind:     by_value
      - .offset:         20
        .size:           4
        .value_kind:     by_value
      - .offset:         24
        .size:           4
        .value_kind:     by_value
      - .offset:         28
        .size:           4
        .value_kind:     by_value
      - .offset:         32
        .size:           8
        .value_kind:     by_value
      - .actual_access:  read_only
        .address_space:  global
        .offset:         40
        .size:           8
        .value_kind:     global_buffer
      - .offset:         48
        .size:           8
        .value_kind:     by_value
      - .actual_access:  read_only
        .address_space:  global
        .offset:         56
        .size:           8
        .value_kind:     global_buffer
      - .offset:         64
        .size:           8
        .value_kind:     by_value
      - .offset:         72
        .size:           8
        .value_kind:     by_value
      - .address_space:  global
        .offset:         80
        .size:           8
        .value_kind:     global_buffer
      - .actual_access:  read_only
        .address_space:  global
        .offset:         88
        .size:           8
        .value_kind:     global_buffer
      - .actual_access:  read_only
        .address_space:  global
        .offset:         96
        .size:           8
        .value_kind:     global_buffer
      - .offset:         104
        .size:           4
        .value_kind:     by_value
      - .offset:         108
        .size:           1
        .value_kind:     by_value
    .group_segment_fixed_size: 4096
    .kernarg_segment_align: 8
    .kernarg_segment_size: 112
    .language:       OpenCL C
    .language_version:
      - 2
      - 0
    .max_flat_workgroup_size: 512
    .name:           _ZN9rocsparseL16sddmm_csx_kernelILi512ELi8EL20rocsparse_direction_0E21rocsparse_complex_numIfEiiS3_S3_S3_EEv20rocsparse_operation_S4_16rocsparse_order_S5_T4_S6_S6_T3_NS_24const_host_device_scalarIT2_EEPKT5_lPKT6_lSA_PT7_PKS7_PKS6_21rocsparse_index_base_b
    .private_segment_fixed_size: 0
    .sgpr_count:     38
    .sgpr_spill_count: 0
    .symbol:         _ZN9rocsparseL16sddmm_csx_kernelILi512ELi8EL20rocsparse_direction_0E21rocsparse_complex_numIfEiiS3_S3_S3_EEv20rocsparse_operation_S4_16rocsparse_order_S5_T4_S6_S6_T3_NS_24const_host_device_scalarIT2_EEPKT5_lPKT6_lSA_PT7_PKS7_PKS6_21rocsparse_index_base_b.kd
    .uniform_work_group_size: 1
    .uses_dynamic_stack: false
    .vgpr_count:     32
    .vgpr_spill_count: 0
    .wavefront_size: 64
  - .agpr_count:     0
    .args:
      - .offset:         0
        .size:           4
        .value_kind:     by_value
      - .offset:         4
        .size:           4
        .value_kind:     by_value
      - .offset:         8
        .size:           4
        .value_kind:     by_value
      - .offset:         12
        .size:           4
        .value_kind:     by_value
      - .offset:         16
        .size:           4
        .value_kind:     by_value
      - .offset:         20
        .size:           4
        .value_kind:     by_value
      - .offset:         24
        .size:           4
        .value_kind:     by_value
      - .offset:         28
        .size:           4
        .value_kind:     by_value
      - .offset:         32
        .size:           8
        .value_kind:     by_value
      - .actual_access:  read_only
        .address_space:  global
        .offset:         40
        .size:           8
        .value_kind:     global_buffer
      - .offset:         48
        .size:           8
        .value_kind:     by_value
      - .actual_access:  read_only
        .address_space:  global
        .offset:         56
        .size:           8
        .value_kind:     global_buffer
      - .offset:         64
        .size:           8
        .value_kind:     by_value
      - .offset:         72
        .size:           8
        .value_kind:     by_value
      - .address_space:  global
        .offset:         80
        .size:           8
        .value_kind:     global_buffer
      - .actual_access:  read_only
        .address_space:  global
        .offset:         88
        .size:           8
        .value_kind:     global_buffer
      - .actual_access:  read_only
        .address_space:  global
        .offset:         96
        .size:           8
        .value_kind:     global_buffer
      - .offset:         104
        .size:           4
        .value_kind:     by_value
      - .offset:         108
        .size:           1
        .value_kind:     by_value
    .group_segment_fixed_size: 4096
    .kernarg_segment_align: 8
    .kernarg_segment_size: 112
    .language:       OpenCL C
    .language_version:
      - 2
      - 0
    .max_flat_workgroup_size: 512
    .name:           _ZN9rocsparseL16sddmm_csx_kernelILi512ELi4EL20rocsparse_direction_0E21rocsparse_complex_numIfEiiS3_S3_S3_EEv20rocsparse_operation_S4_16rocsparse_order_S5_T4_S6_S6_T3_NS_24const_host_device_scalarIT2_EEPKT5_lPKT6_lSA_PT7_PKS7_PKS6_21rocsparse_index_base_b
    .private_segment_fixed_size: 0
    .sgpr_count:     36
    .sgpr_spill_count: 0
    .symbol:         _ZN9rocsparseL16sddmm_csx_kernelILi512ELi4EL20rocsparse_direction_0E21rocsparse_complex_numIfEiiS3_S3_S3_EEv20rocsparse_operation_S4_16rocsparse_order_S5_T4_S6_S6_T3_NS_24const_host_device_scalarIT2_EEPKT5_lPKT6_lSA_PT7_PKS7_PKS6_21rocsparse_index_base_b.kd
    .uniform_work_group_size: 1
    .uses_dynamic_stack: false
    .vgpr_count:     32
    .vgpr_spill_count: 0
    .wavefront_size: 64
  - .agpr_count:     0
    .args:
      - .offset:         0
        .size:           4
        .value_kind:     by_value
      - .offset:         4
        .size:           4
        .value_kind:     by_value
      - .offset:         8
        .size:           4
        .value_kind:     by_value
      - .offset:         12
        .size:           4
        .value_kind:     by_value
      - .offset:         16
        .size:           4
        .value_kind:     by_value
      - .offset:         20
        .size:           4
        .value_kind:     by_value
      - .offset:         24
        .size:           4
        .value_kind:     by_value
      - .offset:         28
        .size:           4
        .value_kind:     by_value
      - .offset:         32
        .size:           8
        .value_kind:     by_value
      - .actual_access:  read_only
        .address_space:  global
        .offset:         40
        .size:           8
        .value_kind:     global_buffer
      - .offset:         48
        .size:           8
        .value_kind:     by_value
      - .actual_access:  read_only
        .address_space:  global
        .offset:         56
        .size:           8
        .value_kind:     global_buffer
      - .offset:         64
        .size:           8
        .value_kind:     by_value
      - .offset:         72
        .size:           8
        .value_kind:     by_value
      - .address_space:  global
        .offset:         80
        .size:           8
        .value_kind:     global_buffer
      - .actual_access:  read_only
        .address_space:  global
        .offset:         88
        .size:           8
        .value_kind:     global_buffer
      - .actual_access:  read_only
        .address_space:  global
        .offset:         96
        .size:           8
        .value_kind:     global_buffer
      - .offset:         104
        .size:           4
        .value_kind:     by_value
      - .offset:         108
        .size:           1
        .value_kind:     by_value
    .group_segment_fixed_size: 4096
    .kernarg_segment_align: 8
    .kernarg_segment_size: 112
    .language:       OpenCL C
    .language_version:
      - 2
      - 0
    .max_flat_workgroup_size: 512
    .name:           _ZN9rocsparseL16sddmm_csx_kernelILi512ELi2EL20rocsparse_direction_0E21rocsparse_complex_numIfEiiS3_S3_S3_EEv20rocsparse_operation_S4_16rocsparse_order_S5_T4_S6_S6_T3_NS_24const_host_device_scalarIT2_EEPKT5_lPKT6_lSA_PT7_PKS7_PKS6_21rocsparse_index_base_b
    .private_segment_fixed_size: 0
    .sgpr_count:     34
    .sgpr_spill_count: 0
    .symbol:         _ZN9rocsparseL16sddmm_csx_kernelILi512ELi2EL20rocsparse_direction_0E21rocsparse_complex_numIfEiiS3_S3_S3_EEv20rocsparse_operation_S4_16rocsparse_order_S5_T4_S6_S6_T3_NS_24const_host_device_scalarIT2_EEPKT5_lPKT6_lSA_PT7_PKS7_PKS6_21rocsparse_index_base_b.kd
    .uniform_work_group_size: 1
    .uses_dynamic_stack: false
    .vgpr_count:     32
    .vgpr_spill_count: 0
    .wavefront_size: 64
  - .agpr_count:     0
    .args:
      - .offset:         0
        .size:           4
        .value_kind:     by_value
      - .offset:         4
        .size:           4
        .value_kind:     by_value
      - .offset:         8
        .size:           4
        .value_kind:     by_value
      - .offset:         12
        .size:           4
        .value_kind:     by_value
      - .offset:         16
        .size:           4
        .value_kind:     by_value
      - .offset:         20
        .size:           4
        .value_kind:     by_value
      - .offset:         24
        .size:           4
        .value_kind:     by_value
      - .offset:         28
        .size:           4
        .value_kind:     by_value
      - .offset:         32
        .size:           8
        .value_kind:     by_value
      - .actual_access:  read_only
        .address_space:  global
        .offset:         40
        .size:           8
        .value_kind:     global_buffer
      - .offset:         48
        .size:           8
        .value_kind:     by_value
      - .actual_access:  read_only
        .address_space:  global
        .offset:         56
        .size:           8
        .value_kind:     global_buffer
      - .offset:         64
        .size:           8
        .value_kind:     by_value
      - .offset:         72
        .size:           8
        .value_kind:     by_value
      - .address_space:  global
        .offset:         80
        .size:           8
        .value_kind:     global_buffer
      - .actual_access:  read_only
        .address_space:  global
        .offset:         88
        .size:           8
        .value_kind:     global_buffer
      - .actual_access:  read_only
        .address_space:  global
        .offset:         96
        .size:           8
        .value_kind:     global_buffer
      - .offset:         104
        .size:           4
        .value_kind:     by_value
      - .offset:         108
        .size:           1
        .value_kind:     by_value
    .group_segment_fixed_size: 4096
    .kernarg_segment_align: 8
    .kernarg_segment_size: 112
    .language:       OpenCL C
    .language_version:
      - 2
      - 0
    .max_flat_workgroup_size: 512
    .name:           _ZN9rocsparseL16sddmm_csx_kernelILi512ELi1EL20rocsparse_direction_0E21rocsparse_complex_numIfEiiS3_S3_S3_EEv20rocsparse_operation_S4_16rocsparse_order_S5_T4_S6_S6_T3_NS_24const_host_device_scalarIT2_EEPKT5_lPKT6_lSA_PT7_PKS7_PKS6_21rocsparse_index_base_b
    .private_segment_fixed_size: 0
    .sgpr_count:     32
    .sgpr_spill_count: 0
    .symbol:         _ZN9rocsparseL16sddmm_csx_kernelILi512ELi1EL20rocsparse_direction_0E21rocsparse_complex_numIfEiiS3_S3_S3_EEv20rocsparse_operation_S4_16rocsparse_order_S5_T4_S6_S6_T3_NS_24const_host_device_scalarIT2_EEPKT5_lPKT6_lSA_PT7_PKS7_PKS6_21rocsparse_index_base_b.kd
    .uniform_work_group_size: 1
    .uses_dynamic_stack: false
    .vgpr_count:     26
    .vgpr_spill_count: 0
    .wavefront_size: 64
  - .agpr_count:     0
    .args:
      - .offset:         0
        .size:           4
        .value_kind:     by_value
      - .offset:         4
        .size:           4
        .value_kind:     by_value
      - .offset:         8
        .size:           4
        .value_kind:     by_value
      - .actual_access:  read_only
        .address_space:  global
        .offset:         16
        .size:           8
        .value_kind:     global_buffer
      - .actual_access:  read_only
        .address_space:  global
        .offset:         24
        .size:           8
        .value_kind:     global_buffer
      - .actual_access:  read_only
        .address_space:  global
        .offset:         32
        .size:           8
        .value_kind:     global_buffer
      - .actual_access:  write_only
        .address_space:  global
        .offset:         40
        .size:           8
        .value_kind:     global_buffer
      - .offset:         48
        .size:           8
        .value_kind:     by_value
      - .offset:         56
        .size:           4
        .value_kind:     by_value
    .group_segment_fixed_size: 0
    .kernarg_segment_align: 8
    .kernarg_segment_size: 60
    .language:       OpenCL C
    .language_version:
      - 2
      - 0
    .max_flat_workgroup_size: 512
    .name:           _ZN9rocsparseL16csr2dense_kernelILi16ELi32Eii21rocsparse_complex_numIdEEEviT2_S3_PKT3_PKT1_PKS3_PS4_l16rocsparse_order_
    .private_segment_fixed_size: 0
    .sgpr_count:     20
    .sgpr_spill_count: 0
    .symbol:         _ZN9rocsparseL16csr2dense_kernelILi16ELi32Eii21rocsparse_complex_numIdEEEviT2_S3_PKT3_PKT1_PKS3_PS4_l16rocsparse_order_.kd
    .uniform_work_group_size: 1
    .uses_dynamic_stack: false
    .vgpr_count:     18
    .vgpr_spill_count: 0
    .wavefront_size: 64
  - .agpr_count:     0
    .args:
      - .offset:         0
        .size:           4
        .value_kind:     by_value
      - .offset:         4
        .size:           4
        .value_kind:     by_value
      - .offset:         8
        .size:           4
        .value_kind:     by_value
      - .actual_access:  read_only
        .address_space:  global
        .offset:         16
        .size:           8
        .value_kind:     global_buffer
      - .actual_access:  read_only
        .address_space:  global
        .offset:         24
        .size:           8
        .value_kind:     global_buffer
      - .actual_access:  read_only
        .address_space:  global
        .offset:         32
        .size:           8
        .value_kind:     global_buffer
      - .actual_access:  write_only
        .address_space:  global
        .offset:         40
        .size:           8
        .value_kind:     global_buffer
      - .offset:         48
        .size:           8
        .value_kind:     by_value
      - .offset:         56
        .size:           4
        .value_kind:     by_value
    .group_segment_fixed_size: 0
    .kernarg_segment_align: 8
    .kernarg_segment_size: 60
    .language:       OpenCL C
    .language_version:
      - 2
      - 0
    .max_flat_workgroup_size: 1024
    .name:           _ZN9rocsparseL16csr2dense_kernelILi16ELi64Eii21rocsparse_complex_numIdEEEviT2_S3_PKT3_PKT1_PKS3_PS4_l16rocsparse_order_
    .private_segment_fixed_size: 0
    .sgpr_count:     20
    .sgpr_spill_count: 0
    .symbol:         _ZN9rocsparseL16csr2dense_kernelILi16ELi64Eii21rocsparse_complex_numIdEEEviT2_S3_PKT3_PKT1_PKS3_PS4_l16rocsparse_order_.kd
    .uniform_work_group_size: 1
    .uses_dynamic_stack: false
    .vgpr_count:     18
    .vgpr_spill_count: 0
    .wavefront_size: 64
  - .agpr_count:     0
    .args:
      - .offset:         0
        .size:           4
        .value_kind:     by_value
      - .offset:         4
        .size:           4
        .value_kind:     by_value
      - .offset:         8
        .size:           4
        .value_kind:     by_value
      - .actual_access:  read_only
        .address_space:  global
        .offset:         16
        .size:           8
        .value_kind:     global_buffer
      - .actual_access:  read_only
        .address_space:  global
        .offset:         24
        .size:           8
        .value_kind:     global_buffer
      - .actual_access:  read_only
        .address_space:  global
        .offset:         32
        .size:           8
        .value_kind:     global_buffer
      - .actual_access:  write_only
        .address_space:  global
        .offset:         40
        .size:           8
        .value_kind:     global_buffer
      - .offset:         48
        .size:           8
        .value_kind:     by_value
      - .offset:         56
        .size:           4
        .value_kind:     by_value
    .group_segment_fixed_size: 0
    .kernarg_segment_align: 8
    .kernarg_segment_size: 60
    .language:       OpenCL C
    .language_version:
      - 2
      - 0
    .max_flat_workgroup_size: 512
    .name:           _ZN9rocsparseL16csc2dense_kernelILi16ELi32Eii21rocsparse_complex_numIdEEEviT2_S3_PKT3_PKT1_PKS3_PS4_l16rocsparse_order_
    .private_segment_fixed_size: 0
    .sgpr_count:     19
    .sgpr_spill_count: 0
    .symbol:         _ZN9rocsparseL16csc2dense_kernelILi16ELi32Eii21rocsparse_complex_numIdEEEviT2_S3_PKT3_PKT1_PKS3_PS4_l16rocsparse_order_.kd
    .uniform_work_group_size: 1
    .uses_dynamic_stack: false
    .vgpr_count:     18
    .vgpr_spill_count: 0
    .wavefront_size: 64
  - .agpr_count:     0
    .args:
      - .offset:         0
        .size:           4
        .value_kind:     by_value
      - .offset:         4
        .size:           4
        .value_kind:     by_value
      - .offset:         8
        .size:           4
        .value_kind:     by_value
      - .actual_access:  read_only
        .address_space:  global
        .offset:         16
        .size:           8
        .value_kind:     global_buffer
      - .actual_access:  read_only
        .address_space:  global
        .offset:         24
        .size:           8
        .value_kind:     global_buffer
      - .actual_access:  read_only
        .address_space:  global
        .offset:         32
        .size:           8
        .value_kind:     global_buffer
      - .actual_access:  write_only
        .address_space:  global
        .offset:         40
        .size:           8
        .value_kind:     global_buffer
      - .offset:         48
        .size:           8
        .value_kind:     by_value
      - .offset:         56
        .size:           4
        .value_kind:     by_value
    .group_segment_fixed_size: 0
    .kernarg_segment_align: 8
    .kernarg_segment_size: 60
    .language:       OpenCL C
    .language_version:
      - 2
      - 0
    .max_flat_workgroup_size: 1024
    .name:           _ZN9rocsparseL16csc2dense_kernelILi16ELi64Eii21rocsparse_complex_numIdEEEviT2_S3_PKT3_PKT1_PKS3_PS4_l16rocsparse_order_
    .private_segment_fixed_size: 0
    .sgpr_count:     19
    .sgpr_spill_count: 0
    .symbol:         _ZN9rocsparseL16csc2dense_kernelILi16ELi64Eii21rocsparse_complex_numIdEEEviT2_S3_PKT3_PKT1_PKS3_PS4_l16rocsparse_order_.kd
    .uniform_work_group_size: 1
    .uses_dynamic_stack: false
    .vgpr_count:     18
    .vgpr_spill_count: 0
    .wavefront_size: 64
  - .agpr_count:     0
    .args:
      - .offset:         0
        .size:           4
        .value_kind:     by_value
      - .offset:         4
        .size:           4
        .value_kind:     by_value
      - .offset:         8
        .size:           4
        .value_kind:     by_value
      - .actual_access:  read_only
        .address_space:  global
        .offset:         16
        .size:           8
        .value_kind:     global_buffer
      - .offset:         24
        .size:           4
        .value_kind:     by_value
      - .actual_access:  write_only
        .address_space:  global
        .offset:         32
        .size:           8
        .value_kind:     global_buffer
      - .actual_access:  read_only
        .address_space:  global
        .offset:         40
        .size:           8
        .value_kind:     global_buffer
      - .actual_access:  read_only
        .address_space:  global
        .offset:         48
        .size:           8
        .value_kind:     global_buffer
      - .offset:         56
        .size:           4
        .value_kind:     by_value
    .group_segment_fixed_size: 0
    .kernarg_segment_align: 8
    .kernarg_segment_size: 60
    .language:       OpenCL C
    .language_version:
      - 2
      - 0
    .max_flat_workgroup_size: 512
    .name:           _ZN9rocsparseL23sddmm_csx_sample_kernelILi512ELi64EL20rocsparse_direction_1E21rocsparse_complex_numIdEiiS3_EEvT4_S4_T3_PKT5_S4_PS6_PKS5_PKS4_21rocsparse_index_base_
    .private_segment_fixed_size: 0
    .sgpr_count:     16
    .sgpr_spill_count: 0
    .symbol:         _ZN9rocsparseL23sddmm_csx_sample_kernelILi512ELi64EL20rocsparse_direction_1E21rocsparse_complex_numIdEiiS3_EEvT4_S4_T3_PKT5_S4_PS6_PKS5_PKS4_21rocsparse_index_base_.kd
    .uniform_work_group_size: 1
    .uses_dynamic_stack: false
    .vgpr_count:     12
    .vgpr_spill_count: 0
    .wavefront_size: 64
  - .agpr_count:     0
    .args:
      - .offset:         0
        .size:           4
        .value_kind:     by_value
      - .offset:         4
        .size:           4
        .value_kind:     by_value
      - .offset:         8
        .size:           4
        .value_kind:     by_value
      - .actual_access:  read_only
        .address_space:  global
        .offset:         16
        .size:           8
        .value_kind:     global_buffer
      - .offset:         24
        .size:           4
        .value_kind:     by_value
      - .actual_access:  write_only
        .address_space:  global
        .offset:         32
        .size:           8
        .value_kind:     global_buffer
      - .actual_access:  read_only
        .address_space:  global
        .offset:         40
        .size:           8
        .value_kind:     global_buffer
      - .actual_access:  read_only
        .address_space:  global
        .offset:         48
        .size:           8
        .value_kind:     global_buffer
      - .offset:         56
        .size:           4
        .value_kind:     by_value
    .group_segment_fixed_size: 0
    .kernarg_segment_align: 8
    .kernarg_segment_size: 60
    .language:       OpenCL C
    .language_version:
      - 2
      - 0
    .max_flat_workgroup_size: 512
    .name:           _ZN9rocsparseL23sddmm_csx_sample_kernelILi512ELi32EL20rocsparse_direction_1E21rocsparse_complex_numIdEiiS3_EEvT4_S4_T3_PKT5_S4_PS6_PKS5_PKS4_21rocsparse_index_base_
    .private_segment_fixed_size: 0
    .sgpr_count:     16
    .sgpr_spill_count: 0
    .symbol:         _ZN9rocsparseL23sddmm_csx_sample_kernelILi512ELi32EL20rocsparse_direction_1E21rocsparse_complex_numIdEiiS3_EEvT4_S4_T3_PKT5_S4_PS6_PKS5_PKS4_21rocsparse_index_base_.kd
    .uniform_work_group_size: 1
    .uses_dynamic_stack: false
    .vgpr_count:     12
    .vgpr_spill_count: 0
    .wavefront_size: 64
  - .agpr_count:     0
    .args:
      - .offset:         0
        .size:           4
        .value_kind:     by_value
      - .offset:         4
        .size:           4
        .value_kind:     by_value
      - .offset:         8
        .size:           4
        .value_kind:     by_value
      - .actual_access:  read_only
        .address_space:  global
        .offset:         16
        .size:           8
        .value_kind:     global_buffer
      - .offset:         24
        .size:           4
        .value_kind:     by_value
      - .actual_access:  write_only
        .address_space:  global
        .offset:         32
        .size:           8
        .value_kind:     global_buffer
      - .actual_access:  read_only
        .address_space:  global
        .offset:         40
        .size:           8
        .value_kind:     global_buffer
      - .actual_access:  read_only
        .address_space:  global
        .offset:         48
        .size:           8
        .value_kind:     global_buffer
      - .offset:         56
        .size:           4
        .value_kind:     by_value
    .group_segment_fixed_size: 0
    .kernarg_segment_align: 8
    .kernarg_segment_size: 60
    .language:       OpenCL C
    .language_version:
      - 2
      - 0
    .max_flat_workgroup_size: 512
    .name:           _ZN9rocsparseL23sddmm_csx_sample_kernelILi512ELi16EL20rocsparse_direction_1E21rocsparse_complex_numIdEiiS3_EEvT4_S4_T3_PKT5_S4_PS6_PKS5_PKS4_21rocsparse_index_base_
    .private_segment_fixed_size: 0
    .sgpr_count:     16
    .sgpr_spill_count: 0
    .symbol:         _ZN9rocsparseL23sddmm_csx_sample_kernelILi512ELi16EL20rocsparse_direction_1E21rocsparse_complex_numIdEiiS3_EEvT4_S4_T3_PKT5_S4_PS6_PKS5_PKS4_21rocsparse_index_base_.kd
    .uniform_work_group_size: 1
    .uses_dynamic_stack: false
    .vgpr_count:     12
    .vgpr_spill_count: 0
    .wavefront_size: 64
  - .agpr_count:     0
    .args:
      - .offset:         0
        .size:           4
        .value_kind:     by_value
      - .offset:         4
        .size:           4
        .value_kind:     by_value
      - .offset:         8
        .size:           4
        .value_kind:     by_value
      - .actual_access:  read_only
        .address_space:  global
        .offset:         16
        .size:           8
        .value_kind:     global_buffer
      - .offset:         24
        .size:           4
        .value_kind:     by_value
      - .actual_access:  write_only
        .address_space:  global
        .offset:         32
        .size:           8
        .value_kind:     global_buffer
      - .actual_access:  read_only
        .address_space:  global
        .offset:         40
        .size:           8
        .value_kind:     global_buffer
      - .actual_access:  read_only
        .address_space:  global
        .offset:         48
        .size:           8
        .value_kind:     global_buffer
      - .offset:         56
        .size:           4
        .value_kind:     by_value
    .group_segment_fixed_size: 0
    .kernarg_segment_align: 8
    .kernarg_segment_size: 60
    .language:       OpenCL C
    .language_version:
      - 2
      - 0
    .max_flat_workgroup_size: 512
    .name:           _ZN9rocsparseL23sddmm_csx_sample_kernelILi512ELi8EL20rocsparse_direction_1E21rocsparse_complex_numIdEiiS3_EEvT4_S4_T3_PKT5_S4_PS6_PKS5_PKS4_21rocsparse_index_base_
    .private_segment_fixed_size: 0
    .sgpr_count:     16
    .sgpr_spill_count: 0
    .symbol:         _ZN9rocsparseL23sddmm_csx_sample_kernelILi512ELi8EL20rocsparse_direction_1E21rocsparse_complex_numIdEiiS3_EEvT4_S4_T3_PKT5_S4_PS6_PKS5_PKS4_21rocsparse_index_base_.kd
    .uniform_work_group_size: 1
    .uses_dynamic_stack: false
    .vgpr_count:     12
    .vgpr_spill_count: 0
    .wavefront_size: 64
  - .agpr_count:     0
    .args:
      - .offset:         0
        .size:           4
        .value_kind:     by_value
      - .offset:         4
        .size:           4
        .value_kind:     by_value
      - .offset:         8
        .size:           4
        .value_kind:     by_value
      - .actual_access:  read_only
        .address_space:  global
        .offset:         16
        .size:           8
        .value_kind:     global_buffer
      - .offset:         24
        .size:           4
        .value_kind:     by_value
      - .actual_access:  write_only
        .address_space:  global
        .offset:         32
        .size:           8
        .value_kind:     global_buffer
      - .actual_access:  read_only
        .address_space:  global
        .offset:         40
        .size:           8
        .value_kind:     global_buffer
      - .actual_access:  read_only
        .address_space:  global
        .offset:         48
        .size:           8
        .value_kind:     global_buffer
      - .offset:         56
        .size:           4
        .value_kind:     by_value
    .group_segment_fixed_size: 0
    .kernarg_segment_align: 8
    .kernarg_segment_size: 60
    .language:       OpenCL C
    .language_version:
      - 2
      - 0
    .max_flat_workgroup_size: 512
    .name:           _ZN9rocsparseL23sddmm_csx_sample_kernelILi512ELi4EL20rocsparse_direction_1E21rocsparse_complex_numIdEiiS3_EEvT4_S4_T3_PKT5_S4_PS6_PKS5_PKS4_21rocsparse_index_base_
    .private_segment_fixed_size: 0
    .sgpr_count:     16
    .sgpr_spill_count: 0
    .symbol:         _ZN9rocsparseL23sddmm_csx_sample_kernelILi512ELi4EL20rocsparse_direction_1E21rocsparse_complex_numIdEiiS3_EEvT4_S4_T3_PKT5_S4_PS6_PKS5_PKS4_21rocsparse_index_base_.kd
    .uniform_work_group_size: 1
    .uses_dynamic_stack: false
    .vgpr_count:     12
    .vgpr_spill_count: 0
    .wavefront_size: 64
  - .agpr_count:     0
    .args:
      - .offset:         0
        .size:           4
        .value_kind:     by_value
      - .offset:         4
        .size:           4
        .value_kind:     by_value
      - .offset:         8
        .size:           4
        .value_kind:     by_value
      - .actual_access:  read_only
        .address_space:  global
        .offset:         16
        .size:           8
        .value_kind:     global_buffer
      - .offset:         24
        .size:           4
        .value_kind:     by_value
      - .actual_access:  write_only
        .address_space:  global
        .offset:         32
        .size:           8
        .value_kind:     global_buffer
      - .actual_access:  read_only
        .address_space:  global
        .offset:         40
        .size:           8
        .value_kind:     global_buffer
      - .actual_access:  read_only
        .address_space:  global
        .offset:         48
        .size:           8
        .value_kind:     global_buffer
      - .offset:         56
        .size:           4
        .value_kind:     by_value
    .group_segment_fixed_size: 0
    .kernarg_segment_align: 8
    .kernarg_segment_size: 60
    .language:       OpenCL C
    .language_version:
      - 2
      - 0
    .max_flat_workgroup_size: 512
    .name:           _ZN9rocsparseL23sddmm_csx_sample_kernelILi512ELi2EL20rocsparse_direction_1E21rocsparse_complex_numIdEiiS3_EEvT4_S4_T3_PKT5_S4_PS6_PKS5_PKS4_21rocsparse_index_base_
    .private_segment_fixed_size: 0
    .sgpr_count:     16
    .sgpr_spill_count: 0
    .symbol:         _ZN9rocsparseL23sddmm_csx_sample_kernelILi512ELi2EL20rocsparse_direction_1E21rocsparse_complex_numIdEiiS3_EEvT4_S4_T3_PKT5_S4_PS6_PKS5_PKS4_21rocsparse_index_base_.kd
    .uniform_work_group_size: 1
    .uses_dynamic_stack: false
    .vgpr_count:     12
    .vgpr_spill_count: 0
    .wavefront_size: 64
  - .agpr_count:     0
    .args:
      - .offset:         0
        .size:           4
        .value_kind:     by_value
      - .offset:         4
        .size:           4
        .value_kind:     by_value
      - .offset:         8
        .size:           4
        .value_kind:     by_value
      - .actual_access:  read_only
        .address_space:  global
        .offset:         16
        .size:           8
        .value_kind:     global_buffer
      - .offset:         24
        .size:           4
        .value_kind:     by_value
      - .actual_access:  write_only
        .address_space:  global
        .offset:         32
        .size:           8
        .value_kind:     global_buffer
      - .actual_access:  read_only
        .address_space:  global
        .offset:         40
        .size:           8
        .value_kind:     global_buffer
      - .actual_access:  read_only
        .address_space:  global
        .offset:         48
        .size:           8
        .value_kind:     global_buffer
      - .offset:         56
        .size:           4
        .value_kind:     by_value
    .group_segment_fixed_size: 0
    .kernarg_segment_align: 8
    .kernarg_segment_size: 60
    .language:       OpenCL C
    .language_version:
      - 2
      - 0
    .max_flat_workgroup_size: 512
    .name:           _ZN9rocsparseL23sddmm_csx_sample_kernelILi512ELi1EL20rocsparse_direction_1E21rocsparse_complex_numIdEiiS3_EEvT4_S4_T3_PKT5_S4_PS6_PKS5_PKS4_21rocsparse_index_base_
    .private_segment_fixed_size: 0
    .sgpr_count:     16
    .sgpr_spill_count: 0
    .symbol:         _ZN9rocsparseL23sddmm_csx_sample_kernelILi512ELi1EL20rocsparse_direction_1E21rocsparse_complex_numIdEiiS3_EEvT4_S4_T3_PKT5_S4_PS6_PKS5_PKS4_21rocsparse_index_base_.kd
    .uniform_work_group_size: 1
    .uses_dynamic_stack: false
    .vgpr_count:     12
    .vgpr_spill_count: 0
    .wavefront_size: 64
  - .agpr_count:     0
    .args:
      - .offset:         0
        .size:           4
        .value_kind:     by_value
      - .offset:         4
        .size:           4
        .value_kind:     by_value
      - .offset:         8
        .size:           4
        .value_kind:     by_value
      - .offset:         12
        .size:           4
        .value_kind:     by_value
      - .offset:         16
        .size:           4
        .value_kind:     by_value
      - .offset:         20
        .size:           4
        .value_kind:     by_value
      - .offset:         24
        .size:           4
        .value_kind:     by_value
      - .offset:         28
        .size:           4
        .value_kind:     by_value
      - .offset:         32
        .size:           16
        .value_kind:     by_value
      - .actual_access:  read_only
        .address_space:  global
        .offset:         48
        .size:           8
        .value_kind:     global_buffer
      - .offset:         56
        .size:           8
        .value_kind:     by_value
      - .actual_access:  read_only
        .address_space:  global
        .offset:         64
        .size:           8
        .value_kind:     global_buffer
      - .offset:         72
        .size:           8
        .value_kind:     by_value
      - .offset:         80
        .size:           16
        .value_kind:     by_value
      - .address_space:  global
        .offset:         96
        .size:           8
        .value_kind:     global_buffer
      - .actual_access:  read_only
        .address_space:  global
        .offset:         104
        .size:           8
        .value_kind:     global_buffer
      - .actual_access:  read_only
        .address_space:  global
        .offset:         112
        .size:           8
        .value_kind:     global_buffer
      - .offset:         120
        .size:           4
        .value_kind:     by_value
      - .offset:         124
        .size:           1
        .value_kind:     by_value
    .group_segment_fixed_size: 8192
    .kernarg_segment_align: 8
    .kernarg_segment_size: 128
    .language:       OpenCL C
    .language_version:
      - 2
      - 0
    .max_flat_workgroup_size: 512
    .name:           _ZN9rocsparseL16sddmm_csx_kernelILi512ELi8EL20rocsparse_direction_0E21rocsparse_complex_numIdEiiS3_S3_S3_EEv20rocsparse_operation_S4_16rocsparse_order_S5_T4_S6_S6_T3_NS_24const_host_device_scalarIT2_EEPKT5_lPKT6_lSA_PT7_PKS7_PKS6_21rocsparse_index_base_b
    .private_segment_fixed_size: 0
    .sgpr_count:     38
    .sgpr_spill_count: 0
    .symbol:         _ZN9rocsparseL16sddmm_csx_kernelILi512ELi8EL20rocsparse_direction_0E21rocsparse_complex_numIdEiiS3_S3_S3_EEv20rocsparse_operation_S4_16rocsparse_order_S5_T4_S6_S6_T3_NS_24const_host_device_scalarIT2_EEPKT5_lPKT6_lSA_PT7_PKS7_PKS6_21rocsparse_index_base_b.kd
    .uniform_work_group_size: 1
    .uses_dynamic_stack: false
    .vgpr_count:     38
    .vgpr_spill_count: 0
    .wavefront_size: 64
  - .agpr_count:     0
    .args:
      - .offset:         0
        .size:           4
        .value_kind:     by_value
      - .offset:         4
        .size:           4
        .value_kind:     by_value
      - .offset:         8
        .size:           4
        .value_kind:     by_value
      - .offset:         12
        .size:           4
        .value_kind:     by_value
      - .offset:         16
        .size:           4
        .value_kind:     by_value
      - .offset:         20
        .size:           4
        .value_kind:     by_value
      - .offset:         24
        .size:           4
        .value_kind:     by_value
      - .offset:         28
        .size:           4
        .value_kind:     by_value
      - .offset:         32
        .size:           16
        .value_kind:     by_value
      - .actual_access:  read_only
        .address_space:  global
        .offset:         48
        .size:           8
        .value_kind:     global_buffer
      - .offset:         56
        .size:           8
        .value_kind:     by_value
      - .actual_access:  read_only
        .address_space:  global
        .offset:         64
        .size:           8
        .value_kind:     global_buffer
      - .offset:         72
        .size:           8
        .value_kind:     by_value
      - .offset:         80
        .size:           16
        .value_kind:     by_value
      - .address_space:  global
        .offset:         96
        .size:           8
        .value_kind:     global_buffer
      - .actual_access:  read_only
        .address_space:  global
        .offset:         104
        .size:           8
        .value_kind:     global_buffer
      - .actual_access:  read_only
        .address_space:  global
        .offset:         112
        .size:           8
        .value_kind:     global_buffer
      - .offset:         120
        .size:           4
        .value_kind:     by_value
      - .offset:         124
        .size:           1
        .value_kind:     by_value
    .group_segment_fixed_size: 8192
    .kernarg_segment_align: 8
    .kernarg_segment_size: 128
    .language:       OpenCL C
    .language_version:
      - 2
      - 0
    .max_flat_workgroup_size: 512
    .name:           _ZN9rocsparseL16sddmm_csx_kernelILi512ELi4EL20rocsparse_direction_0E21rocsparse_complex_numIdEiiS3_S3_S3_EEv20rocsparse_operation_S4_16rocsparse_order_S5_T4_S6_S6_T3_NS_24const_host_device_scalarIT2_EEPKT5_lPKT6_lSA_PT7_PKS7_PKS6_21rocsparse_index_base_b
    .private_segment_fixed_size: 0
    .sgpr_count:     36
    .sgpr_spill_count: 0
    .symbol:         _ZN9rocsparseL16sddmm_csx_kernelILi512ELi4EL20rocsparse_direction_0E21rocsparse_complex_numIdEiiS3_S3_S3_EEv20rocsparse_operation_S4_16rocsparse_order_S5_T4_S6_S6_T3_NS_24const_host_device_scalarIT2_EEPKT5_lPKT6_lSA_PT7_PKS7_PKS6_21rocsparse_index_base_b.kd
    .uniform_work_group_size: 1
    .uses_dynamic_stack: false
    .vgpr_count:     38
    .vgpr_spill_count: 0
    .wavefront_size: 64
  - .agpr_count:     0
    .args:
      - .offset:         0
        .size:           4
        .value_kind:     by_value
      - .offset:         4
        .size:           4
        .value_kind:     by_value
      - .offset:         8
        .size:           4
        .value_kind:     by_value
      - .offset:         12
        .size:           4
        .value_kind:     by_value
      - .offset:         16
        .size:           4
        .value_kind:     by_value
      - .offset:         20
        .size:           4
        .value_kind:     by_value
      - .offset:         24
        .size:           4
        .value_kind:     by_value
      - .offset:         28
        .size:           4
        .value_kind:     by_value
      - .offset:         32
        .size:           16
        .value_kind:     by_value
      - .actual_access:  read_only
        .address_space:  global
        .offset:         48
        .size:           8
        .value_kind:     global_buffer
      - .offset:         56
        .size:           8
        .value_kind:     by_value
      - .actual_access:  read_only
        .address_space:  global
        .offset:         64
        .size:           8
        .value_kind:     global_buffer
      - .offset:         72
        .size:           8
        .value_kind:     by_value
      - .offset:         80
        .size:           16
        .value_kind:     by_value
      - .address_space:  global
        .offset:         96
        .size:           8
        .value_kind:     global_buffer
      - .actual_access:  read_only
        .address_space:  global
        .offset:         104
        .size:           8
        .value_kind:     global_buffer
      - .actual_access:  read_only
        .address_space:  global
        .offset:         112
        .size:           8
        .value_kind:     global_buffer
      - .offset:         120
        .size:           4
        .value_kind:     by_value
      - .offset:         124
        .size:           1
        .value_kind:     by_value
    .group_segment_fixed_size: 8192
    .kernarg_segment_align: 8
    .kernarg_segment_size: 128
    .language:       OpenCL C
    .language_version:
      - 2
      - 0
    .max_flat_workgroup_size: 512
    .name:           _ZN9rocsparseL16sddmm_csx_kernelILi512ELi2EL20rocsparse_direction_0E21rocsparse_complex_numIdEiiS3_S3_S3_EEv20rocsparse_operation_S4_16rocsparse_order_S5_T4_S6_S6_T3_NS_24const_host_device_scalarIT2_EEPKT5_lPKT6_lSA_PT7_PKS7_PKS6_21rocsparse_index_base_b
    .private_segment_fixed_size: 0
    .sgpr_count:     34
    .sgpr_spill_count: 0
    .symbol:         _ZN9rocsparseL16sddmm_csx_kernelILi512ELi2EL20rocsparse_direction_0E21rocsparse_complex_numIdEiiS3_S3_S3_EEv20rocsparse_operation_S4_16rocsparse_order_S5_T4_S6_S6_T3_NS_24const_host_device_scalarIT2_EEPKT5_lPKT6_lSA_PT7_PKS7_PKS6_21rocsparse_index_base_b.kd
    .uniform_work_group_size: 1
    .uses_dynamic_stack: false
    .vgpr_count:     38
    .vgpr_spill_count: 0
    .wavefront_size: 64
  - .agpr_count:     0
    .args:
      - .offset:         0
        .size:           4
        .value_kind:     by_value
      - .offset:         4
        .size:           4
        .value_kind:     by_value
      - .offset:         8
        .size:           4
        .value_kind:     by_value
      - .offset:         12
        .size:           4
        .value_kind:     by_value
      - .offset:         16
        .size:           4
        .value_kind:     by_value
      - .offset:         20
        .size:           4
        .value_kind:     by_value
      - .offset:         24
        .size:           4
        .value_kind:     by_value
      - .offset:         28
        .size:           4
        .value_kind:     by_value
      - .offset:         32
        .size:           16
        .value_kind:     by_value
      - .actual_access:  read_only
        .address_space:  global
        .offset:         48
        .size:           8
        .value_kind:     global_buffer
      - .offset:         56
        .size:           8
        .value_kind:     by_value
      - .actual_access:  read_only
        .address_space:  global
        .offset:         64
        .size:           8
        .value_kind:     global_buffer
      - .offset:         72
        .size:           8
        .value_kind:     by_value
      - .offset:         80
        .size:           16
        .value_kind:     by_value
      - .address_space:  global
        .offset:         96
        .size:           8
        .value_kind:     global_buffer
      - .actual_access:  read_only
        .address_space:  global
        .offset:         104
        .size:           8
        .value_kind:     global_buffer
      - .actual_access:  read_only
        .address_space:  global
        .offset:         112
        .size:           8
        .value_kind:     global_buffer
      - .offset:         120
        .size:           4
        .value_kind:     by_value
      - .offset:         124
        .size:           1
        .value_kind:     by_value
    .group_segment_fixed_size: 8192
    .kernarg_segment_align: 8
    .kernarg_segment_size: 128
    .language:       OpenCL C
    .language_version:
      - 2
      - 0
    .max_flat_workgroup_size: 512
    .name:           _ZN9rocsparseL16sddmm_csx_kernelILi512ELi1EL20rocsparse_direction_0E21rocsparse_complex_numIdEiiS3_S3_S3_EEv20rocsparse_operation_S4_16rocsparse_order_S5_T4_S6_S6_T3_NS_24const_host_device_scalarIT2_EEPKT5_lPKT6_lSA_PT7_PKS7_PKS6_21rocsparse_index_base_b
    .private_segment_fixed_size: 0
    .sgpr_count:     32
    .sgpr_spill_count: 0
    .symbol:         _ZN9rocsparseL16sddmm_csx_kernelILi512ELi1EL20rocsparse_direction_0E21rocsparse_complex_numIdEiiS3_S3_S3_EEv20rocsparse_operation_S4_16rocsparse_order_S5_T4_S6_S6_T3_NS_24const_host_device_scalarIT2_EEPKT5_lPKT6_lSA_PT7_PKS7_PKS6_21rocsparse_index_base_b.kd
    .uniform_work_group_size: 1
    .uses_dynamic_stack: false
    .vgpr_count:     32
    .vgpr_spill_count: 0
    .wavefront_size: 64
  - .agpr_count:     0
    .args:
      - .offset:         0
        .size:           4
        .value_kind:     by_value
      - .offset:         4
        .size:           4
        .value_kind:     by_value
      - .offset:         8
        .size:           4
        .value_kind:     by_value
      - .actual_access:  read_only
        .address_space:  global
        .offset:         16
        .size:           8
        .value_kind:     global_buffer
      - .actual_access:  read_only
        .address_space:  global
        .offset:         24
        .size:           8
        .value_kind:     global_buffer
      - .actual_access:  read_only
        .address_space:  global
        .offset:         32
        .size:           8
        .value_kind:     global_buffer
      - .actual_access:  write_only
        .address_space:  global
        .offset:         40
        .size:           8
        .value_kind:     global_buffer
      - .offset:         48
        .size:           8
        .value_kind:     by_value
      - .offset:         56
        .size:           4
        .value_kind:     by_value
    .group_segment_fixed_size: 0
    .kernarg_segment_align: 8
    .kernarg_segment_size: 60
    .language:       OpenCL C
    .language_version:
      - 2
      - 0
    .max_flat_workgroup_size: 512
    .name:           _ZN9rocsparseL16csr2dense_kernelILi16ELi32EliDF16_EEviT2_S1_PKT3_PKT1_PKS1_PS2_l16rocsparse_order_
    .private_segment_fixed_size: 0
    .sgpr_count:     21
    .sgpr_spill_count: 0
    .symbol:         _ZN9rocsparseL16csr2dense_kernelILi16ELi32EliDF16_EEviT2_S1_PKT3_PKT1_PKS1_PS2_l16rocsparse_order_.kd
    .uniform_work_group_size: 1
    .uses_dynamic_stack: false
    .vgpr_count:     18
    .vgpr_spill_count: 0
    .wavefront_size: 64
  - .agpr_count:     0
    .args:
      - .offset:         0
        .size:           4
        .value_kind:     by_value
      - .offset:         4
        .size:           4
        .value_kind:     by_value
      - .offset:         8
        .size:           4
        .value_kind:     by_value
      - .actual_access:  read_only
        .address_space:  global
        .offset:         16
        .size:           8
        .value_kind:     global_buffer
      - .actual_access:  read_only
        .address_space:  global
        .offset:         24
        .size:           8
        .value_kind:     global_buffer
      - .actual_access:  read_only
        .address_space:  global
        .offset:         32
        .size:           8
        .value_kind:     global_buffer
      - .actual_access:  write_only
        .address_space:  global
        .offset:         40
        .size:           8
        .value_kind:     global_buffer
      - .offset:         48
        .size:           8
        .value_kind:     by_value
      - .offset:         56
        .size:           4
        .value_kind:     by_value
    .group_segment_fixed_size: 0
    .kernarg_segment_align: 8
    .kernarg_segment_size: 60
    .language:       OpenCL C
    .language_version:
      - 2
      - 0
    .max_flat_workgroup_size: 1024
    .name:           _ZN9rocsparseL16csr2dense_kernelILi16ELi64EliDF16_EEviT2_S1_PKT3_PKT1_PKS1_PS2_l16rocsparse_order_
    .private_segment_fixed_size: 0
    .sgpr_count:     21
    .sgpr_spill_count: 0
    .symbol:         _ZN9rocsparseL16csr2dense_kernelILi16ELi64EliDF16_EEviT2_S1_PKT3_PKT1_PKS1_PS2_l16rocsparse_order_.kd
    .uniform_work_group_size: 1
    .uses_dynamic_stack: false
    .vgpr_count:     18
    .vgpr_spill_count: 0
    .wavefront_size: 64
  - .agpr_count:     0
    .args:
      - .offset:         0
        .size:           4
        .value_kind:     by_value
      - .offset:         4
        .size:           4
        .value_kind:     by_value
      - .offset:         8
        .size:           4
        .value_kind:     by_value
      - .actual_access:  read_only
        .address_space:  global
        .offset:         16
        .size:           8
        .value_kind:     global_buffer
      - .actual_access:  read_only
        .address_space:  global
        .offset:         24
        .size:           8
        .value_kind:     global_buffer
      - .actual_access:  read_only
        .address_space:  global
        .offset:         32
        .size:           8
        .value_kind:     global_buffer
      - .actual_access:  write_only
        .address_space:  global
        .offset:         40
        .size:           8
        .value_kind:     global_buffer
      - .offset:         48
        .size:           8
        .value_kind:     by_value
      - .offset:         56
        .size:           4
        .value_kind:     by_value
    .group_segment_fixed_size: 0
    .kernarg_segment_align: 8
    .kernarg_segment_size: 60
    .language:       OpenCL C
    .language_version:
      - 2
      - 0
    .max_flat_workgroup_size: 512
    .name:           _ZN9rocsparseL16csc2dense_kernelILi16ELi32EliDF16_EEviT2_S1_PKT3_PKT1_PKS1_PS2_l16rocsparse_order_
    .private_segment_fixed_size: 0
    .sgpr_count:     21
    .sgpr_spill_count: 0
    .symbol:         _ZN9rocsparseL16csc2dense_kernelILi16ELi32EliDF16_EEviT2_S1_PKT3_PKT1_PKS1_PS2_l16rocsparse_order_.kd
    .uniform_work_group_size: 1
    .uses_dynamic_stack: false
    .vgpr_count:     19
    .vgpr_spill_count: 0
    .wavefront_size: 64
  - .agpr_count:     0
    .args:
      - .offset:         0
        .size:           4
        .value_kind:     by_value
      - .offset:         4
        .size:           4
        .value_kind:     by_value
      - .offset:         8
        .size:           4
        .value_kind:     by_value
      - .actual_access:  read_only
        .address_space:  global
        .offset:         16
        .size:           8
        .value_kind:     global_buffer
      - .actual_access:  read_only
        .address_space:  global
        .offset:         24
        .size:           8
        .value_kind:     global_buffer
      - .actual_access:  read_only
        .address_space:  global
        .offset:         32
        .size:           8
        .value_kind:     global_buffer
      - .actual_access:  write_only
        .address_space:  global
        .offset:         40
        .size:           8
        .value_kind:     global_buffer
      - .offset:         48
        .size:           8
        .value_kind:     by_value
      - .offset:         56
        .size:           4
        .value_kind:     by_value
    .group_segment_fixed_size: 0
    .kernarg_segment_align: 8
    .kernarg_segment_size: 60
    .language:       OpenCL C
    .language_version:
      - 2
      - 0
    .max_flat_workgroup_size: 1024
    .name:           _ZN9rocsparseL16csc2dense_kernelILi16ELi64EliDF16_EEviT2_S1_PKT3_PKT1_PKS1_PS2_l16rocsparse_order_
    .private_segment_fixed_size: 0
    .sgpr_count:     20
    .sgpr_spill_count: 0
    .symbol:         _ZN9rocsparseL16csc2dense_kernelILi16ELi64EliDF16_EEviT2_S1_PKT3_PKT1_PKS1_PS2_l16rocsparse_order_.kd
    .uniform_work_group_size: 1
    .uses_dynamic_stack: false
    .vgpr_count:     19
    .vgpr_spill_count: 0
    .wavefront_size: 64
  - .agpr_count:     0
    .args:
      - .offset:         0
        .size:           4
        .value_kind:     by_value
      - .offset:         4
        .size:           4
        .value_kind:     by_value
      - .offset:         8
        .size:           8
        .value_kind:     by_value
      - .actual_access:  read_only
        .address_space:  global
        .offset:         16
        .size:           8
        .value_kind:     global_buffer
      - .offset:         24
        .size:           4
        .value_kind:     by_value
      - .actual_access:  write_only
        .address_space:  global
        .offset:         32
        .size:           8
        .value_kind:     global_buffer
      - .actual_access:  read_only
        .address_space:  global
        .offset:         40
        .size:           8
        .value_kind:     global_buffer
      - .actual_access:  read_only
        .address_space:  global
        .offset:         48
        .size:           8
        .value_kind:     global_buffer
      - .offset:         56
        .size:           4
        .value_kind:     by_value
    .group_segment_fixed_size: 0
    .kernarg_segment_align: 8
    .kernarg_segment_size: 60
    .language:       OpenCL C
    .language_version:
      - 2
      - 0
    .max_flat_workgroup_size: 512
    .name:           _ZN9rocsparseL23sddmm_csx_sample_kernelILi512ELi64EL20rocsparse_direction_1EDF16_liDF16_EEvT4_S2_T3_PKT5_S2_PS4_PKS3_PKS2_21rocsparse_index_base_
    .private_segment_fixed_size: 0
    .sgpr_count:     20
    .sgpr_spill_count: 0
    .symbol:         _ZN9rocsparseL23sddmm_csx_sample_kernelILi512ELi64EL20rocsparse_direction_1EDF16_liDF16_EEvT4_S2_T3_PKT5_S2_PS4_PKS3_PKS2_21rocsparse_index_base_.kd
    .uniform_work_group_size: 1
    .uses_dynamic_stack: false
    .vgpr_count:     22
    .vgpr_spill_count: 0
    .wavefront_size: 64
  - .agpr_count:     0
    .args:
      - .offset:         0
        .size:           4
        .value_kind:     by_value
      - .offset:         4
        .size:           4
        .value_kind:     by_value
      - .offset:         8
        .size:           8
        .value_kind:     by_value
      - .actual_access:  read_only
        .address_space:  global
        .offset:         16
        .size:           8
        .value_kind:     global_buffer
      - .offset:         24
        .size:           4
        .value_kind:     by_value
      - .actual_access:  write_only
        .address_space:  global
        .offset:         32
        .size:           8
        .value_kind:     global_buffer
      - .actual_access:  read_only
        .address_space:  global
        .offset:         40
        .size:           8
        .value_kind:     global_buffer
      - .actual_access:  read_only
        .address_space:  global
        .offset:         48
        .size:           8
        .value_kind:     global_buffer
      - .offset:         56
        .size:           4
        .value_kind:     by_value
    .group_segment_fixed_size: 0
    .kernarg_segment_align: 8
    .kernarg_segment_size: 60
    .language:       OpenCL C
    .language_version:
      - 2
      - 0
    .max_flat_workgroup_size: 512
    .name:           _ZN9rocsparseL23sddmm_csx_sample_kernelILi512ELi32EL20rocsparse_direction_1EDF16_liDF16_EEvT4_S2_T3_PKT5_S2_PS4_PKS3_PKS2_21rocsparse_index_base_
    .private_segment_fixed_size: 0
    .sgpr_count:     20
    .sgpr_spill_count: 0
    .symbol:         _ZN9rocsparseL23sddmm_csx_sample_kernelILi512ELi32EL20rocsparse_direction_1EDF16_liDF16_EEvT4_S2_T3_PKT5_S2_PS4_PKS3_PKS2_21rocsparse_index_base_.kd
    .uniform_work_group_size: 1
    .uses_dynamic_stack: false
    .vgpr_count:     22
    .vgpr_spill_count: 0
    .wavefront_size: 64
  - .agpr_count:     0
    .args:
      - .offset:         0
        .size:           4
        .value_kind:     by_value
      - .offset:         4
        .size:           4
        .value_kind:     by_value
      - .offset:         8
        .size:           8
        .value_kind:     by_value
      - .actual_access:  read_only
        .address_space:  global
        .offset:         16
        .size:           8
        .value_kind:     global_buffer
      - .offset:         24
        .size:           4
        .value_kind:     by_value
      - .actual_access:  write_only
        .address_space:  global
        .offset:         32
        .size:           8
        .value_kind:     global_buffer
      - .actual_access:  read_only
        .address_space:  global
        .offset:         40
        .size:           8
        .value_kind:     global_buffer
      - .actual_access:  read_only
        .address_space:  global
        .offset:         48
        .size:           8
        .value_kind:     global_buffer
      - .offset:         56
        .size:           4
        .value_kind:     by_value
    .group_segment_fixed_size: 0
    .kernarg_segment_align: 8
    .kernarg_segment_size: 60
    .language:       OpenCL C
    .language_version:
      - 2
      - 0
    .max_flat_workgroup_size: 512
    .name:           _ZN9rocsparseL23sddmm_csx_sample_kernelILi512ELi16EL20rocsparse_direction_1EDF16_liDF16_EEvT4_S2_T3_PKT5_S2_PS4_PKS3_PKS2_21rocsparse_index_base_
    .private_segment_fixed_size: 0
    .sgpr_count:     18
    .sgpr_spill_count: 0
    .symbol:         _ZN9rocsparseL23sddmm_csx_sample_kernelILi512ELi16EL20rocsparse_direction_1EDF16_liDF16_EEvT4_S2_T3_PKT5_S2_PS4_PKS3_PKS2_21rocsparse_index_base_.kd
    .uniform_work_group_size: 1
    .uses_dynamic_stack: false
    .vgpr_count:     22
    .vgpr_spill_count: 0
    .wavefront_size: 64
  - .agpr_count:     0
    .args:
      - .offset:         0
        .size:           4
        .value_kind:     by_value
      - .offset:         4
        .size:           4
        .value_kind:     by_value
      - .offset:         8
        .size:           8
        .value_kind:     by_value
      - .actual_access:  read_only
        .address_space:  global
        .offset:         16
        .size:           8
        .value_kind:     global_buffer
      - .offset:         24
        .size:           4
        .value_kind:     by_value
      - .actual_access:  write_only
        .address_space:  global
        .offset:         32
        .size:           8
        .value_kind:     global_buffer
      - .actual_access:  read_only
        .address_space:  global
        .offset:         40
        .size:           8
        .value_kind:     global_buffer
      - .actual_access:  read_only
        .address_space:  global
        .offset:         48
        .size:           8
        .value_kind:     global_buffer
      - .offset:         56
        .size:           4
        .value_kind:     by_value
    .group_segment_fixed_size: 0
    .kernarg_segment_align: 8
    .kernarg_segment_size: 60
    .language:       OpenCL C
    .language_version:
      - 2
      - 0
    .max_flat_workgroup_size: 512
    .name:           _ZN9rocsparseL23sddmm_csx_sample_kernelILi512ELi8EL20rocsparse_direction_1EDF16_liDF16_EEvT4_S2_T3_PKT5_S2_PS4_PKS3_PKS2_21rocsparse_index_base_
    .private_segment_fixed_size: 0
    .sgpr_count:     17
    .sgpr_spill_count: 0
    .symbol:         _ZN9rocsparseL23sddmm_csx_sample_kernelILi512ELi8EL20rocsparse_direction_1EDF16_liDF16_EEvT4_S2_T3_PKT5_S2_PS4_PKS3_PKS2_21rocsparse_index_base_.kd
    .uniform_work_group_size: 1
    .uses_dynamic_stack: false
    .vgpr_count:     22
    .vgpr_spill_count: 0
    .wavefront_size: 64
  - .agpr_count:     0
    .args:
      - .offset:         0
        .size:           4
        .value_kind:     by_value
      - .offset:         4
        .size:           4
        .value_kind:     by_value
      - .offset:         8
        .size:           8
        .value_kind:     by_value
      - .actual_access:  read_only
        .address_space:  global
        .offset:         16
        .size:           8
        .value_kind:     global_buffer
      - .offset:         24
        .size:           4
        .value_kind:     by_value
      - .actual_access:  write_only
        .address_space:  global
        .offset:         32
        .size:           8
        .value_kind:     global_buffer
      - .actual_access:  read_only
        .address_space:  global
        .offset:         40
        .size:           8
        .value_kind:     global_buffer
      - .actual_access:  read_only
        .address_space:  global
        .offset:         48
        .size:           8
        .value_kind:     global_buffer
      - .offset:         56
        .size:           4
        .value_kind:     by_value
    .group_segment_fixed_size: 0
    .kernarg_segment_align: 8
    .kernarg_segment_size: 60
    .language:       OpenCL C
    .language_version:
      - 2
      - 0
    .max_flat_workgroup_size: 512
    .name:           _ZN9rocsparseL23sddmm_csx_sample_kernelILi512ELi4EL20rocsparse_direction_1EDF16_liDF16_EEvT4_S2_T3_PKT5_S2_PS4_PKS3_PKS2_21rocsparse_index_base_
    .private_segment_fixed_size: 0
    .sgpr_count:     17
    .sgpr_spill_count: 0
    .symbol:         _ZN9rocsparseL23sddmm_csx_sample_kernelILi512ELi4EL20rocsparse_direction_1EDF16_liDF16_EEvT4_S2_T3_PKT5_S2_PS4_PKS3_PKS2_21rocsparse_index_base_.kd
    .uniform_work_group_size: 1
    .uses_dynamic_stack: false
    .vgpr_count:     22
    .vgpr_spill_count: 0
    .wavefront_size: 64
  - .agpr_count:     0
    .args:
      - .offset:         0
        .size:           4
        .value_kind:     by_value
      - .offset:         4
        .size:           4
        .value_kind:     by_value
      - .offset:         8
        .size:           8
        .value_kind:     by_value
      - .actual_access:  read_only
        .address_space:  global
        .offset:         16
        .size:           8
        .value_kind:     global_buffer
      - .offset:         24
        .size:           4
        .value_kind:     by_value
      - .actual_access:  write_only
        .address_space:  global
        .offset:         32
        .size:           8
        .value_kind:     global_buffer
      - .actual_access:  read_only
        .address_space:  global
        .offset:         40
        .size:           8
        .value_kind:     global_buffer
      - .actual_access:  read_only
        .address_space:  global
        .offset:         48
        .size:           8
        .value_kind:     global_buffer
      - .offset:         56
        .size:           4
        .value_kind:     by_value
    .group_segment_fixed_size: 0
    .kernarg_segment_align: 8
    .kernarg_segment_size: 60
    .language:       OpenCL C
    .language_version:
      - 2
      - 0
    .max_flat_workgroup_size: 512
    .name:           _ZN9rocsparseL23sddmm_csx_sample_kernelILi512ELi2EL20rocsparse_direction_1EDF16_liDF16_EEvT4_S2_T3_PKT5_S2_PS4_PKS3_PKS2_21rocsparse_index_base_
    .private_segment_fixed_size: 0
    .sgpr_count:     17
    .sgpr_spill_count: 0
    .symbol:         _ZN9rocsparseL23sddmm_csx_sample_kernelILi512ELi2EL20rocsparse_direction_1EDF16_liDF16_EEvT4_S2_T3_PKT5_S2_PS4_PKS3_PKS2_21rocsparse_index_base_.kd
    .uniform_work_group_size: 1
    .uses_dynamic_stack: false
    .vgpr_count:     22
    .vgpr_spill_count: 0
    .wavefront_size: 64
  - .agpr_count:     0
    .args:
      - .offset:         0
        .size:           4
        .value_kind:     by_value
      - .offset:         4
        .size:           4
        .value_kind:     by_value
      - .offset:         8
        .size:           8
        .value_kind:     by_value
      - .actual_access:  read_only
        .address_space:  global
        .offset:         16
        .size:           8
        .value_kind:     global_buffer
      - .offset:         24
        .size:           4
        .value_kind:     by_value
      - .actual_access:  write_only
        .address_space:  global
        .offset:         32
        .size:           8
        .value_kind:     global_buffer
      - .actual_access:  read_only
        .address_space:  global
        .offset:         40
        .size:           8
        .value_kind:     global_buffer
      - .actual_access:  read_only
        .address_space:  global
        .offset:         48
        .size:           8
        .value_kind:     global_buffer
      - .offset:         56
        .size:           4
        .value_kind:     by_value
    .group_segment_fixed_size: 0
    .kernarg_segment_align: 8
    .kernarg_segment_size: 60
    .language:       OpenCL C
    .language_version:
      - 2
      - 0
    .max_flat_workgroup_size: 512
    .name:           _ZN9rocsparseL23sddmm_csx_sample_kernelILi512ELi1EL20rocsparse_direction_1EDF16_liDF16_EEvT4_S2_T3_PKT5_S2_PS4_PKS3_PKS2_21rocsparse_index_base_
    .private_segment_fixed_size: 0
    .sgpr_count:     18
    .sgpr_spill_count: 0
    .symbol:         _ZN9rocsparseL23sddmm_csx_sample_kernelILi512ELi1EL20rocsparse_direction_1EDF16_liDF16_EEvT4_S2_T3_PKT5_S2_PS4_PKS3_PKS2_21rocsparse_index_base_.kd
    .uniform_work_group_size: 1
    .uses_dynamic_stack: false
    .vgpr_count:     22
    .vgpr_spill_count: 0
    .wavefront_size: 64
  - .agpr_count:     0
    .args:
      - .offset:         0
        .size:           4
        .value_kind:     by_value
      - .offset:         4
        .size:           4
        .value_kind:     by_value
      - .offset:         8
        .size:           4
        .value_kind:     by_value
      - .offset:         12
        .size:           4
        .value_kind:     by_value
      - .offset:         16
        .size:           4
        .value_kind:     by_value
      - .offset:         20
        .size:           4
        .value_kind:     by_value
      - .offset:         24
        .size:           4
        .value_kind:     by_value
      - .offset:         32
        .size:           8
        .value_kind:     by_value
      - .offset:         40
        .size:           8
        .value_kind:     by_value
      - .actual_access:  read_only
        .address_space:  global
        .offset:         48
        .size:           8
        .value_kind:     global_buffer
      - .offset:         56
        .size:           8
        .value_kind:     by_value
      - .actual_access:  read_only
        .address_space:  global
        .offset:         64
        .size:           8
        .value_kind:     global_buffer
      - .offset:         72
        .size:           8
        .value_kind:     by_value
      - .offset:         80
        .size:           8
        .value_kind:     by_value
      - .address_space:  global
        .offset:         88
        .size:           8
        .value_kind:     global_buffer
      - .actual_access:  read_only
        .address_space:  global
        .offset:         96
        .size:           8
        .value_kind:     global_buffer
      - .actual_access:  read_only
        .address_space:  global
        .offset:         104
        .size:           8
        .value_kind:     global_buffer
      - .offset:         112
        .size:           4
        .value_kind:     by_value
      - .offset:         116
        .size:           1
        .value_kind:     by_value
    .group_segment_fixed_size: 1024
    .kernarg_segment_align: 8
    .kernarg_segment_size: 120
    .language:       OpenCL C
    .language_version:
      - 2
      - 0
    .max_flat_workgroup_size: 512
    .name:           _ZN9rocsparseL16sddmm_csx_kernelILi512ELi8EL20rocsparse_direction_0EDF16_liDF16_DF16_DF16_EEv20rocsparse_operation_S2_16rocsparse_order_S3_T4_S4_S4_T3_NS_24const_host_device_scalarIT2_EEPKT5_lPKT6_lS8_PT7_PKS5_PKS4_21rocsparse_index_base_b
    .private_segment_fixed_size: 0
    .sgpr_count:     38
    .sgpr_spill_count: 0
    .symbol:         _ZN9rocsparseL16sddmm_csx_kernelILi512ELi8EL20rocsparse_direction_0EDF16_liDF16_DF16_DF16_EEv20rocsparse_operation_S2_16rocsparse_order_S3_T4_S4_S4_T3_NS_24const_host_device_scalarIT2_EEPKT5_lPKT6_lS8_PT7_PKS5_PKS4_21rocsparse_index_base_b.kd
    .uniform_work_group_size: 1
    .uses_dynamic_stack: false
    .vgpr_count:     21
    .vgpr_spill_count: 0
    .wavefront_size: 64
  - .agpr_count:     0
    .args:
      - .offset:         0
        .size:           4
        .value_kind:     by_value
      - .offset:         4
        .size:           4
        .value_kind:     by_value
      - .offset:         8
        .size:           4
        .value_kind:     by_value
      - .offset:         12
        .size:           4
        .value_kind:     by_value
      - .offset:         16
        .size:           4
        .value_kind:     by_value
      - .offset:         20
        .size:           4
        .value_kind:     by_value
      - .offset:         24
        .size:           4
        .value_kind:     by_value
      - .offset:         32
        .size:           8
        .value_kind:     by_value
      - .offset:         40
        .size:           8
        .value_kind:     by_value
      - .actual_access:  read_only
        .address_space:  global
        .offset:         48
        .size:           8
        .value_kind:     global_buffer
      - .offset:         56
        .size:           8
        .value_kind:     by_value
      - .actual_access:  read_only
        .address_space:  global
        .offset:         64
        .size:           8
        .value_kind:     global_buffer
      - .offset:         72
        .size:           8
        .value_kind:     by_value
      - .offset:         80
        .size:           8
        .value_kind:     by_value
      - .address_space:  global
        .offset:         88
        .size:           8
        .value_kind:     global_buffer
      - .actual_access:  read_only
        .address_space:  global
        .offset:         96
        .size:           8
        .value_kind:     global_buffer
      - .actual_access:  read_only
        .address_space:  global
        .offset:         104
        .size:           8
        .value_kind:     global_buffer
      - .offset:         112
        .size:           4
        .value_kind:     by_value
      - .offset:         116
        .size:           1
        .value_kind:     by_value
    .group_segment_fixed_size: 1024
    .kernarg_segment_align: 8
    .kernarg_segment_size: 120
    .language:       OpenCL C
    .language_version:
      - 2
      - 0
    .max_flat_workgroup_size: 512
    .name:           _ZN9rocsparseL16sddmm_csx_kernelILi512ELi4EL20rocsparse_direction_0EDF16_liDF16_DF16_DF16_EEv20rocsparse_operation_S2_16rocsparse_order_S3_T4_S4_S4_T3_NS_24const_host_device_scalarIT2_EEPKT5_lPKT6_lS8_PT7_PKS5_PKS4_21rocsparse_index_base_b
    .private_segment_fixed_size: 0
    .sgpr_count:     36
    .sgpr_spill_count: 0
    .symbol:         _ZN9rocsparseL16sddmm_csx_kernelILi512ELi4EL20rocsparse_direction_0EDF16_liDF16_DF16_DF16_EEv20rocsparse_operation_S2_16rocsparse_order_S3_T4_S4_S4_T3_NS_24const_host_device_scalarIT2_EEPKT5_lPKT6_lS8_PT7_PKS5_PKS4_21rocsparse_index_base_b.kd
    .uniform_work_group_size: 1
    .uses_dynamic_stack: false
    .vgpr_count:     21
    .vgpr_spill_count: 0
    .wavefront_size: 64
  - .agpr_count:     0
    .args:
      - .offset:         0
        .size:           4
        .value_kind:     by_value
      - .offset:         4
        .size:           4
        .value_kind:     by_value
      - .offset:         8
        .size:           4
        .value_kind:     by_value
      - .offset:         12
        .size:           4
        .value_kind:     by_value
      - .offset:         16
        .size:           4
        .value_kind:     by_value
      - .offset:         20
        .size:           4
        .value_kind:     by_value
      - .offset:         24
        .size:           4
        .value_kind:     by_value
      - .offset:         32
        .size:           8
        .value_kind:     by_value
      - .offset:         40
        .size:           8
        .value_kind:     by_value
      - .actual_access:  read_only
        .address_space:  global
        .offset:         48
        .size:           8
        .value_kind:     global_buffer
      - .offset:         56
        .size:           8
        .value_kind:     by_value
      - .actual_access:  read_only
        .address_space:  global
        .offset:         64
        .size:           8
        .value_kind:     global_buffer
      - .offset:         72
        .size:           8
        .value_kind:     by_value
      - .offset:         80
        .size:           8
        .value_kind:     by_value
      - .address_space:  global
        .offset:         88
        .size:           8
        .value_kind:     global_buffer
      - .actual_access:  read_only
        .address_space:  global
        .offset:         96
        .size:           8
        .value_kind:     global_buffer
      - .actual_access:  read_only
        .address_space:  global
        .offset:         104
        .size:           8
        .value_kind:     global_buffer
      - .offset:         112
        .size:           4
        .value_kind:     by_value
      - .offset:         116
        .size:           1
        .value_kind:     by_value
    .group_segment_fixed_size: 1024
    .kernarg_segment_align: 8
    .kernarg_segment_size: 120
    .language:       OpenCL C
    .language_version:
      - 2
      - 0
    .max_flat_workgroup_size: 512
    .name:           _ZN9rocsparseL16sddmm_csx_kernelILi512ELi2EL20rocsparse_direction_0EDF16_liDF16_DF16_DF16_EEv20rocsparse_operation_S2_16rocsparse_order_S3_T4_S4_S4_T3_NS_24const_host_device_scalarIT2_EEPKT5_lPKT6_lS8_PT7_PKS5_PKS4_21rocsparse_index_base_b
    .private_segment_fixed_size: 0
    .sgpr_count:     34
    .sgpr_spill_count: 0
    .symbol:         _ZN9rocsparseL16sddmm_csx_kernelILi512ELi2EL20rocsparse_direction_0EDF16_liDF16_DF16_DF16_EEv20rocsparse_operation_S2_16rocsparse_order_S3_T4_S4_S4_T3_NS_24const_host_device_scalarIT2_EEPKT5_lPKT6_lS8_PT7_PKS5_PKS4_21rocsparse_index_base_b.kd
    .uniform_work_group_size: 1
    .uses_dynamic_stack: false
    .vgpr_count:     21
    .vgpr_spill_count: 0
    .wavefront_size: 64
  - .agpr_count:     0
    .args:
      - .offset:         0
        .size:           4
        .value_kind:     by_value
      - .offset:         4
        .size:           4
        .value_kind:     by_value
      - .offset:         8
        .size:           4
        .value_kind:     by_value
      - .offset:         12
        .size:           4
        .value_kind:     by_value
      - .offset:         16
        .size:           4
        .value_kind:     by_value
      - .offset:         20
        .size:           4
        .value_kind:     by_value
      - .offset:         24
        .size:           4
        .value_kind:     by_value
      - .offset:         32
        .size:           8
        .value_kind:     by_value
      - .offset:         40
        .size:           8
        .value_kind:     by_value
      - .actual_access:  read_only
        .address_space:  global
        .offset:         48
        .size:           8
        .value_kind:     global_buffer
      - .offset:         56
        .size:           8
        .value_kind:     by_value
      - .actual_access:  read_only
        .address_space:  global
        .offset:         64
        .size:           8
        .value_kind:     global_buffer
      - .offset:         72
        .size:           8
        .value_kind:     by_value
      - .offset:         80
        .size:           8
        .value_kind:     by_value
      - .address_space:  global
        .offset:         88
        .size:           8
        .value_kind:     global_buffer
      - .actual_access:  read_only
        .address_space:  global
        .offset:         96
        .size:           8
        .value_kind:     global_buffer
      - .actual_access:  read_only
        .address_space:  global
        .offset:         104
        .size:           8
        .value_kind:     global_buffer
      - .offset:         112
        .size:           4
        .value_kind:     by_value
      - .offset:         116
        .size:           1
        .value_kind:     by_value
    .group_segment_fixed_size: 1024
    .kernarg_segment_align: 8
    .kernarg_segment_size: 120
    .language:       OpenCL C
    .language_version:
      - 2
      - 0
    .max_flat_workgroup_size: 512
    .name:           _ZN9rocsparseL16sddmm_csx_kernelILi512ELi1EL20rocsparse_direction_0EDF16_liDF16_DF16_DF16_EEv20rocsparse_operation_S2_16rocsparse_order_S3_T4_S4_S4_T3_NS_24const_host_device_scalarIT2_EEPKT5_lPKT6_lS8_PT7_PKS5_PKS4_21rocsparse_index_base_b
    .private_segment_fixed_size: 0
    .sgpr_count:     32
    .sgpr_spill_count: 0
    .symbol:         _ZN9rocsparseL16sddmm_csx_kernelILi512ELi1EL20rocsparse_direction_0EDF16_liDF16_DF16_DF16_EEv20rocsparse_operation_S2_16rocsparse_order_S3_T4_S4_S4_T3_NS_24const_host_device_scalarIT2_EEPKT5_lPKT6_lS8_PT7_PKS5_PKS4_21rocsparse_index_base_b.kd
    .uniform_work_group_size: 1
    .uses_dynamic_stack: false
    .vgpr_count:     16
    .vgpr_spill_count: 0
    .wavefront_size: 64
  - .agpr_count:     0
    .args:
      - .offset:         0
        .size:           4
        .value_kind:     by_value
      - .offset:         4
        .size:           4
        .value_kind:     by_value
      - .offset:         8
        .size:           4
        .value_kind:     by_value
      - .actual_access:  read_only
        .address_space:  global
        .offset:         16
        .size:           8
        .value_kind:     global_buffer
      - .actual_access:  read_only
        .address_space:  global
        .offset:         24
        .size:           8
        .value_kind:     global_buffer
      - .actual_access:  read_only
        .address_space:  global
        .offset:         32
        .size:           8
        .value_kind:     global_buffer
      - .actual_access:  write_only
        .address_space:  global
        .offset:         40
        .size:           8
        .value_kind:     global_buffer
      - .offset:         48
        .size:           8
        .value_kind:     by_value
      - .offset:         56
        .size:           4
        .value_kind:     by_value
    .group_segment_fixed_size: 0
    .kernarg_segment_align: 8
    .kernarg_segment_size: 60
    .language:       OpenCL C
    .language_version:
      - 2
      - 0
    .max_flat_workgroup_size: 512
    .name:           _ZN9rocsparseL16csr2dense_kernelILi16ELi32ElifEEviT2_S1_PKT3_PKT1_PKS1_PS2_l16rocsparse_order_
    .private_segment_fixed_size: 0
    .sgpr_count:     21
    .sgpr_spill_count: 0
    .symbol:         _ZN9rocsparseL16csr2dense_kernelILi16ELi32ElifEEviT2_S1_PKT3_PKT1_PKS1_PS2_l16rocsparse_order_.kd
    .uniform_work_group_size: 1
    .uses_dynamic_stack: false
    .vgpr_count:     18
    .vgpr_spill_count: 0
    .wavefront_size: 64
  - .agpr_count:     0
    .args:
      - .offset:         0
        .size:           4
        .value_kind:     by_value
      - .offset:         4
        .size:           4
        .value_kind:     by_value
      - .offset:         8
        .size:           4
        .value_kind:     by_value
      - .actual_access:  read_only
        .address_space:  global
        .offset:         16
        .size:           8
        .value_kind:     global_buffer
      - .actual_access:  read_only
        .address_space:  global
        .offset:         24
        .size:           8
        .value_kind:     global_buffer
      - .actual_access:  read_only
        .address_space:  global
        .offset:         32
        .size:           8
        .value_kind:     global_buffer
      - .actual_access:  write_only
        .address_space:  global
        .offset:         40
        .size:           8
        .value_kind:     global_buffer
      - .offset:         48
        .size:           8
        .value_kind:     by_value
      - .offset:         56
        .size:           4
        .value_kind:     by_value
    .group_segment_fixed_size: 0
    .kernarg_segment_align: 8
    .kernarg_segment_size: 60
    .language:       OpenCL C
    .language_version:
      - 2
      - 0
    .max_flat_workgroup_size: 1024
    .name:           _ZN9rocsparseL16csr2dense_kernelILi16ELi64ElifEEviT2_S1_PKT3_PKT1_PKS1_PS2_l16rocsparse_order_
    .private_segment_fixed_size: 0
    .sgpr_count:     21
    .sgpr_spill_count: 0
    .symbol:         _ZN9rocsparseL16csr2dense_kernelILi16ELi64ElifEEviT2_S1_PKT3_PKT1_PKS1_PS2_l16rocsparse_order_.kd
    .uniform_work_group_size: 1
    .uses_dynamic_stack: false
    .vgpr_count:     18
    .vgpr_spill_count: 0
    .wavefront_size: 64
  - .agpr_count:     0
    .args:
      - .offset:         0
        .size:           4
        .value_kind:     by_value
      - .offset:         4
        .size:           4
        .value_kind:     by_value
      - .offset:         8
        .size:           4
        .value_kind:     by_value
      - .actual_access:  read_only
        .address_space:  global
        .offset:         16
        .size:           8
        .value_kind:     global_buffer
      - .actual_access:  read_only
        .address_space:  global
        .offset:         24
        .size:           8
        .value_kind:     global_buffer
      - .actual_access:  read_only
        .address_space:  global
        .offset:         32
        .size:           8
        .value_kind:     global_buffer
      - .actual_access:  write_only
        .address_space:  global
        .offset:         40
        .size:           8
        .value_kind:     global_buffer
      - .offset:         48
        .size:           8
        .value_kind:     by_value
      - .offset:         56
        .size:           4
        .value_kind:     by_value
    .group_segment_fixed_size: 0
    .kernarg_segment_align: 8
    .kernarg_segment_size: 60
    .language:       OpenCL C
    .language_version:
      - 2
      - 0
    .max_flat_workgroup_size: 512
    .name:           _ZN9rocsparseL16csc2dense_kernelILi16ELi32ElifEEviT2_S1_PKT3_PKT1_PKS1_PS2_l16rocsparse_order_
    .private_segment_fixed_size: 0
    .sgpr_count:     21
    .sgpr_spill_count: 0
    .symbol:         _ZN9rocsparseL16csc2dense_kernelILi16ELi32ElifEEviT2_S1_PKT3_PKT1_PKS1_PS2_l16rocsparse_order_.kd
    .uniform_work_group_size: 1
    .uses_dynamic_stack: false
    .vgpr_count:     19
    .vgpr_spill_count: 0
    .wavefront_size: 64
  - .agpr_count:     0
    .args:
      - .offset:         0
        .size:           4
        .value_kind:     by_value
      - .offset:         4
        .size:           4
        .value_kind:     by_value
      - .offset:         8
        .size:           4
        .value_kind:     by_value
      - .actual_access:  read_only
        .address_space:  global
        .offset:         16
        .size:           8
        .value_kind:     global_buffer
      - .actual_access:  read_only
        .address_space:  global
        .offset:         24
        .size:           8
        .value_kind:     global_buffer
      - .actual_access:  read_only
        .address_space:  global
        .offset:         32
        .size:           8
        .value_kind:     global_buffer
      - .actual_access:  write_only
        .address_space:  global
        .offset:         40
        .size:           8
        .value_kind:     global_buffer
      - .offset:         48
        .size:           8
        .value_kind:     by_value
      - .offset:         56
        .size:           4
        .value_kind:     by_value
    .group_segment_fixed_size: 0
    .kernarg_segment_align: 8
    .kernarg_segment_size: 60
    .language:       OpenCL C
    .language_version:
      - 2
      - 0
    .max_flat_workgroup_size: 1024
    .name:           _ZN9rocsparseL16csc2dense_kernelILi16ELi64ElifEEviT2_S1_PKT3_PKT1_PKS1_PS2_l16rocsparse_order_
    .private_segment_fixed_size: 0
    .sgpr_count:     21
    .sgpr_spill_count: 0
    .symbol:         _ZN9rocsparseL16csc2dense_kernelILi16ELi64ElifEEviT2_S1_PKT3_PKT1_PKS1_PS2_l16rocsparse_order_.kd
    .uniform_work_group_size: 1
    .uses_dynamic_stack: false
    .vgpr_count:     19
    .vgpr_spill_count: 0
    .wavefront_size: 64
  - .agpr_count:     0
    .args:
      - .offset:         0
        .size:           4
        .value_kind:     by_value
      - .offset:         4
        .size:           4
        .value_kind:     by_value
      - .offset:         8
        .size:           8
        .value_kind:     by_value
      - .actual_access:  read_only
        .address_space:  global
        .offset:         16
        .size:           8
        .value_kind:     global_buffer
      - .offset:         24
        .size:           4
        .value_kind:     by_value
      - .actual_access:  write_only
        .address_space:  global
        .offset:         32
        .size:           8
        .value_kind:     global_buffer
      - .actual_access:  read_only
        .address_space:  global
        .offset:         40
        .size:           8
        .value_kind:     global_buffer
      - .actual_access:  read_only
        .address_space:  global
        .offset:         48
        .size:           8
        .value_kind:     global_buffer
      - .offset:         56
        .size:           4
        .value_kind:     by_value
    .group_segment_fixed_size: 0
    .kernarg_segment_align: 8
    .kernarg_segment_size: 60
    .language:       OpenCL C
    .language_version:
      - 2
      - 0
    .max_flat_workgroup_size: 512
    .name:           _ZN9rocsparseL23sddmm_csx_sample_kernelILi512ELi64EL20rocsparse_direction_1EflifEEvT4_S2_T3_PKT5_S2_PS4_PKS3_PKS2_21rocsparse_index_base_
    .private_segment_fixed_size: 0
    .sgpr_count:     18
    .sgpr_spill_count: 0
    .symbol:         _ZN9rocsparseL23sddmm_csx_sample_kernelILi512ELi64EL20rocsparse_direction_1EflifEEvT4_S2_T3_PKT5_S2_PS4_PKS3_PKS2_21rocsparse_index_base_.kd
    .uniform_work_group_size: 1
    .uses_dynamic_stack: false
    .vgpr_count:     22
    .vgpr_spill_count: 0
    .wavefront_size: 64
  - .agpr_count:     0
    .args:
      - .offset:         0
        .size:           4
        .value_kind:     by_value
      - .offset:         4
        .size:           4
        .value_kind:     by_value
      - .offset:         8
        .size:           8
        .value_kind:     by_value
      - .actual_access:  read_only
        .address_space:  global
        .offset:         16
        .size:           8
        .value_kind:     global_buffer
      - .offset:         24
        .size:           4
        .value_kind:     by_value
      - .actual_access:  write_only
        .address_space:  global
        .offset:         32
        .size:           8
        .value_kind:     global_buffer
      - .actual_access:  read_only
        .address_space:  global
        .offset:         40
        .size:           8
        .value_kind:     global_buffer
      - .actual_access:  read_only
        .address_space:  global
        .offset:         48
        .size:           8
        .value_kind:     global_buffer
      - .offset:         56
        .size:           4
        .value_kind:     by_value
    .group_segment_fixed_size: 0
    .kernarg_segment_align: 8
    .kernarg_segment_size: 60
    .language:       OpenCL C
    .language_version:
      - 2
      - 0
    .max_flat_workgroup_size: 512
    .name:           _ZN9rocsparseL23sddmm_csx_sample_kernelILi512ELi32EL20rocsparse_direction_1EflifEEvT4_S2_T3_PKT5_S2_PS4_PKS3_PKS2_21rocsparse_index_base_
    .private_segment_fixed_size: 0
    .sgpr_count:     18
    .sgpr_spill_count: 0
    .symbol:         _ZN9rocsparseL23sddmm_csx_sample_kernelILi512ELi32EL20rocsparse_direction_1EflifEEvT4_S2_T3_PKT5_S2_PS4_PKS3_PKS2_21rocsparse_index_base_.kd
    .uniform_work_group_size: 1
    .uses_dynamic_stack: false
    .vgpr_count:     22
    .vgpr_spill_count: 0
    .wavefront_size: 64
  - .agpr_count:     0
    .args:
      - .offset:         0
        .size:           4
        .value_kind:     by_value
      - .offset:         4
        .size:           4
        .value_kind:     by_value
      - .offset:         8
        .size:           8
        .value_kind:     by_value
      - .actual_access:  read_only
        .address_space:  global
        .offset:         16
        .size:           8
        .value_kind:     global_buffer
      - .offset:         24
        .size:           4
        .value_kind:     by_value
      - .actual_access:  write_only
        .address_space:  global
        .offset:         32
        .size:           8
        .value_kind:     global_buffer
      - .actual_access:  read_only
        .address_space:  global
        .offset:         40
        .size:           8
        .value_kind:     global_buffer
      - .actual_access:  read_only
        .address_space:  global
        .offset:         48
        .size:           8
        .value_kind:     global_buffer
      - .offset:         56
        .size:           4
        .value_kind:     by_value
    .group_segment_fixed_size: 0
    .kernarg_segment_align: 8
    .kernarg_segment_size: 60
    .language:       OpenCL C
    .language_version:
      - 2
      - 0
    .max_flat_workgroup_size: 512
    .name:           _ZN9rocsparseL23sddmm_csx_sample_kernelILi512ELi16EL20rocsparse_direction_1EflifEEvT4_S2_T3_PKT5_S2_PS4_PKS3_PKS2_21rocsparse_index_base_
    .private_segment_fixed_size: 0
    .sgpr_count:     18
    .sgpr_spill_count: 0
    .symbol:         _ZN9rocsparseL23sddmm_csx_sample_kernelILi512ELi16EL20rocsparse_direction_1EflifEEvT4_S2_T3_PKT5_S2_PS4_PKS3_PKS2_21rocsparse_index_base_.kd
    .uniform_work_group_size: 1
    .uses_dynamic_stack: false
    .vgpr_count:     22
    .vgpr_spill_count: 0
    .wavefront_size: 64
  - .agpr_count:     0
    .args:
      - .offset:         0
        .size:           4
        .value_kind:     by_value
      - .offset:         4
        .size:           4
        .value_kind:     by_value
      - .offset:         8
        .size:           8
        .value_kind:     by_value
      - .actual_access:  read_only
        .address_space:  global
        .offset:         16
        .size:           8
        .value_kind:     global_buffer
      - .offset:         24
        .size:           4
        .value_kind:     by_value
      - .actual_access:  write_only
        .address_space:  global
        .offset:         32
        .size:           8
        .value_kind:     global_buffer
      - .actual_access:  read_only
        .address_space:  global
        .offset:         40
        .size:           8
        .value_kind:     global_buffer
      - .actual_access:  read_only
        .address_space:  global
        .offset:         48
        .size:           8
        .value_kind:     global_buffer
      - .offset:         56
        .size:           4
        .value_kind:     by_value
    .group_segment_fixed_size: 0
    .kernarg_segment_align: 8
    .kernarg_segment_size: 60
    .language:       OpenCL C
    .language_version:
      - 2
      - 0
    .max_flat_workgroup_size: 512
    .name:           _ZN9rocsparseL23sddmm_csx_sample_kernelILi512ELi8EL20rocsparse_direction_1EflifEEvT4_S2_T3_PKT5_S2_PS4_PKS3_PKS2_21rocsparse_index_base_
    .private_segment_fixed_size: 0
    .sgpr_count:     17
    .sgpr_spill_count: 0
    .symbol:         _ZN9rocsparseL23sddmm_csx_sample_kernelILi512ELi8EL20rocsparse_direction_1EflifEEvT4_S2_T3_PKT5_S2_PS4_PKS3_PKS2_21rocsparse_index_base_.kd
    .uniform_work_group_size: 1
    .uses_dynamic_stack: false
    .vgpr_count:     22
    .vgpr_spill_count: 0
    .wavefront_size: 64
  - .agpr_count:     0
    .args:
      - .offset:         0
        .size:           4
        .value_kind:     by_value
      - .offset:         4
        .size:           4
        .value_kind:     by_value
      - .offset:         8
        .size:           8
        .value_kind:     by_value
      - .actual_access:  read_only
        .address_space:  global
        .offset:         16
        .size:           8
        .value_kind:     global_buffer
      - .offset:         24
        .size:           4
        .value_kind:     by_value
      - .actual_access:  write_only
        .address_space:  global
        .offset:         32
        .size:           8
        .value_kind:     global_buffer
      - .actual_access:  read_only
        .address_space:  global
        .offset:         40
        .size:           8
        .value_kind:     global_buffer
      - .actual_access:  read_only
        .address_space:  global
        .offset:         48
        .size:           8
        .value_kind:     global_buffer
      - .offset:         56
        .size:           4
        .value_kind:     by_value
    .group_segment_fixed_size: 0
    .kernarg_segment_align: 8
    .kernarg_segment_size: 60
    .language:       OpenCL C
    .language_version:
      - 2
      - 0
    .max_flat_workgroup_size: 512
    .name:           _ZN9rocsparseL23sddmm_csx_sample_kernelILi512ELi4EL20rocsparse_direction_1EflifEEvT4_S2_T3_PKT5_S2_PS4_PKS3_PKS2_21rocsparse_index_base_
    .private_segment_fixed_size: 0
    .sgpr_count:     17
    .sgpr_spill_count: 0
    .symbol:         _ZN9rocsparseL23sddmm_csx_sample_kernelILi512ELi4EL20rocsparse_direction_1EflifEEvT4_S2_T3_PKT5_S2_PS4_PKS3_PKS2_21rocsparse_index_base_.kd
    .uniform_work_group_size: 1
    .uses_dynamic_stack: false
    .vgpr_count:     22
    .vgpr_spill_count: 0
    .wavefront_size: 64
  - .agpr_count:     0
    .args:
      - .offset:         0
        .size:           4
        .value_kind:     by_value
      - .offset:         4
        .size:           4
        .value_kind:     by_value
      - .offset:         8
        .size:           8
        .value_kind:     by_value
      - .actual_access:  read_only
        .address_space:  global
        .offset:         16
        .size:           8
        .value_kind:     global_buffer
      - .offset:         24
        .size:           4
        .value_kind:     by_value
      - .actual_access:  write_only
        .address_space:  global
        .offset:         32
        .size:           8
        .value_kind:     global_buffer
      - .actual_access:  read_only
        .address_space:  global
        .offset:         40
        .size:           8
        .value_kind:     global_buffer
      - .actual_access:  read_only
        .address_space:  global
        .offset:         48
        .size:           8
        .value_kind:     global_buffer
      - .offset:         56
        .size:           4
        .value_kind:     by_value
    .group_segment_fixed_size: 0
    .kernarg_segment_align: 8
    .kernarg_segment_size: 60
    .language:       OpenCL C
    .language_version:
      - 2
      - 0
    .max_flat_workgroup_size: 512
    .name:           _ZN9rocsparseL23sddmm_csx_sample_kernelILi512ELi2EL20rocsparse_direction_1EflifEEvT4_S2_T3_PKT5_S2_PS4_PKS3_PKS2_21rocsparse_index_base_
    .private_segment_fixed_size: 0
    .sgpr_count:     17
    .sgpr_spill_count: 0
    .symbol:         _ZN9rocsparseL23sddmm_csx_sample_kernelILi512ELi2EL20rocsparse_direction_1EflifEEvT4_S2_T3_PKT5_S2_PS4_PKS3_PKS2_21rocsparse_index_base_.kd
    .uniform_work_group_size: 1
    .uses_dynamic_stack: false
    .vgpr_count:     22
    .vgpr_spill_count: 0
    .wavefront_size: 64
  - .agpr_count:     0
    .args:
      - .offset:         0
        .size:           4
        .value_kind:     by_value
      - .offset:         4
        .size:           4
        .value_kind:     by_value
      - .offset:         8
        .size:           8
        .value_kind:     by_value
      - .actual_access:  read_only
        .address_space:  global
        .offset:         16
        .size:           8
        .value_kind:     global_buffer
      - .offset:         24
        .size:           4
        .value_kind:     by_value
      - .actual_access:  write_only
        .address_space:  global
        .offset:         32
        .size:           8
        .value_kind:     global_buffer
      - .actual_access:  read_only
        .address_space:  global
        .offset:         40
        .size:           8
        .value_kind:     global_buffer
      - .actual_access:  read_only
        .address_space:  global
        .offset:         48
        .size:           8
        .value_kind:     global_buffer
      - .offset:         56
        .size:           4
        .value_kind:     by_value
    .group_segment_fixed_size: 0
    .kernarg_segment_align: 8
    .kernarg_segment_size: 60
    .language:       OpenCL C
    .language_version:
      - 2
      - 0
    .max_flat_workgroup_size: 512
    .name:           _ZN9rocsparseL23sddmm_csx_sample_kernelILi512ELi1EL20rocsparse_direction_1EflifEEvT4_S2_T3_PKT5_S2_PS4_PKS3_PKS2_21rocsparse_index_base_
    .private_segment_fixed_size: 0
    .sgpr_count:     18
    .sgpr_spill_count: 0
    .symbol:         _ZN9rocsparseL23sddmm_csx_sample_kernelILi512ELi1EL20rocsparse_direction_1EflifEEvT4_S2_T3_PKT5_S2_PS4_PKS3_PKS2_21rocsparse_index_base_.kd
    .uniform_work_group_size: 1
    .uses_dynamic_stack: false
    .vgpr_count:     22
    .vgpr_spill_count: 0
    .wavefront_size: 64
  - .agpr_count:     0
    .args:
      - .offset:         0
        .size:           4
        .value_kind:     by_value
      - .offset:         4
        .size:           4
        .value_kind:     by_value
      - .offset:         8
        .size:           4
        .value_kind:     by_value
      - .offset:         12
        .size:           4
        .value_kind:     by_value
      - .offset:         16
        .size:           4
        .value_kind:     by_value
      - .offset:         20
        .size:           4
        .value_kind:     by_value
      - .offset:         24
        .size:           4
        .value_kind:     by_value
      - .offset:         32
        .size:           8
        .value_kind:     by_value
      - .offset:         40
        .size:           8
        .value_kind:     by_value
      - .actual_access:  read_only
        .address_space:  global
        .offset:         48
        .size:           8
        .value_kind:     global_buffer
      - .offset:         56
        .size:           8
        .value_kind:     by_value
      - .actual_access:  read_only
        .address_space:  global
        .offset:         64
        .size:           8
        .value_kind:     global_buffer
      - .offset:         72
        .size:           8
        .value_kind:     by_value
      - .offset:         80
        .size:           8
        .value_kind:     by_value
      - .address_space:  global
        .offset:         88
        .size:           8
        .value_kind:     global_buffer
      - .actual_access:  read_only
        .address_space:  global
        .offset:         96
        .size:           8
        .value_kind:     global_buffer
      - .actual_access:  read_only
        .address_space:  global
        .offset:         104
        .size:           8
        .value_kind:     global_buffer
      - .offset:         112
        .size:           4
        .value_kind:     by_value
      - .offset:         116
        .size:           1
        .value_kind:     by_value
    .group_segment_fixed_size: 2048
    .kernarg_segment_align: 8
    .kernarg_segment_size: 120
    .language:       OpenCL C
    .language_version:
      - 2
      - 0
    .max_flat_workgroup_size: 512
    .name:           _ZN9rocsparseL16sddmm_csx_kernelILi512ELi8EL20rocsparse_direction_0EflifffEEv20rocsparse_operation_S2_16rocsparse_order_S3_T4_S4_S4_T3_NS_24const_host_device_scalarIT2_EEPKT5_lPKT6_lS8_PT7_PKS5_PKS4_21rocsparse_index_base_b
    .private_segment_fixed_size: 0
    .sgpr_count:     42
    .sgpr_spill_count: 0
    .symbol:         _ZN9rocsparseL16sddmm_csx_kernelILi512ELi8EL20rocsparse_direction_0EflifffEEv20rocsparse_operation_S2_16rocsparse_order_S3_T4_S4_S4_T3_NS_24const_host_device_scalarIT2_EEPKT5_lPKT6_lS8_PT7_PKS5_PKS4_21rocsparse_index_base_b.kd
    .uniform_work_group_size: 1
    .uses_dynamic_stack: false
    .vgpr_count:     19
    .vgpr_spill_count: 0
    .wavefront_size: 64
  - .agpr_count:     0
    .args:
      - .offset:         0
        .size:           4
        .value_kind:     by_value
      - .offset:         4
        .size:           4
        .value_kind:     by_value
      - .offset:         8
        .size:           4
        .value_kind:     by_value
      - .offset:         12
        .size:           4
        .value_kind:     by_value
      - .offset:         16
        .size:           4
        .value_kind:     by_value
      - .offset:         20
        .size:           4
        .value_kind:     by_value
      - .offset:         24
        .size:           4
        .value_kind:     by_value
      - .offset:         32
        .size:           8
        .value_kind:     by_value
      - .offset:         40
        .size:           8
        .value_kind:     by_value
      - .actual_access:  read_only
        .address_space:  global
        .offset:         48
        .size:           8
        .value_kind:     global_buffer
      - .offset:         56
        .size:           8
        .value_kind:     by_value
      - .actual_access:  read_only
        .address_space:  global
        .offset:         64
        .size:           8
        .value_kind:     global_buffer
      - .offset:         72
        .size:           8
        .value_kind:     by_value
      - .offset:         80
        .size:           8
        .value_kind:     by_value
      - .address_space:  global
        .offset:         88
        .size:           8
        .value_kind:     global_buffer
      - .actual_access:  read_only
        .address_space:  global
        .offset:         96
        .size:           8
        .value_kind:     global_buffer
      - .actual_access:  read_only
        .address_space:  global
        .offset:         104
        .size:           8
        .value_kind:     global_buffer
      - .offset:         112
        .size:           4
        .value_kind:     by_value
      - .offset:         116
        .size:           1
        .value_kind:     by_value
    .group_segment_fixed_size: 2048
    .kernarg_segment_align: 8
    .kernarg_segment_size: 120
    .language:       OpenCL C
    .language_version:
      - 2
      - 0
    .max_flat_workgroup_size: 512
    .name:           _ZN9rocsparseL16sddmm_csx_kernelILi512ELi4EL20rocsparse_direction_0EflifffEEv20rocsparse_operation_S2_16rocsparse_order_S3_T4_S4_S4_T3_NS_24const_host_device_scalarIT2_EEPKT5_lPKT6_lS8_PT7_PKS5_PKS4_21rocsparse_index_base_b
    .private_segment_fixed_size: 0
    .sgpr_count:     38
    .sgpr_spill_count: 0
    .symbol:         _ZN9rocsparseL16sddmm_csx_kernelILi512ELi4EL20rocsparse_direction_0EflifffEEv20rocsparse_operation_S2_16rocsparse_order_S3_T4_S4_S4_T3_NS_24const_host_device_scalarIT2_EEPKT5_lPKT6_lS8_PT7_PKS5_PKS4_21rocsparse_index_base_b.kd
    .uniform_work_group_size: 1
    .uses_dynamic_stack: false
    .vgpr_count:     19
    .vgpr_spill_count: 0
    .wavefront_size: 64
  - .agpr_count:     0
    .args:
      - .offset:         0
        .size:           4
        .value_kind:     by_value
      - .offset:         4
        .size:           4
        .value_kind:     by_value
      - .offset:         8
        .size:           4
        .value_kind:     by_value
      - .offset:         12
        .size:           4
        .value_kind:     by_value
      - .offset:         16
        .size:           4
        .value_kind:     by_value
      - .offset:         20
        .size:           4
        .value_kind:     by_value
      - .offset:         24
        .size:           4
        .value_kind:     by_value
      - .offset:         32
        .size:           8
        .value_kind:     by_value
      - .offset:         40
        .size:           8
        .value_kind:     by_value
      - .actual_access:  read_only
        .address_space:  global
        .offset:         48
        .size:           8
        .value_kind:     global_buffer
      - .offset:         56
        .size:           8
        .value_kind:     by_value
      - .actual_access:  read_only
        .address_space:  global
        .offset:         64
        .size:           8
        .value_kind:     global_buffer
      - .offset:         72
        .size:           8
        .value_kind:     by_value
      - .offset:         80
        .size:           8
        .value_kind:     by_value
      - .address_space:  global
        .offset:         88
        .size:           8
        .value_kind:     global_buffer
      - .actual_access:  read_only
        .address_space:  global
        .offset:         96
        .size:           8
        .value_kind:     global_buffer
      - .actual_access:  read_only
        .address_space:  global
        .offset:         104
        .size:           8
        .value_kind:     global_buffer
      - .offset:         112
        .size:           4
        .value_kind:     by_value
      - .offset:         116
        .size:           1
        .value_kind:     by_value
    .group_segment_fixed_size: 2048
    .kernarg_segment_align: 8
    .kernarg_segment_size: 120
    .language:       OpenCL C
    .language_version:
      - 2
      - 0
    .max_flat_workgroup_size: 512
    .name:           _ZN9rocsparseL16sddmm_csx_kernelILi512ELi2EL20rocsparse_direction_0EflifffEEv20rocsparse_operation_S2_16rocsparse_order_S3_T4_S4_S4_T3_NS_24const_host_device_scalarIT2_EEPKT5_lPKT6_lS8_PT7_PKS5_PKS4_21rocsparse_index_base_b
    .private_segment_fixed_size: 0
    .sgpr_count:     36
    .sgpr_spill_count: 0
    .symbol:         _ZN9rocsparseL16sddmm_csx_kernelILi512ELi2EL20rocsparse_direction_0EflifffEEv20rocsparse_operation_S2_16rocsparse_order_S3_T4_S4_S4_T3_NS_24const_host_device_scalarIT2_EEPKT5_lPKT6_lS8_PT7_PKS5_PKS4_21rocsparse_index_base_b.kd
    .uniform_work_group_size: 1
    .uses_dynamic_stack: false
    .vgpr_count:     19
    .vgpr_spill_count: 0
    .wavefront_size: 64
  - .agpr_count:     0
    .args:
      - .offset:         0
        .size:           4
        .value_kind:     by_value
      - .offset:         4
        .size:           4
        .value_kind:     by_value
      - .offset:         8
        .size:           4
        .value_kind:     by_value
      - .offset:         12
        .size:           4
        .value_kind:     by_value
      - .offset:         16
        .size:           4
        .value_kind:     by_value
      - .offset:         20
        .size:           4
        .value_kind:     by_value
      - .offset:         24
        .size:           4
        .value_kind:     by_value
      - .offset:         32
        .size:           8
        .value_kind:     by_value
      - .offset:         40
        .size:           8
        .value_kind:     by_value
      - .actual_access:  read_only
        .address_space:  global
        .offset:         48
        .size:           8
        .value_kind:     global_buffer
      - .offset:         56
        .size:           8
        .value_kind:     by_value
      - .actual_access:  read_only
        .address_space:  global
        .offset:         64
        .size:           8
        .value_kind:     global_buffer
      - .offset:         72
        .size:           8
        .value_kind:     by_value
      - .offset:         80
        .size:           8
        .value_kind:     by_value
      - .address_space:  global
        .offset:         88
        .size:           8
        .value_kind:     global_buffer
      - .actual_access:  read_only
        .address_space:  global
        .offset:         96
        .size:           8
        .value_kind:     global_buffer
      - .actual_access:  read_only
        .address_space:  global
        .offset:         104
        .size:           8
        .value_kind:     global_buffer
      - .offset:         112
        .size:           4
        .value_kind:     by_value
      - .offset:         116
        .size:           1
        .value_kind:     by_value
    .group_segment_fixed_size: 2048
    .kernarg_segment_align: 8
    .kernarg_segment_size: 120
    .language:       OpenCL C
    .language_version:
      - 2
      - 0
    .max_flat_workgroup_size: 512
    .name:           _ZN9rocsparseL16sddmm_csx_kernelILi512ELi1EL20rocsparse_direction_0EflifffEEv20rocsparse_operation_S2_16rocsparse_order_S3_T4_S4_S4_T3_NS_24const_host_device_scalarIT2_EEPKT5_lPKT6_lS8_PT7_PKS5_PKS4_21rocsparse_index_base_b
    .private_segment_fixed_size: 0
    .sgpr_count:     34
    .sgpr_spill_count: 0
    .symbol:         _ZN9rocsparseL16sddmm_csx_kernelILi512ELi1EL20rocsparse_direction_0EflifffEEv20rocsparse_operation_S2_16rocsparse_order_S3_T4_S4_S4_T3_NS_24const_host_device_scalarIT2_EEPKT5_lPKT6_lS8_PT7_PKS5_PKS4_21rocsparse_index_base_b.kd
    .uniform_work_group_size: 1
    .uses_dynamic_stack: false
    .vgpr_count:     14
    .vgpr_spill_count: 0
    .wavefront_size: 64
  - .agpr_count:     0
    .args:
      - .offset:         0
        .size:           4
        .value_kind:     by_value
      - .offset:         4
        .size:           4
        .value_kind:     by_value
      - .offset:         8
        .size:           4
        .value_kind:     by_value
      - .actual_access:  read_only
        .address_space:  global
        .offset:         16
        .size:           8
        .value_kind:     global_buffer
      - .actual_access:  read_only
        .address_space:  global
        .offset:         24
        .size:           8
        .value_kind:     global_buffer
      - .actual_access:  read_only
        .address_space:  global
        .offset:         32
        .size:           8
        .value_kind:     global_buffer
      - .actual_access:  write_only
        .address_space:  global
        .offset:         40
        .size:           8
        .value_kind:     global_buffer
      - .offset:         48
        .size:           8
        .value_kind:     by_value
      - .offset:         56
        .size:           4
        .value_kind:     by_value
    .group_segment_fixed_size: 0
    .kernarg_segment_align: 8
    .kernarg_segment_size: 60
    .language:       OpenCL C
    .language_version:
      - 2
      - 0
    .max_flat_workgroup_size: 512
    .name:           _ZN9rocsparseL16csr2dense_kernelILi16ELi32ElidEEviT2_S1_PKT3_PKT1_PKS1_PS2_l16rocsparse_order_
    .private_segment_fixed_size: 0
    .sgpr_count:     21
    .sgpr_spill_count: 0
    .symbol:         _ZN9rocsparseL16csr2dense_kernelILi16ELi32ElidEEviT2_S1_PKT3_PKT1_PKS1_PS2_l16rocsparse_order_.kd
    .uniform_work_group_size: 1
    .uses_dynamic_stack: false
    .vgpr_count:     18
    .vgpr_spill_count: 0
    .wavefront_size: 64
  - .agpr_count:     0
    .args:
      - .offset:         0
        .size:           4
        .value_kind:     by_value
      - .offset:         4
        .size:           4
        .value_kind:     by_value
      - .offset:         8
        .size:           4
        .value_kind:     by_value
      - .actual_access:  read_only
        .address_space:  global
        .offset:         16
        .size:           8
        .value_kind:     global_buffer
      - .actual_access:  read_only
        .address_space:  global
        .offset:         24
        .size:           8
        .value_kind:     global_buffer
      - .actual_access:  read_only
        .address_space:  global
        .offset:         32
        .size:           8
        .value_kind:     global_buffer
      - .actual_access:  write_only
        .address_space:  global
        .offset:         40
        .size:           8
        .value_kind:     global_buffer
      - .offset:         48
        .size:           8
        .value_kind:     by_value
      - .offset:         56
        .size:           4
        .value_kind:     by_value
    .group_segment_fixed_size: 0
    .kernarg_segment_align: 8
    .kernarg_segment_size: 60
    .language:       OpenCL C
    .language_version:
      - 2
      - 0
    .max_flat_workgroup_size: 1024
    .name:           _ZN9rocsparseL16csr2dense_kernelILi16ELi64ElidEEviT2_S1_PKT3_PKT1_PKS1_PS2_l16rocsparse_order_
    .private_segment_fixed_size: 0
    .sgpr_count:     21
    .sgpr_spill_count: 0
    .symbol:         _ZN9rocsparseL16csr2dense_kernelILi16ELi64ElidEEviT2_S1_PKT3_PKT1_PKS1_PS2_l16rocsparse_order_.kd
    .uniform_work_group_size: 1
    .uses_dynamic_stack: false
    .vgpr_count:     18
    .vgpr_spill_count: 0
    .wavefront_size: 64
  - .agpr_count:     0
    .args:
      - .offset:         0
        .size:           4
        .value_kind:     by_value
      - .offset:         4
        .size:           4
        .value_kind:     by_value
      - .offset:         8
        .size:           4
        .value_kind:     by_value
      - .actual_access:  read_only
        .address_space:  global
        .offset:         16
        .size:           8
        .value_kind:     global_buffer
      - .actual_access:  read_only
        .address_space:  global
        .offset:         24
        .size:           8
        .value_kind:     global_buffer
      - .actual_access:  read_only
        .address_space:  global
        .offset:         32
        .size:           8
        .value_kind:     global_buffer
      - .actual_access:  write_only
        .address_space:  global
        .offset:         40
        .size:           8
        .value_kind:     global_buffer
      - .offset:         48
        .size:           8
        .value_kind:     by_value
      - .offset:         56
        .size:           4
        .value_kind:     by_value
    .group_segment_fixed_size: 0
    .kernarg_segment_align: 8
    .kernarg_segment_size: 60
    .language:       OpenCL C
    .language_version:
      - 2
      - 0
    .max_flat_workgroup_size: 512
    .name:           _ZN9rocsparseL16csc2dense_kernelILi16ELi32ElidEEviT2_S1_PKT3_PKT1_PKS1_PS2_l16rocsparse_order_
    .private_segment_fixed_size: 0
    .sgpr_count:     20
    .sgpr_spill_count: 0
    .symbol:         _ZN9rocsparseL16csc2dense_kernelILi16ELi32ElidEEviT2_S1_PKT3_PKT1_PKS1_PS2_l16rocsparse_order_.kd
    .uniform_work_group_size: 1
    .uses_dynamic_stack: false
    .vgpr_count:     20
    .vgpr_spill_count: 0
    .wavefront_size: 64
  - .agpr_count:     0
    .args:
      - .offset:         0
        .size:           4
        .value_kind:     by_value
      - .offset:         4
        .size:           4
        .value_kind:     by_value
      - .offset:         8
        .size:           4
        .value_kind:     by_value
      - .actual_access:  read_only
        .address_space:  global
        .offset:         16
        .size:           8
        .value_kind:     global_buffer
      - .actual_access:  read_only
        .address_space:  global
        .offset:         24
        .size:           8
        .value_kind:     global_buffer
      - .actual_access:  read_only
        .address_space:  global
        .offset:         32
        .size:           8
        .value_kind:     global_buffer
      - .actual_access:  write_only
        .address_space:  global
        .offset:         40
        .size:           8
        .value_kind:     global_buffer
      - .offset:         48
        .size:           8
        .value_kind:     by_value
      - .offset:         56
        .size:           4
        .value_kind:     by_value
    .group_segment_fixed_size: 0
    .kernarg_segment_align: 8
    .kernarg_segment_size: 60
    .language:       OpenCL C
    .language_version:
      - 2
      - 0
    .max_flat_workgroup_size: 1024
    .name:           _ZN9rocsparseL16csc2dense_kernelILi16ELi64ElidEEviT2_S1_PKT3_PKT1_PKS1_PS2_l16rocsparse_order_
    .private_segment_fixed_size: 0
    .sgpr_count:     20
    .sgpr_spill_count: 0
    .symbol:         _ZN9rocsparseL16csc2dense_kernelILi16ELi64ElidEEviT2_S1_PKT3_PKT1_PKS1_PS2_l16rocsparse_order_.kd
    .uniform_work_group_size: 1
    .uses_dynamic_stack: false
    .vgpr_count:     20
    .vgpr_spill_count: 0
    .wavefront_size: 64
  - .agpr_count:     0
    .args:
      - .offset:         0
        .size:           4
        .value_kind:     by_value
      - .offset:         4
        .size:           4
        .value_kind:     by_value
      - .offset:         8
        .size:           8
        .value_kind:     by_value
      - .actual_access:  read_only
        .address_space:  global
        .offset:         16
        .size:           8
        .value_kind:     global_buffer
      - .offset:         24
        .size:           4
        .value_kind:     by_value
      - .actual_access:  write_only
        .address_space:  global
        .offset:         32
        .size:           8
        .value_kind:     global_buffer
      - .actual_access:  read_only
        .address_space:  global
        .offset:         40
        .size:           8
        .value_kind:     global_buffer
      - .actual_access:  read_only
        .address_space:  global
        .offset:         48
        .size:           8
        .value_kind:     global_buffer
      - .offset:         56
        .size:           4
        .value_kind:     by_value
    .group_segment_fixed_size: 0
    .kernarg_segment_align: 8
    .kernarg_segment_size: 60
    .language:       OpenCL C
    .language_version:
      - 2
      - 0
    .max_flat_workgroup_size: 512
    .name:           _ZN9rocsparseL23sddmm_csx_sample_kernelILi512ELi64EL20rocsparse_direction_1EdlidEEvT4_S2_T3_PKT5_S2_PS4_PKS3_PKS2_21rocsparse_index_base_
    .private_segment_fixed_size: 0
    .sgpr_count:     16
    .sgpr_spill_count: 0
    .symbol:         _ZN9rocsparseL23sddmm_csx_sample_kernelILi512ELi64EL20rocsparse_direction_1EdlidEEvT4_S2_T3_PKT5_S2_PS4_PKS3_PKS2_21rocsparse_index_base_.kd
    .uniform_work_group_size: 1
    .uses_dynamic_stack: false
    .vgpr_count:     12
    .vgpr_spill_count: 0
    .wavefront_size: 64
  - .agpr_count:     0
    .args:
      - .offset:         0
        .size:           4
        .value_kind:     by_value
      - .offset:         4
        .size:           4
        .value_kind:     by_value
      - .offset:         8
        .size:           8
        .value_kind:     by_value
      - .actual_access:  read_only
        .address_space:  global
        .offset:         16
        .size:           8
        .value_kind:     global_buffer
      - .offset:         24
        .size:           4
        .value_kind:     by_value
      - .actual_access:  write_only
        .address_space:  global
        .offset:         32
        .size:           8
        .value_kind:     global_buffer
      - .actual_access:  read_only
        .address_space:  global
        .offset:         40
        .size:           8
        .value_kind:     global_buffer
      - .actual_access:  read_only
        .address_space:  global
        .offset:         48
        .size:           8
        .value_kind:     global_buffer
      - .offset:         56
        .size:           4
        .value_kind:     by_value
    .group_segment_fixed_size: 0
    .kernarg_segment_align: 8
    .kernarg_segment_size: 60
    .language:       OpenCL C
    .language_version:
      - 2
      - 0
    .max_flat_workgroup_size: 512
    .name:           _ZN9rocsparseL23sddmm_csx_sample_kernelILi512ELi32EL20rocsparse_direction_1EdlidEEvT4_S2_T3_PKT5_S2_PS4_PKS3_PKS2_21rocsparse_index_base_
    .private_segment_fixed_size: 0
    .sgpr_count:     16
    .sgpr_spill_count: 0
    .symbol:         _ZN9rocsparseL23sddmm_csx_sample_kernelILi512ELi32EL20rocsparse_direction_1EdlidEEvT4_S2_T3_PKT5_S2_PS4_PKS3_PKS2_21rocsparse_index_base_.kd
    .uniform_work_group_size: 1
    .uses_dynamic_stack: false
    .vgpr_count:     12
    .vgpr_spill_count: 0
    .wavefront_size: 64
  - .agpr_count:     0
    .args:
      - .offset:         0
        .size:           4
        .value_kind:     by_value
      - .offset:         4
        .size:           4
        .value_kind:     by_value
      - .offset:         8
        .size:           8
        .value_kind:     by_value
      - .actual_access:  read_only
        .address_space:  global
        .offset:         16
        .size:           8
        .value_kind:     global_buffer
      - .offset:         24
        .size:           4
        .value_kind:     by_value
      - .actual_access:  write_only
        .address_space:  global
        .offset:         32
        .size:           8
        .value_kind:     global_buffer
      - .actual_access:  read_only
        .address_space:  global
        .offset:         40
        .size:           8
        .value_kind:     global_buffer
      - .actual_access:  read_only
        .address_space:  global
        .offset:         48
        .size:           8
        .value_kind:     global_buffer
      - .offset:         56
        .size:           4
        .value_kind:     by_value
    .group_segment_fixed_size: 0
    .kernarg_segment_align: 8
    .kernarg_segment_size: 60
    .language:       OpenCL C
    .language_version:
      - 2
      - 0
    .max_flat_workgroup_size: 512
    .name:           _ZN9rocsparseL23sddmm_csx_sample_kernelILi512ELi16EL20rocsparse_direction_1EdlidEEvT4_S2_T3_PKT5_S2_PS4_PKS3_PKS2_21rocsparse_index_base_
    .private_segment_fixed_size: 0
    .sgpr_count:     16
    .sgpr_spill_count: 0
    .symbol:         _ZN9rocsparseL23sddmm_csx_sample_kernelILi512ELi16EL20rocsparse_direction_1EdlidEEvT4_S2_T3_PKT5_S2_PS4_PKS3_PKS2_21rocsparse_index_base_.kd
    .uniform_work_group_size: 1
    .uses_dynamic_stack: false
    .vgpr_count:     12
    .vgpr_spill_count: 0
    .wavefront_size: 64
  - .agpr_count:     0
    .args:
      - .offset:         0
        .size:           4
        .value_kind:     by_value
      - .offset:         4
        .size:           4
        .value_kind:     by_value
      - .offset:         8
        .size:           8
        .value_kind:     by_value
      - .actual_access:  read_only
        .address_space:  global
        .offset:         16
        .size:           8
        .value_kind:     global_buffer
      - .offset:         24
        .size:           4
        .value_kind:     by_value
      - .actual_access:  write_only
        .address_space:  global
        .offset:         32
        .size:           8
        .value_kind:     global_buffer
      - .actual_access:  read_only
        .address_space:  global
        .offset:         40
        .size:           8
        .value_kind:     global_buffer
      - .actual_access:  read_only
        .address_space:  global
        .offset:         48
        .size:           8
        .value_kind:     global_buffer
      - .offset:         56
        .size:           4
        .value_kind:     by_value
    .group_segment_fixed_size: 0
    .kernarg_segment_align: 8
    .kernarg_segment_size: 60
    .language:       OpenCL C
    .language_version:
      - 2
      - 0
    .max_flat_workgroup_size: 512
    .name:           _ZN9rocsparseL23sddmm_csx_sample_kernelILi512ELi8EL20rocsparse_direction_1EdlidEEvT4_S2_T3_PKT5_S2_PS4_PKS3_PKS2_21rocsparse_index_base_
    .private_segment_fixed_size: 0
    .sgpr_count:     16
    .sgpr_spill_count: 0
    .symbol:         _ZN9rocsparseL23sddmm_csx_sample_kernelILi512ELi8EL20rocsparse_direction_1EdlidEEvT4_S2_T3_PKT5_S2_PS4_PKS3_PKS2_21rocsparse_index_base_.kd
    .uniform_work_group_size: 1
    .uses_dynamic_stack: false
    .vgpr_count:     12
    .vgpr_spill_count: 0
    .wavefront_size: 64
  - .agpr_count:     0
    .args:
      - .offset:         0
        .size:           4
        .value_kind:     by_value
      - .offset:         4
        .size:           4
        .value_kind:     by_value
      - .offset:         8
        .size:           8
        .value_kind:     by_value
      - .actual_access:  read_only
        .address_space:  global
        .offset:         16
        .size:           8
        .value_kind:     global_buffer
      - .offset:         24
        .size:           4
        .value_kind:     by_value
      - .actual_access:  write_only
        .address_space:  global
        .offset:         32
        .size:           8
        .value_kind:     global_buffer
      - .actual_access:  read_only
        .address_space:  global
        .offset:         40
        .size:           8
        .value_kind:     global_buffer
      - .actual_access:  read_only
        .address_space:  global
        .offset:         48
        .size:           8
        .value_kind:     global_buffer
      - .offset:         56
        .size:           4
        .value_kind:     by_value
    .group_segment_fixed_size: 0
    .kernarg_segment_align: 8
    .kernarg_segment_size: 60
    .language:       OpenCL C
    .language_version:
      - 2
      - 0
    .max_flat_workgroup_size: 512
    .name:           _ZN9rocsparseL23sddmm_csx_sample_kernelILi512ELi4EL20rocsparse_direction_1EdlidEEvT4_S2_T3_PKT5_S2_PS4_PKS3_PKS2_21rocsparse_index_base_
    .private_segment_fixed_size: 0
    .sgpr_count:     16
    .sgpr_spill_count: 0
    .symbol:         _ZN9rocsparseL23sddmm_csx_sample_kernelILi512ELi4EL20rocsparse_direction_1EdlidEEvT4_S2_T3_PKT5_S2_PS4_PKS3_PKS2_21rocsparse_index_base_.kd
    .uniform_work_group_size: 1
    .uses_dynamic_stack: false
    .vgpr_count:     12
    .vgpr_spill_count: 0
    .wavefront_size: 64
  - .agpr_count:     0
    .args:
      - .offset:         0
        .size:           4
        .value_kind:     by_value
      - .offset:         4
        .size:           4
        .value_kind:     by_value
      - .offset:         8
        .size:           8
        .value_kind:     by_value
      - .actual_access:  read_only
        .address_space:  global
        .offset:         16
        .size:           8
        .value_kind:     global_buffer
      - .offset:         24
        .size:           4
        .value_kind:     by_value
      - .actual_access:  write_only
        .address_space:  global
        .offset:         32
        .size:           8
        .value_kind:     global_buffer
      - .actual_access:  read_only
        .address_space:  global
        .offset:         40
        .size:           8
        .value_kind:     global_buffer
      - .actual_access:  read_only
        .address_space:  global
        .offset:         48
        .size:           8
        .value_kind:     global_buffer
      - .offset:         56
        .size:           4
        .value_kind:     by_value
    .group_segment_fixed_size: 0
    .kernarg_segment_align: 8
    .kernarg_segment_size: 60
    .language:       OpenCL C
    .language_version:
      - 2
      - 0
    .max_flat_workgroup_size: 512
    .name:           _ZN9rocsparseL23sddmm_csx_sample_kernelILi512ELi2EL20rocsparse_direction_1EdlidEEvT4_S2_T3_PKT5_S2_PS4_PKS3_PKS2_21rocsparse_index_base_
    .private_segment_fixed_size: 0
    .sgpr_count:     16
    .sgpr_spill_count: 0
    .symbol:         _ZN9rocsparseL23sddmm_csx_sample_kernelILi512ELi2EL20rocsparse_direction_1EdlidEEvT4_S2_T3_PKT5_S2_PS4_PKS3_PKS2_21rocsparse_index_base_.kd
    .uniform_work_group_size: 1
    .uses_dynamic_stack: false
    .vgpr_count:     12
    .vgpr_spill_count: 0
    .wavefront_size: 64
  - .agpr_count:     0
    .args:
      - .offset:         0
        .size:           4
        .value_kind:     by_value
      - .offset:         4
        .size:           4
        .value_kind:     by_value
      - .offset:         8
        .size:           8
        .value_kind:     by_value
      - .actual_access:  read_only
        .address_space:  global
        .offset:         16
        .size:           8
        .value_kind:     global_buffer
      - .offset:         24
        .size:           4
        .value_kind:     by_value
      - .actual_access:  write_only
        .address_space:  global
        .offset:         32
        .size:           8
        .value_kind:     global_buffer
      - .actual_access:  read_only
        .address_space:  global
        .offset:         40
        .size:           8
        .value_kind:     global_buffer
      - .actual_access:  read_only
        .address_space:  global
        .offset:         48
        .size:           8
        .value_kind:     global_buffer
      - .offset:         56
        .size:           4
        .value_kind:     by_value
    .group_segment_fixed_size: 0
    .kernarg_segment_align: 8
    .kernarg_segment_size: 60
    .language:       OpenCL C
    .language_version:
      - 2
      - 0
    .max_flat_workgroup_size: 512
    .name:           _ZN9rocsparseL23sddmm_csx_sample_kernelILi512ELi1EL20rocsparse_direction_1EdlidEEvT4_S2_T3_PKT5_S2_PS4_PKS3_PKS2_21rocsparse_index_base_
    .private_segment_fixed_size: 0
    .sgpr_count:     17
    .sgpr_spill_count: 0
    .symbol:         _ZN9rocsparseL23sddmm_csx_sample_kernelILi512ELi1EL20rocsparse_direction_1EdlidEEvT4_S2_T3_PKT5_S2_PS4_PKS3_PKS2_21rocsparse_index_base_.kd
    .uniform_work_group_size: 1
    .uses_dynamic_stack: false
    .vgpr_count:     12
    .vgpr_spill_count: 0
    .wavefront_size: 64
  - .agpr_count:     0
    .args:
      - .offset:         0
        .size:           4
        .value_kind:     by_value
      - .offset:         4
        .size:           4
        .value_kind:     by_value
      - .offset:         8
        .size:           4
        .value_kind:     by_value
      - .offset:         12
        .size:           4
        .value_kind:     by_value
      - .offset:         16
        .size:           4
        .value_kind:     by_value
      - .offset:         20
        .size:           4
        .value_kind:     by_value
      - .offset:         24
        .size:           4
        .value_kind:     by_value
      - .offset:         32
        .size:           8
        .value_kind:     by_value
      - .offset:         40
        .size:           8
        .value_kind:     by_value
      - .actual_access:  read_only
        .address_space:  global
        .offset:         48
        .size:           8
        .value_kind:     global_buffer
      - .offset:         56
        .size:           8
        .value_kind:     by_value
      - .actual_access:  read_only
        .address_space:  global
        .offset:         64
        .size:           8
        .value_kind:     global_buffer
      - .offset:         72
        .size:           8
        .value_kind:     by_value
      - .offset:         80
        .size:           8
        .value_kind:     by_value
      - .address_space:  global
        .offset:         88
        .size:           8
        .value_kind:     global_buffer
      - .actual_access:  read_only
        .address_space:  global
        .offset:         96
        .size:           8
        .value_kind:     global_buffer
      - .actual_access:  read_only
        .address_space:  global
        .offset:         104
        .size:           8
        .value_kind:     global_buffer
      - .offset:         112
        .size:           4
        .value_kind:     by_value
      - .offset:         116
        .size:           1
        .value_kind:     by_value
    .group_segment_fixed_size: 4096
    .kernarg_segment_align: 8
    .kernarg_segment_size: 120
    .language:       OpenCL C
    .language_version:
      - 2
      - 0
    .max_flat_workgroup_size: 512
    .name:           _ZN9rocsparseL16sddmm_csx_kernelILi512ELi8EL20rocsparse_direction_0EdlidddEEv20rocsparse_operation_S2_16rocsparse_order_S3_T4_S4_S4_T3_NS_24const_host_device_scalarIT2_EEPKT5_lPKT6_lS8_PT7_PKS5_PKS4_21rocsparse_index_base_b
    .private_segment_fixed_size: 0
    .sgpr_count:     38
    .sgpr_spill_count: 0
    .symbol:         _ZN9rocsparseL16sddmm_csx_kernelILi512ELi8EL20rocsparse_direction_0EdlidddEEv20rocsparse_operation_S2_16rocsparse_order_S3_T4_S4_S4_T3_NS_24const_host_device_scalarIT2_EEPKT5_lPKT6_lS8_PT7_PKS5_PKS4_21rocsparse_index_base_b.kd
    .uniform_work_group_size: 1
    .uses_dynamic_stack: false
    .vgpr_count:     26
    .vgpr_spill_count: 0
    .wavefront_size: 64
  - .agpr_count:     0
    .args:
      - .offset:         0
        .size:           4
        .value_kind:     by_value
      - .offset:         4
        .size:           4
        .value_kind:     by_value
      - .offset:         8
        .size:           4
        .value_kind:     by_value
      - .offset:         12
        .size:           4
        .value_kind:     by_value
      - .offset:         16
        .size:           4
        .value_kind:     by_value
      - .offset:         20
        .size:           4
        .value_kind:     by_value
      - .offset:         24
        .size:           4
        .value_kind:     by_value
      - .offset:         32
        .size:           8
        .value_kind:     by_value
      - .offset:         40
        .size:           8
        .value_kind:     by_value
      - .actual_access:  read_only
        .address_space:  global
        .offset:         48
        .size:           8
        .value_kind:     global_buffer
      - .offset:         56
        .size:           8
        .value_kind:     by_value
      - .actual_access:  read_only
        .address_space:  global
        .offset:         64
        .size:           8
        .value_kind:     global_buffer
      - .offset:         72
        .size:           8
        .value_kind:     by_value
      - .offset:         80
        .size:           8
        .value_kind:     by_value
      - .address_space:  global
        .offset:         88
        .size:           8
        .value_kind:     global_buffer
      - .actual_access:  read_only
        .address_space:  global
        .offset:         96
        .size:           8
        .value_kind:     global_buffer
      - .actual_access:  read_only
        .address_space:  global
        .offset:         104
        .size:           8
        .value_kind:     global_buffer
      - .offset:         112
        .size:           4
        .value_kind:     by_value
      - .offset:         116
        .size:           1
        .value_kind:     by_value
    .group_segment_fixed_size: 4096
    .kernarg_segment_align: 8
    .kernarg_segment_size: 120
    .language:       OpenCL C
    .language_version:
      - 2
      - 0
    .max_flat_workgroup_size: 512
    .name:           _ZN9rocsparseL16sddmm_csx_kernelILi512ELi4EL20rocsparse_direction_0EdlidddEEv20rocsparse_operation_S2_16rocsparse_order_S3_T4_S4_S4_T3_NS_24const_host_device_scalarIT2_EEPKT5_lPKT6_lS8_PT7_PKS5_PKS4_21rocsparse_index_base_b
    .private_segment_fixed_size: 0
    .sgpr_count:     36
    .sgpr_spill_count: 0
    .symbol:         _ZN9rocsparseL16sddmm_csx_kernelILi512ELi4EL20rocsparse_direction_0EdlidddEEv20rocsparse_operation_S2_16rocsparse_order_S3_T4_S4_S4_T3_NS_24const_host_device_scalarIT2_EEPKT5_lPKT6_lS8_PT7_PKS5_PKS4_21rocsparse_index_base_b.kd
    .uniform_work_group_size: 1
    .uses_dynamic_stack: false
    .vgpr_count:     26
    .vgpr_spill_count: 0
    .wavefront_size: 64
  - .agpr_count:     0
    .args:
      - .offset:         0
        .size:           4
        .value_kind:     by_value
      - .offset:         4
        .size:           4
        .value_kind:     by_value
      - .offset:         8
        .size:           4
        .value_kind:     by_value
      - .offset:         12
        .size:           4
        .value_kind:     by_value
      - .offset:         16
        .size:           4
        .value_kind:     by_value
      - .offset:         20
        .size:           4
        .value_kind:     by_value
      - .offset:         24
        .size:           4
        .value_kind:     by_value
      - .offset:         32
        .size:           8
        .value_kind:     by_value
      - .offset:         40
        .size:           8
        .value_kind:     by_value
      - .actual_access:  read_only
        .address_space:  global
        .offset:         48
        .size:           8
        .value_kind:     global_buffer
      - .offset:         56
        .size:           8
        .value_kind:     by_value
      - .actual_access:  read_only
        .address_space:  global
        .offset:         64
        .size:           8
        .value_kind:     global_buffer
      - .offset:         72
        .size:           8
        .value_kind:     by_value
      - .offset:         80
        .size:           8
        .value_kind:     by_value
      - .address_space:  global
        .offset:         88
        .size:           8
        .value_kind:     global_buffer
      - .actual_access:  read_only
        .address_space:  global
        .offset:         96
        .size:           8
        .value_kind:     global_buffer
      - .actual_access:  read_only
        .address_space:  global
        .offset:         104
        .size:           8
        .value_kind:     global_buffer
      - .offset:         112
        .size:           4
        .value_kind:     by_value
      - .offset:         116
        .size:           1
        .value_kind:     by_value
    .group_segment_fixed_size: 4096
    .kernarg_segment_align: 8
    .kernarg_segment_size: 120
    .language:       OpenCL C
    .language_version:
      - 2
      - 0
    .max_flat_workgroup_size: 512
    .name:           _ZN9rocsparseL16sddmm_csx_kernelILi512ELi2EL20rocsparse_direction_0EdlidddEEv20rocsparse_operation_S2_16rocsparse_order_S3_T4_S4_S4_T3_NS_24const_host_device_scalarIT2_EEPKT5_lPKT6_lS8_PT7_PKS5_PKS4_21rocsparse_index_base_b
    .private_segment_fixed_size: 0
    .sgpr_count:     34
    .sgpr_spill_count: 0
    .symbol:         _ZN9rocsparseL16sddmm_csx_kernelILi512ELi2EL20rocsparse_direction_0EdlidddEEv20rocsparse_operation_S2_16rocsparse_order_S3_T4_S4_S4_T3_NS_24const_host_device_scalarIT2_EEPKT5_lPKT6_lS8_PT7_PKS5_PKS4_21rocsparse_index_base_b.kd
    .uniform_work_group_size: 1
    .uses_dynamic_stack: false
    .vgpr_count:     26
    .vgpr_spill_count: 0
    .wavefront_size: 64
  - .agpr_count:     0
    .args:
      - .offset:         0
        .size:           4
        .value_kind:     by_value
      - .offset:         4
        .size:           4
        .value_kind:     by_value
      - .offset:         8
        .size:           4
        .value_kind:     by_value
      - .offset:         12
        .size:           4
        .value_kind:     by_value
      - .offset:         16
        .size:           4
        .value_kind:     by_value
      - .offset:         20
        .size:           4
        .value_kind:     by_value
      - .offset:         24
        .size:           4
        .value_kind:     by_value
      - .offset:         32
        .size:           8
        .value_kind:     by_value
      - .offset:         40
        .size:           8
        .value_kind:     by_value
      - .actual_access:  read_only
        .address_space:  global
        .offset:         48
        .size:           8
        .value_kind:     global_buffer
      - .offset:         56
        .size:           8
        .value_kind:     by_value
      - .actual_access:  read_only
        .address_space:  global
        .offset:         64
        .size:           8
        .value_kind:     global_buffer
      - .offset:         72
        .size:           8
        .value_kind:     by_value
      - .offset:         80
        .size:           8
        .value_kind:     by_value
      - .address_space:  global
        .offset:         88
        .size:           8
        .value_kind:     global_buffer
      - .actual_access:  read_only
        .address_space:  global
        .offset:         96
        .size:           8
        .value_kind:     global_buffer
      - .actual_access:  read_only
        .address_space:  global
        .offset:         104
        .size:           8
        .value_kind:     global_buffer
      - .offset:         112
        .size:           4
        .value_kind:     by_value
      - .offset:         116
        .size:           1
        .value_kind:     by_value
    .group_segment_fixed_size: 4096
    .kernarg_segment_align: 8
    .kernarg_segment_size: 120
    .language:       OpenCL C
    .language_version:
      - 2
      - 0
    .max_flat_workgroup_size: 512
    .name:           _ZN9rocsparseL16sddmm_csx_kernelILi512ELi1EL20rocsparse_direction_0EdlidddEEv20rocsparse_operation_S2_16rocsparse_order_S3_T4_S4_S4_T3_NS_24const_host_device_scalarIT2_EEPKT5_lPKT6_lS8_PT7_PKS5_PKS4_21rocsparse_index_base_b
    .private_segment_fixed_size: 0
    .sgpr_count:     32
    .sgpr_spill_count: 0
    .symbol:         _ZN9rocsparseL16sddmm_csx_kernelILi512ELi1EL20rocsparse_direction_0EdlidddEEv20rocsparse_operation_S2_16rocsparse_order_S3_T4_S4_S4_T3_NS_24const_host_device_scalarIT2_EEPKT5_lPKT6_lS8_PT7_PKS5_PKS4_21rocsparse_index_base_b.kd
    .uniform_work_group_size: 1
    .uses_dynamic_stack: false
    .vgpr_count:     22
    .vgpr_spill_count: 0
    .wavefront_size: 64
  - .agpr_count:     0
    .args:
      - .offset:         0
        .size:           4
        .value_kind:     by_value
      - .offset:         4
        .size:           4
        .value_kind:     by_value
      - .offset:         8
        .size:           4
        .value_kind:     by_value
      - .actual_access:  read_only
        .address_space:  global
        .offset:         16
        .size:           8
        .value_kind:     global_buffer
      - .actual_access:  read_only
        .address_space:  global
        .offset:         24
        .size:           8
        .value_kind:     global_buffer
      - .actual_access:  read_only
        .address_space:  global
        .offset:         32
        .size:           8
        .value_kind:     global_buffer
      - .actual_access:  write_only
        .address_space:  global
        .offset:         40
        .size:           8
        .value_kind:     global_buffer
      - .offset:         48
        .size:           8
        .value_kind:     by_value
      - .offset:         56
        .size:           4
        .value_kind:     by_value
    .group_segment_fixed_size: 0
    .kernarg_segment_align: 8
    .kernarg_segment_size: 60
    .language:       OpenCL C
    .language_version:
      - 2
      - 0
    .max_flat_workgroup_size: 512
    .name:           _ZN9rocsparseL16csr2dense_kernelILi16ELi32Eli21rocsparse_complex_numIfEEEviT2_S3_PKT3_PKT1_PKS3_PS4_l16rocsparse_order_
    .private_segment_fixed_size: 0
    .sgpr_count:     21
    .sgpr_spill_count: 0
    .symbol:         _ZN9rocsparseL16csr2dense_kernelILi16ELi32Eli21rocsparse_complex_numIfEEEviT2_S3_PKT3_PKT1_PKS3_PS4_l16rocsparse_order_.kd
    .uniform_work_group_size: 1
    .uses_dynamic_stack: false
    .vgpr_count:     18
    .vgpr_spill_count: 0
    .wavefront_size: 64
  - .agpr_count:     0
    .args:
      - .offset:         0
        .size:           4
        .value_kind:     by_value
      - .offset:         4
        .size:           4
        .value_kind:     by_value
      - .offset:         8
        .size:           4
        .value_kind:     by_value
      - .actual_access:  read_only
        .address_space:  global
        .offset:         16
        .size:           8
        .value_kind:     global_buffer
      - .actual_access:  read_only
        .address_space:  global
        .offset:         24
        .size:           8
        .value_kind:     global_buffer
      - .actual_access:  read_only
        .address_space:  global
        .offset:         32
        .size:           8
        .value_kind:     global_buffer
      - .actual_access:  write_only
        .address_space:  global
        .offset:         40
        .size:           8
        .value_kind:     global_buffer
      - .offset:         48
        .size:           8
        .value_kind:     by_value
      - .offset:         56
        .size:           4
        .value_kind:     by_value
    .group_segment_fixed_size: 0
    .kernarg_segment_align: 8
    .kernarg_segment_size: 60
    .language:       OpenCL C
    .language_version:
      - 2
      - 0
    .max_flat_workgroup_size: 1024
    .name:           _ZN9rocsparseL16csr2dense_kernelILi16ELi64Eli21rocsparse_complex_numIfEEEviT2_S3_PKT3_PKT1_PKS3_PS4_l16rocsparse_order_
    .private_segment_fixed_size: 0
    .sgpr_count:     21
    .sgpr_spill_count: 0
    .symbol:         _ZN9rocsparseL16csr2dense_kernelILi16ELi64Eli21rocsparse_complex_numIfEEEviT2_S3_PKT3_PKT1_PKS3_PS4_l16rocsparse_order_.kd
    .uniform_work_group_size: 1
    .uses_dynamic_stack: false
    .vgpr_count:     18
    .vgpr_spill_count: 0
    .wavefront_size: 64
  - .agpr_count:     0
    .args:
      - .offset:         0
        .size:           4
        .value_kind:     by_value
      - .offset:         4
        .size:           4
        .value_kind:     by_value
      - .offset:         8
        .size:           4
        .value_kind:     by_value
      - .actual_access:  read_only
        .address_space:  global
        .offset:         16
        .size:           8
        .value_kind:     global_buffer
      - .actual_access:  read_only
        .address_space:  global
        .offset:         24
        .size:           8
        .value_kind:     global_buffer
      - .actual_access:  read_only
        .address_space:  global
        .offset:         32
        .size:           8
        .value_kind:     global_buffer
      - .actual_access:  write_only
        .address_space:  global
        .offset:         40
        .size:           8
        .value_kind:     global_buffer
      - .offset:         48
        .size:           8
        .value_kind:     by_value
      - .offset:         56
        .size:           4
        .value_kind:     by_value
    .group_segment_fixed_size: 0
    .kernarg_segment_align: 8
    .kernarg_segment_size: 60
    .language:       OpenCL C
    .language_version:
      - 2
      - 0
    .max_flat_workgroup_size: 512
    .name:           _ZN9rocsparseL16csc2dense_kernelILi16ELi32Eli21rocsparse_complex_numIfEEEviT2_S3_PKT3_PKT1_PKS3_PS4_l16rocsparse_order_
    .private_segment_fixed_size: 0
    .sgpr_count:     20
    .sgpr_spill_count: 0
    .symbol:         _ZN9rocsparseL16csc2dense_kernelILi16ELi32Eli21rocsparse_complex_numIfEEEviT2_S3_PKT3_PKT1_PKS3_PS4_l16rocsparse_order_.kd
    .uniform_work_group_size: 1
    .uses_dynamic_stack: false
    .vgpr_count:     20
    .vgpr_spill_count: 0
    .wavefront_size: 64
  - .agpr_count:     0
    .args:
      - .offset:         0
        .size:           4
        .value_kind:     by_value
      - .offset:         4
        .size:           4
        .value_kind:     by_value
      - .offset:         8
        .size:           4
        .value_kind:     by_value
      - .actual_access:  read_only
        .address_space:  global
        .offset:         16
        .size:           8
        .value_kind:     global_buffer
      - .actual_access:  read_only
        .address_space:  global
        .offset:         24
        .size:           8
        .value_kind:     global_buffer
      - .actual_access:  read_only
        .address_space:  global
        .offset:         32
        .size:           8
        .value_kind:     global_buffer
      - .actual_access:  write_only
        .address_space:  global
        .offset:         40
        .size:           8
        .value_kind:     global_buffer
      - .offset:         48
        .size:           8
        .value_kind:     by_value
      - .offset:         56
        .size:           4
        .value_kind:     by_value
    .group_segment_fixed_size: 0
    .kernarg_segment_align: 8
    .kernarg_segment_size: 60
    .language:       OpenCL C
    .language_version:
      - 2
      - 0
    .max_flat_workgroup_size: 1024
    .name:           _ZN9rocsparseL16csc2dense_kernelILi16ELi64Eli21rocsparse_complex_numIfEEEviT2_S3_PKT3_PKT1_PKS3_PS4_l16rocsparse_order_
    .private_segment_fixed_size: 0
    .sgpr_count:     20
    .sgpr_spill_count: 0
    .symbol:         _ZN9rocsparseL16csc2dense_kernelILi16ELi64Eli21rocsparse_complex_numIfEEEviT2_S3_PKT3_PKT1_PKS3_PS4_l16rocsparse_order_.kd
    .uniform_work_group_size: 1
    .uses_dynamic_stack: false
    .vgpr_count:     20
    .vgpr_spill_count: 0
    .wavefront_size: 64
  - .agpr_count:     0
    .args:
      - .offset:         0
        .size:           4
        .value_kind:     by_value
      - .offset:         4
        .size:           4
        .value_kind:     by_value
      - .offset:         8
        .size:           8
        .value_kind:     by_value
      - .actual_access:  read_only
        .address_space:  global
        .offset:         16
        .size:           8
        .value_kind:     global_buffer
      - .offset:         24
        .size:           4
        .value_kind:     by_value
      - .actual_access:  write_only
        .address_space:  global
        .offset:         32
        .size:           8
        .value_kind:     global_buffer
      - .actual_access:  read_only
        .address_space:  global
        .offset:         40
        .size:           8
        .value_kind:     global_buffer
      - .actual_access:  read_only
        .address_space:  global
        .offset:         48
        .size:           8
        .value_kind:     global_buffer
      - .offset:         56
        .size:           4
        .value_kind:     by_value
    .group_segment_fixed_size: 0
    .kernarg_segment_align: 8
    .kernarg_segment_size: 60
    .language:       OpenCL C
    .language_version:
      - 2
      - 0
    .max_flat_workgroup_size: 512
    .name:           _ZN9rocsparseL23sddmm_csx_sample_kernelILi512ELi64EL20rocsparse_direction_1E21rocsparse_complex_numIfEliS3_EEvT4_S4_T3_PKT5_S4_PS6_PKS5_PKS4_21rocsparse_index_base_
    .private_segment_fixed_size: 0
    .sgpr_count:     16
    .sgpr_spill_count: 0
    .symbol:         _ZN9rocsparseL23sddmm_csx_sample_kernelILi512ELi64EL20rocsparse_direction_1E21rocsparse_complex_numIfEliS3_EEvT4_S4_T3_PKT5_S4_PS6_PKS5_PKS4_21rocsparse_index_base_.kd
    .uniform_work_group_size: 1
    .uses_dynamic_stack: false
    .vgpr_count:     12
    .vgpr_spill_count: 0
    .wavefront_size: 64
  - .agpr_count:     0
    .args:
      - .offset:         0
        .size:           4
        .value_kind:     by_value
      - .offset:         4
        .size:           4
        .value_kind:     by_value
      - .offset:         8
        .size:           8
        .value_kind:     by_value
      - .actual_access:  read_only
        .address_space:  global
        .offset:         16
        .size:           8
        .value_kind:     global_buffer
      - .offset:         24
        .size:           4
        .value_kind:     by_value
      - .actual_access:  write_only
        .address_space:  global
        .offset:         32
        .size:           8
        .value_kind:     global_buffer
      - .actual_access:  read_only
        .address_space:  global
        .offset:         40
        .size:           8
        .value_kind:     global_buffer
      - .actual_access:  read_only
        .address_space:  global
        .offset:         48
        .size:           8
        .value_kind:     global_buffer
      - .offset:         56
        .size:           4
        .value_kind:     by_value
    .group_segment_fixed_size: 0
    .kernarg_segment_align: 8
    .kernarg_segment_size: 60
    .language:       OpenCL C
    .language_version:
      - 2
      - 0
    .max_flat_workgroup_size: 512
    .name:           _ZN9rocsparseL23sddmm_csx_sample_kernelILi512ELi32EL20rocsparse_direction_1E21rocsparse_complex_numIfEliS3_EEvT4_S4_T3_PKT5_S4_PS6_PKS5_PKS4_21rocsparse_index_base_
    .private_segment_fixed_size: 0
    .sgpr_count:     16
    .sgpr_spill_count: 0
    .symbol:         _ZN9rocsparseL23sddmm_csx_sample_kernelILi512ELi32EL20rocsparse_direction_1E21rocsparse_complex_numIfEliS3_EEvT4_S4_T3_PKT5_S4_PS6_PKS5_PKS4_21rocsparse_index_base_.kd
    .uniform_work_group_size: 1
    .uses_dynamic_stack: false
    .vgpr_count:     12
    .vgpr_spill_count: 0
    .wavefront_size: 64
  - .agpr_count:     0
    .args:
      - .offset:         0
        .size:           4
        .value_kind:     by_value
      - .offset:         4
        .size:           4
        .value_kind:     by_value
      - .offset:         8
        .size:           8
        .value_kind:     by_value
      - .actual_access:  read_only
        .address_space:  global
        .offset:         16
        .size:           8
        .value_kind:     global_buffer
      - .offset:         24
        .size:           4
        .value_kind:     by_value
      - .actual_access:  write_only
        .address_space:  global
        .offset:         32
        .size:           8
        .value_kind:     global_buffer
      - .actual_access:  read_only
        .address_space:  global
        .offset:         40
        .size:           8
        .value_kind:     global_buffer
      - .actual_access:  read_only
        .address_space:  global
        .offset:         48
        .size:           8
        .value_kind:     global_buffer
      - .offset:         56
        .size:           4
        .value_kind:     by_value
    .group_segment_fixed_size: 0
    .kernarg_segment_align: 8
    .kernarg_segment_size: 60
    .language:       OpenCL C
    .language_version:
      - 2
      - 0
    .max_flat_workgroup_size: 512
    .name:           _ZN9rocsparseL23sddmm_csx_sample_kernelILi512ELi16EL20rocsparse_direction_1E21rocsparse_complex_numIfEliS3_EEvT4_S4_T3_PKT5_S4_PS6_PKS5_PKS4_21rocsparse_index_base_
    .private_segment_fixed_size: 0
    .sgpr_count:     16
    .sgpr_spill_count: 0
    .symbol:         _ZN9rocsparseL23sddmm_csx_sample_kernelILi512ELi16EL20rocsparse_direction_1E21rocsparse_complex_numIfEliS3_EEvT4_S4_T3_PKT5_S4_PS6_PKS5_PKS4_21rocsparse_index_base_.kd
    .uniform_work_group_size: 1
    .uses_dynamic_stack: false
    .vgpr_count:     12
    .vgpr_spill_count: 0
    .wavefront_size: 64
  - .agpr_count:     0
    .args:
      - .offset:         0
        .size:           4
        .value_kind:     by_value
      - .offset:         4
        .size:           4
        .value_kind:     by_value
      - .offset:         8
        .size:           8
        .value_kind:     by_value
      - .actual_access:  read_only
        .address_space:  global
        .offset:         16
        .size:           8
        .value_kind:     global_buffer
      - .offset:         24
        .size:           4
        .value_kind:     by_value
      - .actual_access:  write_only
        .address_space:  global
        .offset:         32
        .size:           8
        .value_kind:     global_buffer
      - .actual_access:  read_only
        .address_space:  global
        .offset:         40
        .size:           8
        .value_kind:     global_buffer
      - .actual_access:  read_only
        .address_space:  global
        .offset:         48
        .size:           8
        .value_kind:     global_buffer
      - .offset:         56
        .size:           4
        .value_kind:     by_value
    .group_segment_fixed_size: 0
    .kernarg_segment_align: 8
    .kernarg_segment_size: 60
    .language:       OpenCL C
    .language_version:
      - 2
      - 0
    .max_flat_workgroup_size: 512
    .name:           _ZN9rocsparseL23sddmm_csx_sample_kernelILi512ELi8EL20rocsparse_direction_1E21rocsparse_complex_numIfEliS3_EEvT4_S4_T3_PKT5_S4_PS6_PKS5_PKS4_21rocsparse_index_base_
    .private_segment_fixed_size: 0
    .sgpr_count:     16
    .sgpr_spill_count: 0
    .symbol:         _ZN9rocsparseL23sddmm_csx_sample_kernelILi512ELi8EL20rocsparse_direction_1E21rocsparse_complex_numIfEliS3_EEvT4_S4_T3_PKT5_S4_PS6_PKS5_PKS4_21rocsparse_index_base_.kd
    .uniform_work_group_size: 1
    .uses_dynamic_stack: false
    .vgpr_count:     12
    .vgpr_spill_count: 0
    .wavefront_size: 64
  - .agpr_count:     0
    .args:
      - .offset:         0
        .size:           4
        .value_kind:     by_value
      - .offset:         4
        .size:           4
        .value_kind:     by_value
      - .offset:         8
        .size:           8
        .value_kind:     by_value
      - .actual_access:  read_only
        .address_space:  global
        .offset:         16
        .size:           8
        .value_kind:     global_buffer
      - .offset:         24
        .size:           4
        .value_kind:     by_value
      - .actual_access:  write_only
        .address_space:  global
        .offset:         32
        .size:           8
        .value_kind:     global_buffer
      - .actual_access:  read_only
        .address_space:  global
        .offset:         40
        .size:           8
        .value_kind:     global_buffer
      - .actual_access:  read_only
        .address_space:  global
        .offset:         48
        .size:           8
        .value_kind:     global_buffer
      - .offset:         56
        .size:           4
        .value_kind:     by_value
    .group_segment_fixed_size: 0
    .kernarg_segment_align: 8
    .kernarg_segment_size: 60
    .language:       OpenCL C
    .language_version:
      - 2
      - 0
    .max_flat_workgroup_size: 512
    .name:           _ZN9rocsparseL23sddmm_csx_sample_kernelILi512ELi4EL20rocsparse_direction_1E21rocsparse_complex_numIfEliS3_EEvT4_S4_T3_PKT5_S4_PS6_PKS5_PKS4_21rocsparse_index_base_
    .private_segment_fixed_size: 0
    .sgpr_count:     16
    .sgpr_spill_count: 0
    .symbol:         _ZN9rocsparseL23sddmm_csx_sample_kernelILi512ELi4EL20rocsparse_direction_1E21rocsparse_complex_numIfEliS3_EEvT4_S4_T3_PKT5_S4_PS6_PKS5_PKS4_21rocsparse_index_base_.kd
    .uniform_work_group_size: 1
    .uses_dynamic_stack: false
    .vgpr_count:     12
    .vgpr_spill_count: 0
    .wavefront_size: 64
  - .agpr_count:     0
    .args:
      - .offset:         0
        .size:           4
        .value_kind:     by_value
      - .offset:         4
        .size:           4
        .value_kind:     by_value
      - .offset:         8
        .size:           8
        .value_kind:     by_value
      - .actual_access:  read_only
        .address_space:  global
        .offset:         16
        .size:           8
        .value_kind:     global_buffer
      - .offset:         24
        .size:           4
        .value_kind:     by_value
      - .actual_access:  write_only
        .address_space:  global
        .offset:         32
        .size:           8
        .value_kind:     global_buffer
      - .actual_access:  read_only
        .address_space:  global
        .offset:         40
        .size:           8
        .value_kind:     global_buffer
      - .actual_access:  read_only
        .address_space:  global
        .offset:         48
        .size:           8
        .value_kind:     global_buffer
      - .offset:         56
        .size:           4
        .value_kind:     by_value
    .group_segment_fixed_size: 0
    .kernarg_segment_align: 8
    .kernarg_segment_size: 60
    .language:       OpenCL C
    .language_version:
      - 2
      - 0
    .max_flat_workgroup_size: 512
    .name:           _ZN9rocsparseL23sddmm_csx_sample_kernelILi512ELi2EL20rocsparse_direction_1E21rocsparse_complex_numIfEliS3_EEvT4_S4_T3_PKT5_S4_PS6_PKS5_PKS4_21rocsparse_index_base_
    .private_segment_fixed_size: 0
    .sgpr_count:     16
    .sgpr_spill_count: 0
    .symbol:         _ZN9rocsparseL23sddmm_csx_sample_kernelILi512ELi2EL20rocsparse_direction_1E21rocsparse_complex_numIfEliS3_EEvT4_S4_T3_PKT5_S4_PS6_PKS5_PKS4_21rocsparse_index_base_.kd
    .uniform_work_group_size: 1
    .uses_dynamic_stack: false
    .vgpr_count:     12
    .vgpr_spill_count: 0
    .wavefront_size: 64
  - .agpr_count:     0
    .args:
      - .offset:         0
        .size:           4
        .value_kind:     by_value
      - .offset:         4
        .size:           4
        .value_kind:     by_value
      - .offset:         8
        .size:           8
        .value_kind:     by_value
      - .actual_access:  read_only
        .address_space:  global
        .offset:         16
        .size:           8
        .value_kind:     global_buffer
      - .offset:         24
        .size:           4
        .value_kind:     by_value
      - .actual_access:  write_only
        .address_space:  global
        .offset:         32
        .size:           8
        .value_kind:     global_buffer
      - .actual_access:  read_only
        .address_space:  global
        .offset:         40
        .size:           8
        .value_kind:     global_buffer
      - .actual_access:  read_only
        .address_space:  global
        .offset:         48
        .size:           8
        .value_kind:     global_buffer
      - .offset:         56
        .size:           4
        .value_kind:     by_value
    .group_segment_fixed_size: 0
    .kernarg_segment_align: 8
    .kernarg_segment_size: 60
    .language:       OpenCL C
    .language_version:
      - 2
      - 0
    .max_flat_workgroup_size: 512
    .name:           _ZN9rocsparseL23sddmm_csx_sample_kernelILi512ELi1EL20rocsparse_direction_1E21rocsparse_complex_numIfEliS3_EEvT4_S4_T3_PKT5_S4_PS6_PKS5_PKS4_21rocsparse_index_base_
    .private_segment_fixed_size: 0
    .sgpr_count:     17
    .sgpr_spill_count: 0
    .symbol:         _ZN9rocsparseL23sddmm_csx_sample_kernelILi512ELi1EL20rocsparse_direction_1E21rocsparse_complex_numIfEliS3_EEvT4_S4_T3_PKT5_S4_PS6_PKS5_PKS4_21rocsparse_index_base_.kd
    .uniform_work_group_size: 1
    .uses_dynamic_stack: false
    .vgpr_count:     12
    .vgpr_spill_count: 0
    .wavefront_size: 64
  - .agpr_count:     0
    .args:
      - .offset:         0
        .size:           4
        .value_kind:     by_value
      - .offset:         4
        .size:           4
        .value_kind:     by_value
      - .offset:         8
        .size:           4
        .value_kind:     by_value
      - .offset:         12
        .size:           4
        .value_kind:     by_value
      - .offset:         16
        .size:           4
        .value_kind:     by_value
      - .offset:         20
        .size:           4
        .value_kind:     by_value
      - .offset:         24
        .size:           4
        .value_kind:     by_value
      - .offset:         32
        .size:           8
        .value_kind:     by_value
      - .offset:         40
        .size:           8
        .value_kind:     by_value
      - .actual_access:  read_only
        .address_space:  global
        .offset:         48
        .size:           8
        .value_kind:     global_buffer
      - .offset:         56
        .size:           8
        .value_kind:     by_value
      - .actual_access:  read_only
        .address_space:  global
        .offset:         64
        .size:           8
        .value_kind:     global_buffer
      - .offset:         72
        .size:           8
        .value_kind:     by_value
      - .offset:         80
        .size:           8
        .value_kind:     by_value
      - .address_space:  global
        .offset:         88
        .size:           8
        .value_kind:     global_buffer
      - .actual_access:  read_only
        .address_space:  global
        .offset:         96
        .size:           8
        .value_kind:     global_buffer
      - .actual_access:  read_only
        .address_space:  global
        .offset:         104
        .size:           8
        .value_kind:     global_buffer
      - .offset:         112
        .size:           4
        .value_kind:     by_value
      - .offset:         116
        .size:           1
        .value_kind:     by_value
    .group_segment_fixed_size: 4096
    .kernarg_segment_align: 8
    .kernarg_segment_size: 120
    .language:       OpenCL C
    .language_version:
      - 2
      - 0
    .max_flat_workgroup_size: 512
    .name:           _ZN9rocsparseL16sddmm_csx_kernelILi512ELi8EL20rocsparse_direction_0E21rocsparse_complex_numIfEliS3_S3_S3_EEv20rocsparse_operation_S4_16rocsparse_order_S5_T4_S6_S6_T3_NS_24const_host_device_scalarIT2_EEPKT5_lPKT6_lSA_PT7_PKS7_PKS6_21rocsparse_index_base_b
    .private_segment_fixed_size: 0
    .sgpr_count:     38
    .sgpr_spill_count: 0
    .symbol:         _ZN9rocsparseL16sddmm_csx_kernelILi512ELi8EL20rocsparse_direction_0E21rocsparse_complex_numIfEliS3_S3_S3_EEv20rocsparse_operation_S4_16rocsparse_order_S5_T4_S6_S6_T3_NS_24const_host_device_scalarIT2_EEPKT5_lPKT6_lSA_PT7_PKS7_PKS6_21rocsparse_index_base_b.kd
    .uniform_work_group_size: 1
    .uses_dynamic_stack: false
    .vgpr_count:     32
    .vgpr_spill_count: 0
    .wavefront_size: 64
  - .agpr_count:     0
    .args:
      - .offset:         0
        .size:           4
        .value_kind:     by_value
      - .offset:         4
        .size:           4
        .value_kind:     by_value
      - .offset:         8
        .size:           4
        .value_kind:     by_value
      - .offset:         12
        .size:           4
        .value_kind:     by_value
      - .offset:         16
        .size:           4
        .value_kind:     by_value
      - .offset:         20
        .size:           4
        .value_kind:     by_value
      - .offset:         24
        .size:           4
        .value_kind:     by_value
      - .offset:         32
        .size:           8
        .value_kind:     by_value
      - .offset:         40
        .size:           8
        .value_kind:     by_value
      - .actual_access:  read_only
        .address_space:  global
        .offset:         48
        .size:           8
        .value_kind:     global_buffer
      - .offset:         56
        .size:           8
        .value_kind:     by_value
      - .actual_access:  read_only
        .address_space:  global
        .offset:         64
        .size:           8
        .value_kind:     global_buffer
      - .offset:         72
        .size:           8
        .value_kind:     by_value
      - .offset:         80
        .size:           8
        .value_kind:     by_value
      - .address_space:  global
        .offset:         88
        .size:           8
        .value_kind:     global_buffer
      - .actual_access:  read_only
        .address_space:  global
        .offset:         96
        .size:           8
        .value_kind:     global_buffer
      - .actual_access:  read_only
        .address_space:  global
        .offset:         104
        .size:           8
        .value_kind:     global_buffer
      - .offset:         112
        .size:           4
        .value_kind:     by_value
      - .offset:         116
        .size:           1
        .value_kind:     by_value
    .group_segment_fixed_size: 4096
    .kernarg_segment_align: 8
    .kernarg_segment_size: 120
    .language:       OpenCL C
    .language_version:
      - 2
      - 0
    .max_flat_workgroup_size: 512
    .name:           _ZN9rocsparseL16sddmm_csx_kernelILi512ELi4EL20rocsparse_direction_0E21rocsparse_complex_numIfEliS3_S3_S3_EEv20rocsparse_operation_S4_16rocsparse_order_S5_T4_S6_S6_T3_NS_24const_host_device_scalarIT2_EEPKT5_lPKT6_lSA_PT7_PKS7_PKS6_21rocsparse_index_base_b
    .private_segment_fixed_size: 0
    .sgpr_count:     36
    .sgpr_spill_count: 0
    .symbol:         _ZN9rocsparseL16sddmm_csx_kernelILi512ELi4EL20rocsparse_direction_0E21rocsparse_complex_numIfEliS3_S3_S3_EEv20rocsparse_operation_S4_16rocsparse_order_S5_T4_S6_S6_T3_NS_24const_host_device_scalarIT2_EEPKT5_lPKT6_lSA_PT7_PKS7_PKS6_21rocsparse_index_base_b.kd
    .uniform_work_group_size: 1
    .uses_dynamic_stack: false
    .vgpr_count:     32
    .vgpr_spill_count: 0
    .wavefront_size: 64
  - .agpr_count:     0
    .args:
      - .offset:         0
        .size:           4
        .value_kind:     by_value
      - .offset:         4
        .size:           4
        .value_kind:     by_value
      - .offset:         8
        .size:           4
        .value_kind:     by_value
      - .offset:         12
        .size:           4
        .value_kind:     by_value
      - .offset:         16
        .size:           4
        .value_kind:     by_value
      - .offset:         20
        .size:           4
        .value_kind:     by_value
      - .offset:         24
        .size:           4
        .value_kind:     by_value
      - .offset:         32
        .size:           8
        .value_kind:     by_value
      - .offset:         40
        .size:           8
        .value_kind:     by_value
      - .actual_access:  read_only
        .address_space:  global
        .offset:         48
        .size:           8
        .value_kind:     global_buffer
      - .offset:         56
        .size:           8
        .value_kind:     by_value
      - .actual_access:  read_only
        .address_space:  global
        .offset:         64
        .size:           8
        .value_kind:     global_buffer
      - .offset:         72
        .size:           8
        .value_kind:     by_value
      - .offset:         80
        .size:           8
        .value_kind:     by_value
      - .address_space:  global
        .offset:         88
        .size:           8
        .value_kind:     global_buffer
      - .actual_access:  read_only
        .address_space:  global
        .offset:         96
        .size:           8
        .value_kind:     global_buffer
      - .actual_access:  read_only
        .address_space:  global
        .offset:         104
        .size:           8
        .value_kind:     global_buffer
      - .offset:         112
        .size:           4
        .value_kind:     by_value
      - .offset:         116
        .size:           1
        .value_kind:     by_value
    .group_segment_fixed_size: 4096
    .kernarg_segment_align: 8
    .kernarg_segment_size: 120
    .language:       OpenCL C
    .language_version:
      - 2
      - 0
    .max_flat_workgroup_size: 512
    .name:           _ZN9rocsparseL16sddmm_csx_kernelILi512ELi2EL20rocsparse_direction_0E21rocsparse_complex_numIfEliS3_S3_S3_EEv20rocsparse_operation_S4_16rocsparse_order_S5_T4_S6_S6_T3_NS_24const_host_device_scalarIT2_EEPKT5_lPKT6_lSA_PT7_PKS7_PKS6_21rocsparse_index_base_b
    .private_segment_fixed_size: 0
    .sgpr_count:     34
    .sgpr_spill_count: 0
    .symbol:         _ZN9rocsparseL16sddmm_csx_kernelILi512ELi2EL20rocsparse_direction_0E21rocsparse_complex_numIfEliS3_S3_S3_EEv20rocsparse_operation_S4_16rocsparse_order_S5_T4_S6_S6_T3_NS_24const_host_device_scalarIT2_EEPKT5_lPKT6_lSA_PT7_PKS7_PKS6_21rocsparse_index_base_b.kd
    .uniform_work_group_size: 1
    .uses_dynamic_stack: false
    .vgpr_count:     32
    .vgpr_spill_count: 0
    .wavefront_size: 64
  - .agpr_count:     0
    .args:
      - .offset:         0
        .size:           4
        .value_kind:     by_value
      - .offset:         4
        .size:           4
        .value_kind:     by_value
      - .offset:         8
        .size:           4
        .value_kind:     by_value
      - .offset:         12
        .size:           4
        .value_kind:     by_value
      - .offset:         16
        .size:           4
        .value_kind:     by_value
      - .offset:         20
        .size:           4
        .value_kind:     by_value
      - .offset:         24
        .size:           4
        .value_kind:     by_value
      - .offset:         32
        .size:           8
        .value_kind:     by_value
      - .offset:         40
        .size:           8
        .value_kind:     by_value
      - .actual_access:  read_only
        .address_space:  global
        .offset:         48
        .size:           8
        .value_kind:     global_buffer
      - .offset:         56
        .size:           8
        .value_kind:     by_value
      - .actual_access:  read_only
        .address_space:  global
        .offset:         64
        .size:           8
        .value_kind:     global_buffer
      - .offset:         72
        .size:           8
        .value_kind:     by_value
      - .offset:         80
        .size:           8
        .value_kind:     by_value
      - .address_space:  global
        .offset:         88
        .size:           8
        .value_kind:     global_buffer
      - .actual_access:  read_only
        .address_space:  global
        .offset:         96
        .size:           8
        .value_kind:     global_buffer
      - .actual_access:  read_only
        .address_space:  global
        .offset:         104
        .size:           8
        .value_kind:     global_buffer
      - .offset:         112
        .size:           4
        .value_kind:     by_value
      - .offset:         116
        .size:           1
        .value_kind:     by_value
    .group_segment_fixed_size: 4096
    .kernarg_segment_align: 8
    .kernarg_segment_size: 120
    .language:       OpenCL C
    .language_version:
      - 2
      - 0
    .max_flat_workgroup_size: 512
    .name:           _ZN9rocsparseL16sddmm_csx_kernelILi512ELi1EL20rocsparse_direction_0E21rocsparse_complex_numIfEliS3_S3_S3_EEv20rocsparse_operation_S4_16rocsparse_order_S5_T4_S6_S6_T3_NS_24const_host_device_scalarIT2_EEPKT5_lPKT6_lSA_PT7_PKS7_PKS6_21rocsparse_index_base_b
    .private_segment_fixed_size: 0
    .sgpr_count:     32
    .sgpr_spill_count: 0
    .symbol:         _ZN9rocsparseL16sddmm_csx_kernelILi512ELi1EL20rocsparse_direction_0E21rocsparse_complex_numIfEliS3_S3_S3_EEv20rocsparse_operation_S4_16rocsparse_order_S5_T4_S6_S6_T3_NS_24const_host_device_scalarIT2_EEPKT5_lPKT6_lSA_PT7_PKS7_PKS6_21rocsparse_index_base_b.kd
    .uniform_work_group_size: 1
    .uses_dynamic_stack: false
    .vgpr_count:     28
    .vgpr_spill_count: 0
    .wavefront_size: 64
  - .agpr_count:     0
    .args:
      - .offset:         0
        .size:           4
        .value_kind:     by_value
      - .offset:         4
        .size:           4
        .value_kind:     by_value
      - .offset:         8
        .size:           4
        .value_kind:     by_value
      - .actual_access:  read_only
        .address_space:  global
        .offset:         16
        .size:           8
        .value_kind:     global_buffer
      - .actual_access:  read_only
        .address_space:  global
        .offset:         24
        .size:           8
        .value_kind:     global_buffer
      - .actual_access:  read_only
        .address_space:  global
        .offset:         32
        .size:           8
        .value_kind:     global_buffer
      - .actual_access:  write_only
        .address_space:  global
        .offset:         40
        .size:           8
        .value_kind:     global_buffer
      - .offset:         48
        .size:           8
        .value_kind:     by_value
      - .offset:         56
        .size:           4
        .value_kind:     by_value
    .group_segment_fixed_size: 0
    .kernarg_segment_align: 8
    .kernarg_segment_size: 60
    .language:       OpenCL C
    .language_version:
      - 2
      - 0
    .max_flat_workgroup_size: 512
    .name:           _ZN9rocsparseL16csr2dense_kernelILi16ELi32Eli21rocsparse_complex_numIdEEEviT2_S3_PKT3_PKT1_PKS3_PS4_l16rocsparse_order_
    .private_segment_fixed_size: 0
    .sgpr_count:     21
    .sgpr_spill_count: 0
    .symbol:         _ZN9rocsparseL16csr2dense_kernelILi16ELi32Eli21rocsparse_complex_numIdEEEviT2_S3_PKT3_PKT1_PKS3_PS4_l16rocsparse_order_.kd
    .uniform_work_group_size: 1
    .uses_dynamic_stack: false
    .vgpr_count:     18
    .vgpr_spill_count: 0
    .wavefront_size: 64
  - .agpr_count:     0
    .args:
      - .offset:         0
        .size:           4
        .value_kind:     by_value
      - .offset:         4
        .size:           4
        .value_kind:     by_value
      - .offset:         8
        .size:           4
        .value_kind:     by_value
      - .actual_access:  read_only
        .address_space:  global
        .offset:         16
        .size:           8
        .value_kind:     global_buffer
      - .actual_access:  read_only
        .address_space:  global
        .offset:         24
        .size:           8
        .value_kind:     global_buffer
      - .actual_access:  read_only
        .address_space:  global
        .offset:         32
        .size:           8
        .value_kind:     global_buffer
      - .actual_access:  write_only
        .address_space:  global
        .offset:         40
        .size:           8
        .value_kind:     global_buffer
      - .offset:         48
        .size:           8
        .value_kind:     by_value
      - .offset:         56
        .size:           4
        .value_kind:     by_value
    .group_segment_fixed_size: 0
    .kernarg_segment_align: 8
    .kernarg_segment_size: 60
    .language:       OpenCL C
    .language_version:
      - 2
      - 0
    .max_flat_workgroup_size: 1024
    .name:           _ZN9rocsparseL16csr2dense_kernelILi16ELi64Eli21rocsparse_complex_numIdEEEviT2_S3_PKT3_PKT1_PKS3_PS4_l16rocsparse_order_
    .private_segment_fixed_size: 0
    .sgpr_count:     21
    .sgpr_spill_count: 0
    .symbol:         _ZN9rocsparseL16csr2dense_kernelILi16ELi64Eli21rocsparse_complex_numIdEEEviT2_S3_PKT3_PKT1_PKS3_PS4_l16rocsparse_order_.kd
    .uniform_work_group_size: 1
    .uses_dynamic_stack: false
    .vgpr_count:     18
    .vgpr_spill_count: 0
    .wavefront_size: 64
  - .agpr_count:     0
    .args:
      - .offset:         0
        .size:           4
        .value_kind:     by_value
      - .offset:         4
        .size:           4
        .value_kind:     by_value
      - .offset:         8
        .size:           4
        .value_kind:     by_value
      - .actual_access:  read_only
        .address_space:  global
        .offset:         16
        .size:           8
        .value_kind:     global_buffer
      - .actual_access:  read_only
        .address_space:  global
        .offset:         24
        .size:           8
        .value_kind:     global_buffer
      - .actual_access:  read_only
        .address_space:  global
        .offset:         32
        .size:           8
        .value_kind:     global_buffer
      - .actual_access:  write_only
        .address_space:  global
        .offset:         40
        .size:           8
        .value_kind:     global_buffer
      - .offset:         48
        .size:           8
        .value_kind:     by_value
      - .offset:         56
        .size:           4
        .value_kind:     by_value
    .group_segment_fixed_size: 0
    .kernarg_segment_align: 8
    .kernarg_segment_size: 60
    .language:       OpenCL C
    .language_version:
      - 2
      - 0
    .max_flat_workgroup_size: 512
    .name:           _ZN9rocsparseL16csc2dense_kernelILi16ELi32Eli21rocsparse_complex_numIdEEEviT2_S3_PKT3_PKT1_PKS3_PS4_l16rocsparse_order_
    .private_segment_fixed_size: 0
    .sgpr_count:     20
    .sgpr_spill_count: 0
    .symbol:         _ZN9rocsparseL16csc2dense_kernelILi16ELi32Eli21rocsparse_complex_numIdEEEviT2_S3_PKT3_PKT1_PKS3_PS4_l16rocsparse_order_.kd
    .uniform_work_group_size: 1
    .uses_dynamic_stack: false
    .vgpr_count:     18
    .vgpr_spill_count: 0
    .wavefront_size: 64
  - .agpr_count:     0
    .args:
      - .offset:         0
        .size:           4
        .value_kind:     by_value
      - .offset:         4
        .size:           4
        .value_kind:     by_value
      - .offset:         8
        .size:           4
        .value_kind:     by_value
      - .actual_access:  read_only
        .address_space:  global
        .offset:         16
        .size:           8
        .value_kind:     global_buffer
      - .actual_access:  read_only
        .address_space:  global
        .offset:         24
        .size:           8
        .value_kind:     global_buffer
      - .actual_access:  read_only
        .address_space:  global
        .offset:         32
        .size:           8
        .value_kind:     global_buffer
      - .actual_access:  write_only
        .address_space:  global
        .offset:         40
        .size:           8
        .value_kind:     global_buffer
      - .offset:         48
        .size:           8
        .value_kind:     by_value
      - .offset:         56
        .size:           4
        .value_kind:     by_value
    .group_segment_fixed_size: 0
    .kernarg_segment_align: 8
    .kernarg_segment_size: 60
    .language:       OpenCL C
    .language_version:
      - 2
      - 0
    .max_flat_workgroup_size: 1024
    .name:           _ZN9rocsparseL16csc2dense_kernelILi16ELi64Eli21rocsparse_complex_numIdEEEviT2_S3_PKT3_PKT1_PKS3_PS4_l16rocsparse_order_
    .private_segment_fixed_size: 0
    .sgpr_count:     20
    .sgpr_spill_count: 0
    .symbol:         _ZN9rocsparseL16csc2dense_kernelILi16ELi64Eli21rocsparse_complex_numIdEEEviT2_S3_PKT3_PKT1_PKS3_PS4_l16rocsparse_order_.kd
    .uniform_work_group_size: 1
    .uses_dynamic_stack: false
    .vgpr_count:     18
    .vgpr_spill_count: 0
    .wavefront_size: 64
  - .agpr_count:     0
    .args:
      - .offset:         0
        .size:           4
        .value_kind:     by_value
      - .offset:         4
        .size:           4
        .value_kind:     by_value
      - .offset:         8
        .size:           8
        .value_kind:     by_value
      - .actual_access:  read_only
        .address_space:  global
        .offset:         16
        .size:           8
        .value_kind:     global_buffer
      - .offset:         24
        .size:           4
        .value_kind:     by_value
      - .actual_access:  write_only
        .address_space:  global
        .offset:         32
        .size:           8
        .value_kind:     global_buffer
      - .actual_access:  read_only
        .address_space:  global
        .offset:         40
        .size:           8
        .value_kind:     global_buffer
      - .actual_access:  read_only
        .address_space:  global
        .offset:         48
        .size:           8
        .value_kind:     global_buffer
      - .offset:         56
        .size:           4
        .value_kind:     by_value
    .group_segment_fixed_size: 0
    .kernarg_segment_align: 8
    .kernarg_segment_size: 60
    .language:       OpenCL C
    .language_version:
      - 2
      - 0
    .max_flat_workgroup_size: 512
    .name:           _ZN9rocsparseL23sddmm_csx_sample_kernelILi512ELi64EL20rocsparse_direction_1E21rocsparse_complex_numIdEliS3_EEvT4_S4_T3_PKT5_S4_PS6_PKS5_PKS4_21rocsparse_index_base_
    .private_segment_fixed_size: 0
    .sgpr_count:     16
    .sgpr_spill_count: 0
    .symbol:         _ZN9rocsparseL23sddmm_csx_sample_kernelILi512ELi64EL20rocsparse_direction_1E21rocsparse_complex_numIdEliS3_EEvT4_S4_T3_PKT5_S4_PS6_PKS5_PKS4_21rocsparse_index_base_.kd
    .uniform_work_group_size: 1
    .uses_dynamic_stack: false
    .vgpr_count:     14
    .vgpr_spill_count: 0
    .wavefront_size: 64
  - .agpr_count:     0
    .args:
      - .offset:         0
        .size:           4
        .value_kind:     by_value
      - .offset:         4
        .size:           4
        .value_kind:     by_value
      - .offset:         8
        .size:           8
        .value_kind:     by_value
      - .actual_access:  read_only
        .address_space:  global
        .offset:         16
        .size:           8
        .value_kind:     global_buffer
      - .offset:         24
        .size:           4
        .value_kind:     by_value
      - .actual_access:  write_only
        .address_space:  global
        .offset:         32
        .size:           8
        .value_kind:     global_buffer
      - .actual_access:  read_only
        .address_space:  global
        .offset:         40
        .size:           8
        .value_kind:     global_buffer
      - .actual_access:  read_only
        .address_space:  global
        .offset:         48
        .size:           8
        .value_kind:     global_buffer
      - .offset:         56
        .size:           4
        .value_kind:     by_value
    .group_segment_fixed_size: 0
    .kernarg_segment_align: 8
    .kernarg_segment_size: 60
    .language:       OpenCL C
    .language_version:
      - 2
      - 0
    .max_flat_workgroup_size: 512
    .name:           _ZN9rocsparseL23sddmm_csx_sample_kernelILi512ELi32EL20rocsparse_direction_1E21rocsparse_complex_numIdEliS3_EEvT4_S4_T3_PKT5_S4_PS6_PKS5_PKS4_21rocsparse_index_base_
    .private_segment_fixed_size: 0
    .sgpr_count:     16
    .sgpr_spill_count: 0
    .symbol:         _ZN9rocsparseL23sddmm_csx_sample_kernelILi512ELi32EL20rocsparse_direction_1E21rocsparse_complex_numIdEliS3_EEvT4_S4_T3_PKT5_S4_PS6_PKS5_PKS4_21rocsparse_index_base_.kd
    .uniform_work_group_size: 1
    .uses_dynamic_stack: false
    .vgpr_count:     14
    .vgpr_spill_count: 0
    .wavefront_size: 64
  - .agpr_count:     0
    .args:
      - .offset:         0
        .size:           4
        .value_kind:     by_value
      - .offset:         4
        .size:           4
        .value_kind:     by_value
      - .offset:         8
        .size:           8
        .value_kind:     by_value
      - .actual_access:  read_only
        .address_space:  global
        .offset:         16
        .size:           8
        .value_kind:     global_buffer
      - .offset:         24
        .size:           4
        .value_kind:     by_value
      - .actual_access:  write_only
        .address_space:  global
        .offset:         32
        .size:           8
        .value_kind:     global_buffer
      - .actual_access:  read_only
        .address_space:  global
        .offset:         40
        .size:           8
        .value_kind:     global_buffer
      - .actual_access:  read_only
        .address_space:  global
        .offset:         48
        .size:           8
        .value_kind:     global_buffer
      - .offset:         56
        .size:           4
        .value_kind:     by_value
    .group_segment_fixed_size: 0
    .kernarg_segment_align: 8
    .kernarg_segment_size: 60
    .language:       OpenCL C
    .language_version:
      - 2
      - 0
    .max_flat_workgroup_size: 512
    .name:           _ZN9rocsparseL23sddmm_csx_sample_kernelILi512ELi16EL20rocsparse_direction_1E21rocsparse_complex_numIdEliS3_EEvT4_S4_T3_PKT5_S4_PS6_PKS5_PKS4_21rocsparse_index_base_
    .private_segment_fixed_size: 0
    .sgpr_count:     16
    .sgpr_spill_count: 0
    .symbol:         _ZN9rocsparseL23sddmm_csx_sample_kernelILi512ELi16EL20rocsparse_direction_1E21rocsparse_complex_numIdEliS3_EEvT4_S4_T3_PKT5_S4_PS6_PKS5_PKS4_21rocsparse_index_base_.kd
    .uniform_work_group_size: 1
    .uses_dynamic_stack: false
    .vgpr_count:     14
    .vgpr_spill_count: 0
    .wavefront_size: 64
  - .agpr_count:     0
    .args:
      - .offset:         0
        .size:           4
        .value_kind:     by_value
      - .offset:         4
        .size:           4
        .value_kind:     by_value
      - .offset:         8
        .size:           8
        .value_kind:     by_value
      - .actual_access:  read_only
        .address_space:  global
        .offset:         16
        .size:           8
        .value_kind:     global_buffer
      - .offset:         24
        .size:           4
        .value_kind:     by_value
      - .actual_access:  write_only
        .address_space:  global
        .offset:         32
        .size:           8
        .value_kind:     global_buffer
      - .actual_access:  read_only
        .address_space:  global
        .offset:         40
        .size:           8
        .value_kind:     global_buffer
      - .actual_access:  read_only
        .address_space:  global
        .offset:         48
        .size:           8
        .value_kind:     global_buffer
      - .offset:         56
        .size:           4
        .value_kind:     by_value
    .group_segment_fixed_size: 0
    .kernarg_segment_align: 8
    .kernarg_segment_size: 60
    .language:       OpenCL C
    .language_version:
      - 2
      - 0
    .max_flat_workgroup_size: 512
    .name:           _ZN9rocsparseL23sddmm_csx_sample_kernelILi512ELi8EL20rocsparse_direction_1E21rocsparse_complex_numIdEliS3_EEvT4_S4_T3_PKT5_S4_PS6_PKS5_PKS4_21rocsparse_index_base_
    .private_segment_fixed_size: 0
    .sgpr_count:     16
    .sgpr_spill_count: 0
    .symbol:         _ZN9rocsparseL23sddmm_csx_sample_kernelILi512ELi8EL20rocsparse_direction_1E21rocsparse_complex_numIdEliS3_EEvT4_S4_T3_PKT5_S4_PS6_PKS5_PKS4_21rocsparse_index_base_.kd
    .uniform_work_group_size: 1
    .uses_dynamic_stack: false
    .vgpr_count:     14
    .vgpr_spill_count: 0
    .wavefront_size: 64
  - .agpr_count:     0
    .args:
      - .offset:         0
        .size:           4
        .value_kind:     by_value
      - .offset:         4
        .size:           4
        .value_kind:     by_value
      - .offset:         8
        .size:           8
        .value_kind:     by_value
      - .actual_access:  read_only
        .address_space:  global
        .offset:         16
        .size:           8
        .value_kind:     global_buffer
      - .offset:         24
        .size:           4
        .value_kind:     by_value
      - .actual_access:  write_only
        .address_space:  global
        .offset:         32
        .size:           8
        .value_kind:     global_buffer
      - .actual_access:  read_only
        .address_space:  global
        .offset:         40
        .size:           8
        .value_kind:     global_buffer
      - .actual_access:  read_only
        .address_space:  global
        .offset:         48
        .size:           8
        .value_kind:     global_buffer
      - .offset:         56
        .size:           4
        .value_kind:     by_value
    .group_segment_fixed_size: 0
    .kernarg_segment_align: 8
    .kernarg_segment_size: 60
    .language:       OpenCL C
    .language_version:
      - 2
      - 0
    .max_flat_workgroup_size: 512
    .name:           _ZN9rocsparseL23sddmm_csx_sample_kernelILi512ELi4EL20rocsparse_direction_1E21rocsparse_complex_numIdEliS3_EEvT4_S4_T3_PKT5_S4_PS6_PKS5_PKS4_21rocsparse_index_base_
    .private_segment_fixed_size: 0
    .sgpr_count:     16
    .sgpr_spill_count: 0
    .symbol:         _ZN9rocsparseL23sddmm_csx_sample_kernelILi512ELi4EL20rocsparse_direction_1E21rocsparse_complex_numIdEliS3_EEvT4_S4_T3_PKT5_S4_PS6_PKS5_PKS4_21rocsparse_index_base_.kd
    .uniform_work_group_size: 1
    .uses_dynamic_stack: false
    .vgpr_count:     14
    .vgpr_spill_count: 0
    .wavefront_size: 64
  - .agpr_count:     0
    .args:
      - .offset:         0
        .size:           4
        .value_kind:     by_value
      - .offset:         4
        .size:           4
        .value_kind:     by_value
      - .offset:         8
        .size:           8
        .value_kind:     by_value
      - .actual_access:  read_only
        .address_space:  global
        .offset:         16
        .size:           8
        .value_kind:     global_buffer
      - .offset:         24
        .size:           4
        .value_kind:     by_value
      - .actual_access:  write_only
        .address_space:  global
        .offset:         32
        .size:           8
        .value_kind:     global_buffer
      - .actual_access:  read_only
        .address_space:  global
        .offset:         40
        .size:           8
        .value_kind:     global_buffer
      - .actual_access:  read_only
        .address_space:  global
        .offset:         48
        .size:           8
        .value_kind:     global_buffer
      - .offset:         56
        .size:           4
        .value_kind:     by_value
    .group_segment_fixed_size: 0
    .kernarg_segment_align: 8
    .kernarg_segment_size: 60
    .language:       OpenCL C
    .language_version:
      - 2
      - 0
    .max_flat_workgroup_size: 512
    .name:           _ZN9rocsparseL23sddmm_csx_sample_kernelILi512ELi2EL20rocsparse_direction_1E21rocsparse_complex_numIdEliS3_EEvT4_S4_T3_PKT5_S4_PS6_PKS5_PKS4_21rocsparse_index_base_
    .private_segment_fixed_size: 0
    .sgpr_count:     16
    .sgpr_spill_count: 0
    .symbol:         _ZN9rocsparseL23sddmm_csx_sample_kernelILi512ELi2EL20rocsparse_direction_1E21rocsparse_complex_numIdEliS3_EEvT4_S4_T3_PKT5_S4_PS6_PKS5_PKS4_21rocsparse_index_base_.kd
    .uniform_work_group_size: 1
    .uses_dynamic_stack: false
    .vgpr_count:     14
    .vgpr_spill_count: 0
    .wavefront_size: 64
  - .agpr_count:     0
    .args:
      - .offset:         0
        .size:           4
        .value_kind:     by_value
      - .offset:         4
        .size:           4
        .value_kind:     by_value
      - .offset:         8
        .size:           8
        .value_kind:     by_value
      - .actual_access:  read_only
        .address_space:  global
        .offset:         16
        .size:           8
        .value_kind:     global_buffer
      - .offset:         24
        .size:           4
        .value_kind:     by_value
      - .actual_access:  write_only
        .address_space:  global
        .offset:         32
        .size:           8
        .value_kind:     global_buffer
      - .actual_access:  read_only
        .address_space:  global
        .offset:         40
        .size:           8
        .value_kind:     global_buffer
      - .actual_access:  read_only
        .address_space:  global
        .offset:         48
        .size:           8
        .value_kind:     global_buffer
      - .offset:         56
        .size:           4
        .value_kind:     by_value
    .group_segment_fixed_size: 0
    .kernarg_segment_align: 8
    .kernarg_segment_size: 60
    .language:       OpenCL C
    .language_version:
      - 2
      - 0
    .max_flat_workgroup_size: 512
    .name:           _ZN9rocsparseL23sddmm_csx_sample_kernelILi512ELi1EL20rocsparse_direction_1E21rocsparse_complex_numIdEliS3_EEvT4_S4_T3_PKT5_S4_PS6_PKS5_PKS4_21rocsparse_index_base_
    .private_segment_fixed_size: 0
    .sgpr_count:     17
    .sgpr_spill_count: 0
    .symbol:         _ZN9rocsparseL23sddmm_csx_sample_kernelILi512ELi1EL20rocsparse_direction_1E21rocsparse_complex_numIdEliS3_EEvT4_S4_T3_PKT5_S4_PS6_PKS5_PKS4_21rocsparse_index_base_.kd
    .uniform_work_group_size: 1
    .uses_dynamic_stack: false
    .vgpr_count:     14
    .vgpr_spill_count: 0
    .wavefront_size: 64
  - .agpr_count:     0
    .args:
      - .offset:         0
        .size:           4
        .value_kind:     by_value
      - .offset:         4
        .size:           4
        .value_kind:     by_value
      - .offset:         8
        .size:           4
        .value_kind:     by_value
      - .offset:         12
        .size:           4
        .value_kind:     by_value
      - .offset:         16
        .size:           4
        .value_kind:     by_value
      - .offset:         20
        .size:           4
        .value_kind:     by_value
      - .offset:         24
        .size:           4
        .value_kind:     by_value
      - .offset:         32
        .size:           8
        .value_kind:     by_value
      - .offset:         40
        .size:           16
        .value_kind:     by_value
      - .actual_access:  read_only
        .address_space:  global
        .offset:         56
        .size:           8
        .value_kind:     global_buffer
      - .offset:         64
        .size:           8
        .value_kind:     by_value
      - .actual_access:  read_only
        .address_space:  global
        .offset:         72
        .size:           8
        .value_kind:     global_buffer
      - .offset:         80
        .size:           8
        .value_kind:     by_value
      - .offset:         88
        .size:           16
        .value_kind:     by_value
      - .address_space:  global
        .offset:         104
        .size:           8
        .value_kind:     global_buffer
      - .actual_access:  read_only
        .address_space:  global
        .offset:         112
        .size:           8
        .value_kind:     global_buffer
      - .actual_access:  read_only
        .address_space:  global
        .offset:         120
        .size:           8
        .value_kind:     global_buffer
      - .offset:         128
        .size:           4
        .value_kind:     by_value
      - .offset:         132
        .size:           1
        .value_kind:     by_value
    .group_segment_fixed_size: 8192
    .kernarg_segment_align: 8
    .kernarg_segment_size: 136
    .language:       OpenCL C
    .language_version:
      - 2
      - 0
    .max_flat_workgroup_size: 512
    .name:           _ZN9rocsparseL16sddmm_csx_kernelILi512ELi8EL20rocsparse_direction_0E21rocsparse_complex_numIdEliS3_S3_S3_EEv20rocsparse_operation_S4_16rocsparse_order_S5_T4_S6_S6_T3_NS_24const_host_device_scalarIT2_EEPKT5_lPKT6_lSA_PT7_PKS7_PKS6_21rocsparse_index_base_b
    .private_segment_fixed_size: 0
    .sgpr_count:     38
    .sgpr_spill_count: 0
    .symbol:         _ZN9rocsparseL16sddmm_csx_kernelILi512ELi8EL20rocsparse_direction_0E21rocsparse_complex_numIdEliS3_S3_S3_EEv20rocsparse_operation_S4_16rocsparse_order_S5_T4_S6_S6_T3_NS_24const_host_device_scalarIT2_EEPKT5_lPKT6_lSA_PT7_PKS7_PKS6_21rocsparse_index_base_b.kd
    .uniform_work_group_size: 1
    .uses_dynamic_stack: false
    .vgpr_count:     38
    .vgpr_spill_count: 0
    .wavefront_size: 64
  - .agpr_count:     0
    .args:
      - .offset:         0
        .size:           4
        .value_kind:     by_value
      - .offset:         4
        .size:           4
        .value_kind:     by_value
      - .offset:         8
        .size:           4
        .value_kind:     by_value
      - .offset:         12
        .size:           4
        .value_kind:     by_value
      - .offset:         16
        .size:           4
        .value_kind:     by_value
      - .offset:         20
        .size:           4
        .value_kind:     by_value
      - .offset:         24
        .size:           4
        .value_kind:     by_value
      - .offset:         32
        .size:           8
        .value_kind:     by_value
      - .offset:         40
        .size:           16
        .value_kind:     by_value
      - .actual_access:  read_only
        .address_space:  global
        .offset:         56
        .size:           8
        .value_kind:     global_buffer
      - .offset:         64
        .size:           8
        .value_kind:     by_value
      - .actual_access:  read_only
        .address_space:  global
        .offset:         72
        .size:           8
        .value_kind:     global_buffer
      - .offset:         80
        .size:           8
        .value_kind:     by_value
      - .offset:         88
        .size:           16
        .value_kind:     by_value
      - .address_space:  global
        .offset:         104
        .size:           8
        .value_kind:     global_buffer
      - .actual_access:  read_only
        .address_space:  global
        .offset:         112
        .size:           8
        .value_kind:     global_buffer
      - .actual_access:  read_only
        .address_space:  global
        .offset:         120
        .size:           8
        .value_kind:     global_buffer
      - .offset:         128
        .size:           4
        .value_kind:     by_value
      - .offset:         132
        .size:           1
        .value_kind:     by_value
    .group_segment_fixed_size: 8192
    .kernarg_segment_align: 8
    .kernarg_segment_size: 136
    .language:       OpenCL C
    .language_version:
      - 2
      - 0
    .max_flat_workgroup_size: 512
    .name:           _ZN9rocsparseL16sddmm_csx_kernelILi512ELi4EL20rocsparse_direction_0E21rocsparse_complex_numIdEliS3_S3_S3_EEv20rocsparse_operation_S4_16rocsparse_order_S5_T4_S6_S6_T3_NS_24const_host_device_scalarIT2_EEPKT5_lPKT6_lSA_PT7_PKS7_PKS6_21rocsparse_index_base_b
    .private_segment_fixed_size: 0
    .sgpr_count:     36
    .sgpr_spill_count: 0
    .symbol:         _ZN9rocsparseL16sddmm_csx_kernelILi512ELi4EL20rocsparse_direction_0E21rocsparse_complex_numIdEliS3_S3_S3_EEv20rocsparse_operation_S4_16rocsparse_order_S5_T4_S6_S6_T3_NS_24const_host_device_scalarIT2_EEPKT5_lPKT6_lSA_PT7_PKS7_PKS6_21rocsparse_index_base_b.kd
    .uniform_work_group_size: 1
    .uses_dynamic_stack: false
    .vgpr_count:     38
    .vgpr_spill_count: 0
    .wavefront_size: 64
  - .agpr_count:     0
    .args:
      - .offset:         0
        .size:           4
        .value_kind:     by_value
      - .offset:         4
        .size:           4
        .value_kind:     by_value
      - .offset:         8
        .size:           4
        .value_kind:     by_value
      - .offset:         12
        .size:           4
        .value_kind:     by_value
      - .offset:         16
        .size:           4
        .value_kind:     by_value
      - .offset:         20
        .size:           4
        .value_kind:     by_value
      - .offset:         24
        .size:           4
        .value_kind:     by_value
      - .offset:         32
        .size:           8
        .value_kind:     by_value
      - .offset:         40
        .size:           16
        .value_kind:     by_value
      - .actual_access:  read_only
        .address_space:  global
        .offset:         56
        .size:           8
        .value_kind:     global_buffer
      - .offset:         64
        .size:           8
        .value_kind:     by_value
      - .actual_access:  read_only
        .address_space:  global
        .offset:         72
        .size:           8
        .value_kind:     global_buffer
      - .offset:         80
        .size:           8
        .value_kind:     by_value
      - .offset:         88
        .size:           16
        .value_kind:     by_value
      - .address_space:  global
        .offset:         104
        .size:           8
        .value_kind:     global_buffer
      - .actual_access:  read_only
        .address_space:  global
        .offset:         112
        .size:           8
        .value_kind:     global_buffer
      - .actual_access:  read_only
        .address_space:  global
        .offset:         120
        .size:           8
        .value_kind:     global_buffer
      - .offset:         128
        .size:           4
        .value_kind:     by_value
      - .offset:         132
        .size:           1
        .value_kind:     by_value
    .group_segment_fixed_size: 8192
    .kernarg_segment_align: 8
    .kernarg_segment_size: 136
    .language:       OpenCL C
    .language_version:
      - 2
      - 0
    .max_flat_workgroup_size: 512
    .name:           _ZN9rocsparseL16sddmm_csx_kernelILi512ELi2EL20rocsparse_direction_0E21rocsparse_complex_numIdEliS3_S3_S3_EEv20rocsparse_operation_S4_16rocsparse_order_S5_T4_S6_S6_T3_NS_24const_host_device_scalarIT2_EEPKT5_lPKT6_lSA_PT7_PKS7_PKS6_21rocsparse_index_base_b
    .private_segment_fixed_size: 0
    .sgpr_count:     34
    .sgpr_spill_count: 0
    .symbol:         _ZN9rocsparseL16sddmm_csx_kernelILi512ELi2EL20rocsparse_direction_0E21rocsparse_complex_numIdEliS3_S3_S3_EEv20rocsparse_operation_S4_16rocsparse_order_S5_T4_S6_S6_T3_NS_24const_host_device_scalarIT2_EEPKT5_lPKT6_lSA_PT7_PKS7_PKS6_21rocsparse_index_base_b.kd
    .uniform_work_group_size: 1
    .uses_dynamic_stack: false
    .vgpr_count:     38
    .vgpr_spill_count: 0
    .wavefront_size: 64
  - .agpr_count:     0
    .args:
      - .offset:         0
        .size:           4
        .value_kind:     by_value
      - .offset:         4
        .size:           4
        .value_kind:     by_value
      - .offset:         8
        .size:           4
        .value_kind:     by_value
      - .offset:         12
        .size:           4
        .value_kind:     by_value
      - .offset:         16
        .size:           4
        .value_kind:     by_value
      - .offset:         20
        .size:           4
        .value_kind:     by_value
      - .offset:         24
        .size:           4
        .value_kind:     by_value
      - .offset:         32
        .size:           8
        .value_kind:     by_value
      - .offset:         40
        .size:           16
        .value_kind:     by_value
      - .actual_access:  read_only
        .address_space:  global
        .offset:         56
        .size:           8
        .value_kind:     global_buffer
      - .offset:         64
        .size:           8
        .value_kind:     by_value
      - .actual_access:  read_only
        .address_space:  global
        .offset:         72
        .size:           8
        .value_kind:     global_buffer
      - .offset:         80
        .size:           8
        .value_kind:     by_value
      - .offset:         88
        .size:           16
        .value_kind:     by_value
      - .address_space:  global
        .offset:         104
        .size:           8
        .value_kind:     global_buffer
      - .actual_access:  read_only
        .address_space:  global
        .offset:         112
        .size:           8
        .value_kind:     global_buffer
      - .actual_access:  read_only
        .address_space:  global
        .offset:         120
        .size:           8
        .value_kind:     global_buffer
      - .offset:         128
        .size:           4
        .value_kind:     by_value
      - .offset:         132
        .size:           1
        .value_kind:     by_value
    .group_segment_fixed_size: 8192
    .kernarg_segment_align: 8
    .kernarg_segment_size: 136
    .language:       OpenCL C
    .language_version:
      - 2
      - 0
    .max_flat_workgroup_size: 512
    .name:           _ZN9rocsparseL16sddmm_csx_kernelILi512ELi1EL20rocsparse_direction_0E21rocsparse_complex_numIdEliS3_S3_S3_EEv20rocsparse_operation_S4_16rocsparse_order_S5_T4_S6_S6_T3_NS_24const_host_device_scalarIT2_EEPKT5_lPKT6_lSA_PT7_PKS7_PKS6_21rocsparse_index_base_b
    .private_segment_fixed_size: 0
    .sgpr_count:     32
    .sgpr_spill_count: 0
    .symbol:         _ZN9rocsparseL16sddmm_csx_kernelILi512ELi1EL20rocsparse_direction_0E21rocsparse_complex_numIdEliS3_S3_S3_EEv20rocsparse_operation_S4_16rocsparse_order_S5_T4_S6_S6_T3_NS_24const_host_device_scalarIT2_EEPKT5_lPKT6_lSA_PT7_PKS7_PKS6_21rocsparse_index_base_b.kd
    .uniform_work_group_size: 1
    .uses_dynamic_stack: false
    .vgpr_count:     34
    .vgpr_spill_count: 0
    .wavefront_size: 64
  - .agpr_count:     0
    .args:
      - .offset:         0
        .size:           4
        .value_kind:     by_value
      - .offset:         8
        .size:           8
        .value_kind:     by_value
      - .offset:         16
        .size:           8
        .value_kind:     by_value
      - .actual_access:  read_only
        .address_space:  global
        .offset:         24
        .size:           8
        .value_kind:     global_buffer
      - .actual_access:  read_only
        .address_space:  global
        .offset:         32
        .size:           8
        .value_kind:     global_buffer
      - .actual_access:  read_only
        .address_space:  global
        .offset:         40
        .size:           8
        .value_kind:     global_buffer
      - .actual_access:  write_only
        .address_space:  global
        .offset:         48
        .size:           8
        .value_kind:     global_buffer
      - .offset:         56
        .size:           8
        .value_kind:     by_value
      - .offset:         64
        .size:           4
        .value_kind:     by_value
    .group_segment_fixed_size: 0
    .kernarg_segment_align: 8
    .kernarg_segment_size: 68
    .language:       OpenCL C
    .language_version:
      - 2
      - 0
    .max_flat_workgroup_size: 512
    .name:           _ZN9rocsparseL16csr2dense_kernelILi16ELi32EllDF16_EEviT2_S1_PKT3_PKT1_PKS1_PS2_l16rocsparse_order_
    .private_segment_fixed_size: 0
    .sgpr_count:     20
    .sgpr_spill_count: 0
    .symbol:         _ZN9rocsparseL16csr2dense_kernelILi16ELi32EllDF16_EEviT2_S1_PKT3_PKT1_PKS1_PS2_l16rocsparse_order_.kd
    .uniform_work_group_size: 1
    .uses_dynamic_stack: false
    .vgpr_count:     18
    .vgpr_spill_count: 0
    .wavefront_size: 64
  - .agpr_count:     0
    .args:
      - .offset:         0
        .size:           4
        .value_kind:     by_value
      - .offset:         8
        .size:           8
        .value_kind:     by_value
      - .offset:         16
        .size:           8
        .value_kind:     by_value
      - .actual_access:  read_only
        .address_space:  global
        .offset:         24
        .size:           8
        .value_kind:     global_buffer
      - .actual_access:  read_only
        .address_space:  global
        .offset:         32
        .size:           8
        .value_kind:     global_buffer
      - .actual_access:  read_only
        .address_space:  global
        .offset:         40
        .size:           8
        .value_kind:     global_buffer
      - .actual_access:  write_only
        .address_space:  global
        .offset:         48
        .size:           8
        .value_kind:     global_buffer
      - .offset:         56
        .size:           8
        .value_kind:     by_value
      - .offset:         64
        .size:           4
        .value_kind:     by_value
    .group_segment_fixed_size: 0
    .kernarg_segment_align: 8
    .kernarg_segment_size: 68
    .language:       OpenCL C
    .language_version:
      - 2
      - 0
    .max_flat_workgroup_size: 1024
    .name:           _ZN9rocsparseL16csr2dense_kernelILi16ELi64EllDF16_EEviT2_S1_PKT3_PKT1_PKS1_PS2_l16rocsparse_order_
    .private_segment_fixed_size: 0
    .sgpr_count:     21
    .sgpr_spill_count: 0
    .symbol:         _ZN9rocsparseL16csr2dense_kernelILi16ELi64EllDF16_EEviT2_S1_PKT3_PKT1_PKS1_PS2_l16rocsparse_order_.kd
    .uniform_work_group_size: 1
    .uses_dynamic_stack: false
    .vgpr_count:     18
    .vgpr_spill_count: 0
    .wavefront_size: 64
  - .agpr_count:     0
    .args:
      - .offset:         0
        .size:           4
        .value_kind:     by_value
      - .offset:         8
        .size:           8
        .value_kind:     by_value
      - .offset:         16
        .size:           8
        .value_kind:     by_value
      - .actual_access:  read_only
        .address_space:  global
        .offset:         24
        .size:           8
        .value_kind:     global_buffer
      - .actual_access:  read_only
        .address_space:  global
        .offset:         32
        .size:           8
        .value_kind:     global_buffer
      - .actual_access:  read_only
        .address_space:  global
        .offset:         40
        .size:           8
        .value_kind:     global_buffer
      - .actual_access:  write_only
        .address_space:  global
        .offset:         48
        .size:           8
        .value_kind:     global_buffer
      - .offset:         56
        .size:           8
        .value_kind:     by_value
      - .offset:         64
        .size:           4
        .value_kind:     by_value
    .group_segment_fixed_size: 0
    .kernarg_segment_align: 8
    .kernarg_segment_size: 68
    .language:       OpenCL C
    .language_version:
      - 2
      - 0
    .max_flat_workgroup_size: 512
    .name:           _ZN9rocsparseL16csc2dense_kernelILi16ELi32EllDF16_EEviT2_S1_PKT3_PKT1_PKS1_PS2_l16rocsparse_order_
    .private_segment_fixed_size: 0
    .sgpr_count:     20
    .sgpr_spill_count: 0
    .symbol:         _ZN9rocsparseL16csc2dense_kernelILi16ELi32EllDF16_EEviT2_S1_PKT3_PKT1_PKS1_PS2_l16rocsparse_order_.kd
    .uniform_work_group_size: 1
    .uses_dynamic_stack: false
    .vgpr_count:     20
    .vgpr_spill_count: 0
    .wavefront_size: 64
  - .agpr_count:     0
    .args:
      - .offset:         0
        .size:           4
        .value_kind:     by_value
      - .offset:         8
        .size:           8
        .value_kind:     by_value
      - .offset:         16
        .size:           8
        .value_kind:     by_value
      - .actual_access:  read_only
        .address_space:  global
        .offset:         24
        .size:           8
        .value_kind:     global_buffer
      - .actual_access:  read_only
        .address_space:  global
        .offset:         32
        .size:           8
        .value_kind:     global_buffer
      - .actual_access:  read_only
        .address_space:  global
        .offset:         40
        .size:           8
        .value_kind:     global_buffer
      - .actual_access:  write_only
        .address_space:  global
        .offset:         48
        .size:           8
        .value_kind:     global_buffer
      - .offset:         56
        .size:           8
        .value_kind:     by_value
      - .offset:         64
        .size:           4
        .value_kind:     by_value
    .group_segment_fixed_size: 0
    .kernarg_segment_align: 8
    .kernarg_segment_size: 68
    .language:       OpenCL C
    .language_version:
      - 2
      - 0
    .max_flat_workgroup_size: 1024
    .name:           _ZN9rocsparseL16csc2dense_kernelILi16ELi64EllDF16_EEviT2_S1_PKT3_PKT1_PKS1_PS2_l16rocsparse_order_
    .private_segment_fixed_size: 0
    .sgpr_count:     21
    .sgpr_spill_count: 0
    .symbol:         _ZN9rocsparseL16csc2dense_kernelILi16ELi64EllDF16_EEviT2_S1_PKT3_PKT1_PKS1_PS2_l16rocsparse_order_.kd
    .uniform_work_group_size: 1
    .uses_dynamic_stack: false
    .vgpr_count:     20
    .vgpr_spill_count: 0
    .wavefront_size: 64
  - .agpr_count:     0
    .args:
      - .offset:         0
        .size:           8
        .value_kind:     by_value
      - .offset:         8
        .size:           8
        .value_kind:     by_value
      - .offset:         16
        .size:           8
        .value_kind:     by_value
      - .actual_access:  read_only
        .address_space:  global
        .offset:         24
        .size:           8
        .value_kind:     global_buffer
      - .offset:         32
        .size:           8
        .value_kind:     by_value
      - .actual_access:  write_only
        .address_space:  global
        .offset:         40
        .size:           8
        .value_kind:     global_buffer
      - .actual_access:  read_only
        .address_space:  global
        .offset:         48
        .size:           8
        .value_kind:     global_buffer
      - .actual_access:  read_only
        .address_space:  global
        .offset:         56
        .size:           8
        .value_kind:     global_buffer
      - .offset:         64
        .size:           4
        .value_kind:     by_value
    .group_segment_fixed_size: 0
    .kernarg_segment_align: 8
    .kernarg_segment_size: 68
    .language:       OpenCL C
    .language_version:
      - 2
      - 0
    .max_flat_workgroup_size: 512
    .name:           _ZN9rocsparseL23sddmm_csx_sample_kernelILi512ELi64EL20rocsparse_direction_1EDF16_llDF16_EEvT4_S2_T3_PKT5_S2_PS4_PKS3_PKS2_21rocsparse_index_base_
    .private_segment_fixed_size: 0
    .sgpr_count:     18
    .sgpr_spill_count: 0
    .symbol:         _ZN9rocsparseL23sddmm_csx_sample_kernelILi512ELi64EL20rocsparse_direction_1EDF16_llDF16_EEvT4_S2_T3_PKT5_S2_PS4_PKS3_PKS2_21rocsparse_index_base_.kd
    .uniform_work_group_size: 1
    .uses_dynamic_stack: false
    .vgpr_count:     12
    .vgpr_spill_count: 0
    .wavefront_size: 64
  - .agpr_count:     0
    .args:
      - .offset:         0
        .size:           8
        .value_kind:     by_value
      - .offset:         8
        .size:           8
        .value_kind:     by_value
      - .offset:         16
        .size:           8
        .value_kind:     by_value
      - .actual_access:  read_only
        .address_space:  global
        .offset:         24
        .size:           8
        .value_kind:     global_buffer
      - .offset:         32
        .size:           8
        .value_kind:     by_value
      - .actual_access:  write_only
        .address_space:  global
        .offset:         40
        .size:           8
        .value_kind:     global_buffer
      - .actual_access:  read_only
        .address_space:  global
        .offset:         48
        .size:           8
        .value_kind:     global_buffer
      - .actual_access:  read_only
        .address_space:  global
        .offset:         56
        .size:           8
        .value_kind:     global_buffer
      - .offset:         64
        .size:           4
        .value_kind:     by_value
    .group_segment_fixed_size: 0
    .kernarg_segment_align: 8
    .kernarg_segment_size: 68
    .language:       OpenCL C
    .language_version:
      - 2
      - 0
    .max_flat_workgroup_size: 512
    .name:           _ZN9rocsparseL23sddmm_csx_sample_kernelILi512ELi32EL20rocsparse_direction_1EDF16_llDF16_EEvT4_S2_T3_PKT5_S2_PS4_PKS3_PKS2_21rocsparse_index_base_
    .private_segment_fixed_size: 0
    .sgpr_count:     18
    .sgpr_spill_count: 0
    .symbol:         _ZN9rocsparseL23sddmm_csx_sample_kernelILi512ELi32EL20rocsparse_direction_1EDF16_llDF16_EEvT4_S2_T3_PKT5_S2_PS4_PKS3_PKS2_21rocsparse_index_base_.kd
    .uniform_work_group_size: 1
    .uses_dynamic_stack: false
    .vgpr_count:     12
    .vgpr_spill_count: 0
    .wavefront_size: 64
  - .agpr_count:     0
    .args:
      - .offset:         0
        .size:           8
        .value_kind:     by_value
      - .offset:         8
        .size:           8
        .value_kind:     by_value
      - .offset:         16
        .size:           8
        .value_kind:     by_value
      - .actual_access:  read_only
        .address_space:  global
        .offset:         24
        .size:           8
        .value_kind:     global_buffer
      - .offset:         32
        .size:           8
        .value_kind:     by_value
      - .actual_access:  write_only
        .address_space:  global
        .offset:         40
        .size:           8
        .value_kind:     global_buffer
      - .actual_access:  read_only
        .address_space:  global
        .offset:         48
        .size:           8
        .value_kind:     global_buffer
      - .actual_access:  read_only
        .address_space:  global
        .offset:         56
        .size:           8
        .value_kind:     global_buffer
      - .offset:         64
        .size:           4
        .value_kind:     by_value
    .group_segment_fixed_size: 0
    .kernarg_segment_align: 8
    .kernarg_segment_size: 68
    .language:       OpenCL C
    .language_version:
      - 2
      - 0
    .max_flat_workgroup_size: 512
    .name:           _ZN9rocsparseL23sddmm_csx_sample_kernelILi512ELi16EL20rocsparse_direction_1EDF16_llDF16_EEvT4_S2_T3_PKT5_S2_PS4_PKS3_PKS2_21rocsparse_index_base_
    .private_segment_fixed_size: 0
    .sgpr_count:     18
    .sgpr_spill_count: 0
    .symbol:         _ZN9rocsparseL23sddmm_csx_sample_kernelILi512ELi16EL20rocsparse_direction_1EDF16_llDF16_EEvT4_S2_T3_PKT5_S2_PS4_PKS3_PKS2_21rocsparse_index_base_.kd
    .uniform_work_group_size: 1
    .uses_dynamic_stack: false
    .vgpr_count:     12
    .vgpr_spill_count: 0
    .wavefront_size: 64
  - .agpr_count:     0
    .args:
      - .offset:         0
        .size:           8
        .value_kind:     by_value
      - .offset:         8
        .size:           8
        .value_kind:     by_value
      - .offset:         16
        .size:           8
        .value_kind:     by_value
      - .actual_access:  read_only
        .address_space:  global
        .offset:         24
        .size:           8
        .value_kind:     global_buffer
      - .offset:         32
        .size:           8
        .value_kind:     by_value
      - .actual_access:  write_only
        .address_space:  global
        .offset:         40
        .size:           8
        .value_kind:     global_buffer
      - .actual_access:  read_only
        .address_space:  global
        .offset:         48
        .size:           8
        .value_kind:     global_buffer
      - .actual_access:  read_only
        .address_space:  global
        .offset:         56
        .size:           8
        .value_kind:     global_buffer
      - .offset:         64
        .size:           4
        .value_kind:     by_value
    .group_segment_fixed_size: 0
    .kernarg_segment_align: 8
    .kernarg_segment_size: 68
    .language:       OpenCL C
    .language_version:
      - 2
      - 0
    .max_flat_workgroup_size: 512
    .name:           _ZN9rocsparseL23sddmm_csx_sample_kernelILi512ELi8EL20rocsparse_direction_1EDF16_llDF16_EEvT4_S2_T3_PKT5_S2_PS4_PKS3_PKS2_21rocsparse_index_base_
    .private_segment_fixed_size: 0
    .sgpr_count:     18
    .sgpr_spill_count: 0
    .symbol:         _ZN9rocsparseL23sddmm_csx_sample_kernelILi512ELi8EL20rocsparse_direction_1EDF16_llDF16_EEvT4_S2_T3_PKT5_S2_PS4_PKS3_PKS2_21rocsparse_index_base_.kd
    .uniform_work_group_size: 1
    .uses_dynamic_stack: false
    .vgpr_count:     12
    .vgpr_spill_count: 0
    .wavefront_size: 64
  - .agpr_count:     0
    .args:
      - .offset:         0
        .size:           8
        .value_kind:     by_value
      - .offset:         8
        .size:           8
        .value_kind:     by_value
      - .offset:         16
        .size:           8
        .value_kind:     by_value
      - .actual_access:  read_only
        .address_space:  global
        .offset:         24
        .size:           8
        .value_kind:     global_buffer
      - .offset:         32
        .size:           8
        .value_kind:     by_value
      - .actual_access:  write_only
        .address_space:  global
        .offset:         40
        .size:           8
        .value_kind:     global_buffer
      - .actual_access:  read_only
        .address_space:  global
        .offset:         48
        .size:           8
        .value_kind:     global_buffer
      - .actual_access:  read_only
        .address_space:  global
        .offset:         56
        .size:           8
        .value_kind:     global_buffer
      - .offset:         64
        .size:           4
        .value_kind:     by_value
    .group_segment_fixed_size: 0
    .kernarg_segment_align: 8
    .kernarg_segment_size: 68
    .language:       OpenCL C
    .language_version:
      - 2
      - 0
    .max_flat_workgroup_size: 512
    .name:           _ZN9rocsparseL23sddmm_csx_sample_kernelILi512ELi4EL20rocsparse_direction_1EDF16_llDF16_EEvT4_S2_T3_PKT5_S2_PS4_PKS3_PKS2_21rocsparse_index_base_
    .private_segment_fixed_size: 0
    .sgpr_count:     18
    .sgpr_spill_count: 0
    .symbol:         _ZN9rocsparseL23sddmm_csx_sample_kernelILi512ELi4EL20rocsparse_direction_1EDF16_llDF16_EEvT4_S2_T3_PKT5_S2_PS4_PKS3_PKS2_21rocsparse_index_base_.kd
    .uniform_work_group_size: 1
    .uses_dynamic_stack: false
    .vgpr_count:     12
    .vgpr_spill_count: 0
    .wavefront_size: 64
  - .agpr_count:     0
    .args:
      - .offset:         0
        .size:           8
        .value_kind:     by_value
      - .offset:         8
        .size:           8
        .value_kind:     by_value
      - .offset:         16
        .size:           8
        .value_kind:     by_value
      - .actual_access:  read_only
        .address_space:  global
        .offset:         24
        .size:           8
        .value_kind:     global_buffer
      - .offset:         32
        .size:           8
        .value_kind:     by_value
      - .actual_access:  write_only
        .address_space:  global
        .offset:         40
        .size:           8
        .value_kind:     global_buffer
      - .actual_access:  read_only
        .address_space:  global
        .offset:         48
        .size:           8
        .value_kind:     global_buffer
      - .actual_access:  read_only
        .address_space:  global
        .offset:         56
        .size:           8
        .value_kind:     global_buffer
      - .offset:         64
        .size:           4
        .value_kind:     by_value
    .group_segment_fixed_size: 0
    .kernarg_segment_align: 8
    .kernarg_segment_size: 68
    .language:       OpenCL C
    .language_version:
      - 2
      - 0
    .max_flat_workgroup_size: 512
    .name:           _ZN9rocsparseL23sddmm_csx_sample_kernelILi512ELi2EL20rocsparse_direction_1EDF16_llDF16_EEvT4_S2_T3_PKT5_S2_PS4_PKS3_PKS2_21rocsparse_index_base_
    .private_segment_fixed_size: 0
    .sgpr_count:     18
    .sgpr_spill_count: 0
    .symbol:         _ZN9rocsparseL23sddmm_csx_sample_kernelILi512ELi2EL20rocsparse_direction_1EDF16_llDF16_EEvT4_S2_T3_PKT5_S2_PS4_PKS3_PKS2_21rocsparse_index_base_.kd
    .uniform_work_group_size: 1
    .uses_dynamic_stack: false
    .vgpr_count:     12
    .vgpr_spill_count: 0
    .wavefront_size: 64
  - .agpr_count:     0
    .args:
      - .offset:         0
        .size:           8
        .value_kind:     by_value
      - .offset:         8
        .size:           8
        .value_kind:     by_value
      - .offset:         16
        .size:           8
        .value_kind:     by_value
      - .actual_access:  read_only
        .address_space:  global
        .offset:         24
        .size:           8
        .value_kind:     global_buffer
      - .offset:         32
        .size:           8
        .value_kind:     by_value
      - .actual_access:  write_only
        .address_space:  global
        .offset:         40
        .size:           8
        .value_kind:     global_buffer
      - .actual_access:  read_only
        .address_space:  global
        .offset:         48
        .size:           8
        .value_kind:     global_buffer
      - .actual_access:  read_only
        .address_space:  global
        .offset:         56
        .size:           8
        .value_kind:     global_buffer
      - .offset:         64
        .size:           4
        .value_kind:     by_value
    .group_segment_fixed_size: 0
    .kernarg_segment_align: 8
    .kernarg_segment_size: 68
    .language:       OpenCL C
    .language_version:
      - 2
      - 0
    .max_flat_workgroup_size: 512
    .name:           _ZN9rocsparseL23sddmm_csx_sample_kernelILi512ELi1EL20rocsparse_direction_1EDF16_llDF16_EEvT4_S2_T3_PKT5_S2_PS4_PKS3_PKS2_21rocsparse_index_base_
    .private_segment_fixed_size: 0
    .sgpr_count:     18
    .sgpr_spill_count: 0
    .symbol:         _ZN9rocsparseL23sddmm_csx_sample_kernelILi512ELi1EL20rocsparse_direction_1EDF16_llDF16_EEvT4_S2_T3_PKT5_S2_PS4_PKS3_PKS2_21rocsparse_index_base_.kd
    .uniform_work_group_size: 1
    .uses_dynamic_stack: false
    .vgpr_count:     12
    .vgpr_spill_count: 0
    .wavefront_size: 64
  - .agpr_count:     0
    .args:
      - .offset:         0
        .size:           4
        .value_kind:     by_value
      - .offset:         4
        .size:           4
        .value_kind:     by_value
      - .offset:         8
        .size:           4
        .value_kind:     by_value
      - .offset:         12
        .size:           4
        .value_kind:     by_value
      - .offset:         16
        .size:           8
        .value_kind:     by_value
      - .offset:         24
        .size:           8
        .value_kind:     by_value
      - .offset:         32
        .size:           8
        .value_kind:     by_value
      - .offset:         40
        .size:           8
        .value_kind:     by_value
      - .offset:         48
        .size:           8
        .value_kind:     by_value
      - .actual_access:  read_only
        .address_space:  global
        .offset:         56
        .size:           8
        .value_kind:     global_buffer
      - .offset:         64
        .size:           8
        .value_kind:     by_value
      - .actual_access:  read_only
        .address_space:  global
        .offset:         72
        .size:           8
        .value_kind:     global_buffer
      - .offset:         80
        .size:           8
        .value_kind:     by_value
      - .offset:         88
        .size:           8
        .value_kind:     by_value
      - .address_space:  global
        .offset:         96
        .size:           8
        .value_kind:     global_buffer
      - .actual_access:  read_only
        .address_space:  global
        .offset:         104
        .size:           8
        .value_kind:     global_buffer
      - .actual_access:  read_only
        .address_space:  global
        .offset:         112
        .size:           8
        .value_kind:     global_buffer
      - .offset:         120
        .size:           4
        .value_kind:     by_value
      - .offset:         124
        .size:           1
        .value_kind:     by_value
    .group_segment_fixed_size: 1024
    .kernarg_segment_align: 8
    .kernarg_segment_size: 128
    .language:       OpenCL C
    .language_version:
      - 2
      - 0
    .max_flat_workgroup_size: 512
    .name:           _ZN9rocsparseL16sddmm_csx_kernelILi512ELi8EL20rocsparse_direction_0EDF16_llDF16_DF16_DF16_EEv20rocsparse_operation_S2_16rocsparse_order_S3_T4_S4_S4_T3_NS_24const_host_device_scalarIT2_EEPKT5_lPKT6_lS8_PT7_PKS5_PKS4_21rocsparse_index_base_b
    .private_segment_fixed_size: 0
    .sgpr_count:     42
    .sgpr_spill_count: 0
    .symbol:         _ZN9rocsparseL16sddmm_csx_kernelILi512ELi8EL20rocsparse_direction_0EDF16_llDF16_DF16_DF16_EEv20rocsparse_operation_S2_16rocsparse_order_S3_T4_S4_S4_T3_NS_24const_host_device_scalarIT2_EEPKT5_lPKT6_lS8_PT7_PKS5_PKS4_21rocsparse_index_base_b.kd
    .uniform_work_group_size: 1
    .uses_dynamic_stack: false
    .vgpr_count:     23
    .vgpr_spill_count: 0
    .wavefront_size: 64
  - .agpr_count:     0
    .args:
      - .offset:         0
        .size:           4
        .value_kind:     by_value
      - .offset:         4
        .size:           4
        .value_kind:     by_value
      - .offset:         8
        .size:           4
        .value_kind:     by_value
      - .offset:         12
        .size:           4
        .value_kind:     by_value
      - .offset:         16
        .size:           8
        .value_kind:     by_value
      - .offset:         24
        .size:           8
        .value_kind:     by_value
      - .offset:         32
        .size:           8
        .value_kind:     by_value
      - .offset:         40
        .size:           8
        .value_kind:     by_value
      - .offset:         48
        .size:           8
        .value_kind:     by_value
      - .actual_access:  read_only
        .address_space:  global
        .offset:         56
        .size:           8
        .value_kind:     global_buffer
      - .offset:         64
        .size:           8
        .value_kind:     by_value
      - .actual_access:  read_only
        .address_space:  global
        .offset:         72
        .size:           8
        .value_kind:     global_buffer
      - .offset:         80
        .size:           8
        .value_kind:     by_value
      - .offset:         88
        .size:           8
        .value_kind:     by_value
      - .address_space:  global
        .offset:         96
        .size:           8
        .value_kind:     global_buffer
      - .actual_access:  read_only
        .address_space:  global
        .offset:         104
        .size:           8
        .value_kind:     global_buffer
      - .actual_access:  read_only
        .address_space:  global
        .offset:         112
        .size:           8
        .value_kind:     global_buffer
      - .offset:         120
        .size:           4
        .value_kind:     by_value
      - .offset:         124
        .size:           1
        .value_kind:     by_value
    .group_segment_fixed_size: 1024
    .kernarg_segment_align: 8
    .kernarg_segment_size: 128
    .language:       OpenCL C
    .language_version:
      - 2
      - 0
    .max_flat_workgroup_size: 512
    .name:           _ZN9rocsparseL16sddmm_csx_kernelILi512ELi4EL20rocsparse_direction_0EDF16_llDF16_DF16_DF16_EEv20rocsparse_operation_S2_16rocsparse_order_S3_T4_S4_S4_T3_NS_24const_host_device_scalarIT2_EEPKT5_lPKT6_lS8_PT7_PKS5_PKS4_21rocsparse_index_base_b
    .private_segment_fixed_size: 0
    .sgpr_count:     38
    .sgpr_spill_count: 0
    .symbol:         _ZN9rocsparseL16sddmm_csx_kernelILi512ELi4EL20rocsparse_direction_0EDF16_llDF16_DF16_DF16_EEv20rocsparse_operation_S2_16rocsparse_order_S3_T4_S4_S4_T3_NS_24const_host_device_scalarIT2_EEPKT5_lPKT6_lS8_PT7_PKS5_PKS4_21rocsparse_index_base_b.kd
    .uniform_work_group_size: 1
    .uses_dynamic_stack: false
    .vgpr_count:     23
    .vgpr_spill_count: 0
    .wavefront_size: 64
  - .agpr_count:     0
    .args:
      - .offset:         0
        .size:           4
        .value_kind:     by_value
      - .offset:         4
        .size:           4
        .value_kind:     by_value
      - .offset:         8
        .size:           4
        .value_kind:     by_value
      - .offset:         12
        .size:           4
        .value_kind:     by_value
      - .offset:         16
        .size:           8
        .value_kind:     by_value
      - .offset:         24
        .size:           8
        .value_kind:     by_value
      - .offset:         32
        .size:           8
        .value_kind:     by_value
      - .offset:         40
        .size:           8
        .value_kind:     by_value
      - .offset:         48
        .size:           8
        .value_kind:     by_value
      - .actual_access:  read_only
        .address_space:  global
        .offset:         56
        .size:           8
        .value_kind:     global_buffer
      - .offset:         64
        .size:           8
        .value_kind:     by_value
      - .actual_access:  read_only
        .address_space:  global
        .offset:         72
        .size:           8
        .value_kind:     global_buffer
      - .offset:         80
        .size:           8
        .value_kind:     by_value
      - .offset:         88
        .size:           8
        .value_kind:     by_value
      - .address_space:  global
        .offset:         96
        .size:           8
        .value_kind:     global_buffer
      - .actual_access:  read_only
        .address_space:  global
        .offset:         104
        .size:           8
        .value_kind:     global_buffer
      - .actual_access:  read_only
        .address_space:  global
        .offset:         112
        .size:           8
        .value_kind:     global_buffer
      - .offset:         120
        .size:           4
        .value_kind:     by_value
      - .offset:         124
        .size:           1
        .value_kind:     by_value
    .group_segment_fixed_size: 1024
    .kernarg_segment_align: 8
    .kernarg_segment_size: 128
    .language:       OpenCL C
    .language_version:
      - 2
      - 0
    .max_flat_workgroup_size: 512
    .name:           _ZN9rocsparseL16sddmm_csx_kernelILi512ELi2EL20rocsparse_direction_0EDF16_llDF16_DF16_DF16_EEv20rocsparse_operation_S2_16rocsparse_order_S3_T4_S4_S4_T3_NS_24const_host_device_scalarIT2_EEPKT5_lPKT6_lS8_PT7_PKS5_PKS4_21rocsparse_index_base_b
    .private_segment_fixed_size: 0
    .sgpr_count:     36
    .sgpr_spill_count: 0
    .symbol:         _ZN9rocsparseL16sddmm_csx_kernelILi512ELi2EL20rocsparse_direction_0EDF16_llDF16_DF16_DF16_EEv20rocsparse_operation_S2_16rocsparse_order_S3_T4_S4_S4_T3_NS_24const_host_device_scalarIT2_EEPKT5_lPKT6_lS8_PT7_PKS5_PKS4_21rocsparse_index_base_b.kd
    .uniform_work_group_size: 1
    .uses_dynamic_stack: false
    .vgpr_count:     23
    .vgpr_spill_count: 0
    .wavefront_size: 64
  - .agpr_count:     0
    .args:
      - .offset:         0
        .size:           4
        .value_kind:     by_value
      - .offset:         4
        .size:           4
        .value_kind:     by_value
      - .offset:         8
        .size:           4
        .value_kind:     by_value
      - .offset:         12
        .size:           4
        .value_kind:     by_value
      - .offset:         16
        .size:           8
        .value_kind:     by_value
      - .offset:         24
        .size:           8
        .value_kind:     by_value
      - .offset:         32
        .size:           8
        .value_kind:     by_value
      - .offset:         40
        .size:           8
        .value_kind:     by_value
      - .offset:         48
        .size:           8
        .value_kind:     by_value
      - .actual_access:  read_only
        .address_space:  global
        .offset:         56
        .size:           8
        .value_kind:     global_buffer
      - .offset:         64
        .size:           8
        .value_kind:     by_value
      - .actual_access:  read_only
        .address_space:  global
        .offset:         72
        .size:           8
        .value_kind:     global_buffer
      - .offset:         80
        .size:           8
        .value_kind:     by_value
      - .offset:         88
        .size:           8
        .value_kind:     by_value
      - .address_space:  global
        .offset:         96
        .size:           8
        .value_kind:     global_buffer
      - .actual_access:  read_only
        .address_space:  global
        .offset:         104
        .size:           8
        .value_kind:     global_buffer
      - .actual_access:  read_only
        .address_space:  global
        .offset:         112
        .size:           8
        .value_kind:     global_buffer
      - .offset:         120
        .size:           4
        .value_kind:     by_value
      - .offset:         124
        .size:           1
        .value_kind:     by_value
    .group_segment_fixed_size: 1024
    .kernarg_segment_align: 8
    .kernarg_segment_size: 128
    .language:       OpenCL C
    .language_version:
      - 2
      - 0
    .max_flat_workgroup_size: 512
    .name:           _ZN9rocsparseL16sddmm_csx_kernelILi512ELi1EL20rocsparse_direction_0EDF16_llDF16_DF16_DF16_EEv20rocsparse_operation_S2_16rocsparse_order_S3_T4_S4_S4_T3_NS_24const_host_device_scalarIT2_EEPKT5_lPKT6_lS8_PT7_PKS5_PKS4_21rocsparse_index_base_b
    .private_segment_fixed_size: 0
    .sgpr_count:     36
    .sgpr_spill_count: 0
    .symbol:         _ZN9rocsparseL16sddmm_csx_kernelILi512ELi1EL20rocsparse_direction_0EDF16_llDF16_DF16_DF16_EEv20rocsparse_operation_S2_16rocsparse_order_S3_T4_S4_S4_T3_NS_24const_host_device_scalarIT2_EEPKT5_lPKT6_lS8_PT7_PKS5_PKS4_21rocsparse_index_base_b.kd
    .uniform_work_group_size: 1
    .uses_dynamic_stack: false
    .vgpr_count:     16
    .vgpr_spill_count: 0
    .wavefront_size: 64
  - .agpr_count:     0
    .args:
      - .offset:         0
        .size:           4
        .value_kind:     by_value
      - .offset:         8
        .size:           8
        .value_kind:     by_value
      - .offset:         16
        .size:           8
        .value_kind:     by_value
      - .actual_access:  read_only
        .address_space:  global
        .offset:         24
        .size:           8
        .value_kind:     global_buffer
      - .actual_access:  read_only
        .address_space:  global
        .offset:         32
        .size:           8
        .value_kind:     global_buffer
      - .actual_access:  read_only
        .address_space:  global
        .offset:         40
        .size:           8
        .value_kind:     global_buffer
      - .actual_access:  write_only
        .address_space:  global
        .offset:         48
        .size:           8
        .value_kind:     global_buffer
      - .offset:         56
        .size:           8
        .value_kind:     by_value
      - .offset:         64
        .size:           4
        .value_kind:     by_value
    .group_segment_fixed_size: 0
    .kernarg_segment_align: 8
    .kernarg_segment_size: 68
    .language:       OpenCL C
    .language_version:
      - 2
      - 0
    .max_flat_workgroup_size: 512
    .name:           _ZN9rocsparseL16csr2dense_kernelILi16ELi32EllfEEviT2_S1_PKT3_PKT1_PKS1_PS2_l16rocsparse_order_
    .private_segment_fixed_size: 0
    .sgpr_count:     21
    .sgpr_spill_count: 0
    .symbol:         _ZN9rocsparseL16csr2dense_kernelILi16ELi32EllfEEviT2_S1_PKT3_PKT1_PKS1_PS2_l16rocsparse_order_.kd
    .uniform_work_group_size: 1
    .uses_dynamic_stack: false
    .vgpr_count:     18
    .vgpr_spill_count: 0
    .wavefront_size: 64
  - .agpr_count:     0
    .args:
      - .offset:         0
        .size:           4
        .value_kind:     by_value
      - .offset:         8
        .size:           8
        .value_kind:     by_value
      - .offset:         16
        .size:           8
        .value_kind:     by_value
      - .actual_access:  read_only
        .address_space:  global
        .offset:         24
        .size:           8
        .value_kind:     global_buffer
      - .actual_access:  read_only
        .address_space:  global
        .offset:         32
        .size:           8
        .value_kind:     global_buffer
      - .actual_access:  read_only
        .address_space:  global
        .offset:         40
        .size:           8
        .value_kind:     global_buffer
      - .actual_access:  write_only
        .address_space:  global
        .offset:         48
        .size:           8
        .value_kind:     global_buffer
      - .offset:         56
        .size:           8
        .value_kind:     by_value
      - .offset:         64
        .size:           4
        .value_kind:     by_value
    .group_segment_fixed_size: 0
    .kernarg_segment_align: 8
    .kernarg_segment_size: 68
    .language:       OpenCL C
    .language_version:
      - 2
      - 0
    .max_flat_workgroup_size: 1024
    .name:           _ZN9rocsparseL16csr2dense_kernelILi16ELi64EllfEEviT2_S1_PKT3_PKT1_PKS1_PS2_l16rocsparse_order_
    .private_segment_fixed_size: 0
    .sgpr_count:     21
    .sgpr_spill_count: 0
    .symbol:         _ZN9rocsparseL16csr2dense_kernelILi16ELi64EllfEEviT2_S1_PKT3_PKT1_PKS1_PS2_l16rocsparse_order_.kd
    .uniform_work_group_size: 1
    .uses_dynamic_stack: false
    .vgpr_count:     18
    .vgpr_spill_count: 0
    .wavefront_size: 64
  - .agpr_count:     0
    .args:
      - .offset:         0
        .size:           4
        .value_kind:     by_value
      - .offset:         8
        .size:           8
        .value_kind:     by_value
      - .offset:         16
        .size:           8
        .value_kind:     by_value
      - .actual_access:  read_only
        .address_space:  global
        .offset:         24
        .size:           8
        .value_kind:     global_buffer
      - .actual_access:  read_only
        .address_space:  global
        .offset:         32
        .size:           8
        .value_kind:     global_buffer
      - .actual_access:  read_only
        .address_space:  global
        .offset:         40
        .size:           8
        .value_kind:     global_buffer
      - .actual_access:  write_only
        .address_space:  global
        .offset:         48
        .size:           8
        .value_kind:     global_buffer
      - .offset:         56
        .size:           8
        .value_kind:     by_value
      - .offset:         64
        .size:           4
        .value_kind:     by_value
    .group_segment_fixed_size: 0
    .kernarg_segment_align: 8
    .kernarg_segment_size: 68
    .language:       OpenCL C
    .language_version:
      - 2
      - 0
    .max_flat_workgroup_size: 512
    .name:           _ZN9rocsparseL16csc2dense_kernelILi16ELi32EllfEEviT2_S1_PKT3_PKT1_PKS1_PS2_l16rocsparse_order_
    .private_segment_fixed_size: 0
    .sgpr_count:     21
    .sgpr_spill_count: 0
    .symbol:         _ZN9rocsparseL16csc2dense_kernelILi16ELi32EllfEEviT2_S1_PKT3_PKT1_PKS1_PS2_l16rocsparse_order_.kd
    .uniform_work_group_size: 1
    .uses_dynamic_stack: false
    .vgpr_count:     20
    .vgpr_spill_count: 0
    .wavefront_size: 64
  - .agpr_count:     0
    .args:
      - .offset:         0
        .size:           4
        .value_kind:     by_value
      - .offset:         8
        .size:           8
        .value_kind:     by_value
      - .offset:         16
        .size:           8
        .value_kind:     by_value
      - .actual_access:  read_only
        .address_space:  global
        .offset:         24
        .size:           8
        .value_kind:     global_buffer
      - .actual_access:  read_only
        .address_space:  global
        .offset:         32
        .size:           8
        .value_kind:     global_buffer
      - .actual_access:  read_only
        .address_space:  global
        .offset:         40
        .size:           8
        .value_kind:     global_buffer
      - .actual_access:  write_only
        .address_space:  global
        .offset:         48
        .size:           8
        .value_kind:     global_buffer
      - .offset:         56
        .size:           8
        .value_kind:     by_value
      - .offset:         64
        .size:           4
        .value_kind:     by_value
    .group_segment_fixed_size: 0
    .kernarg_segment_align: 8
    .kernarg_segment_size: 68
    .language:       OpenCL C
    .language_version:
      - 2
      - 0
    .max_flat_workgroup_size: 1024
    .name:           _ZN9rocsparseL16csc2dense_kernelILi16ELi64EllfEEviT2_S1_PKT3_PKT1_PKS1_PS2_l16rocsparse_order_
    .private_segment_fixed_size: 0
    .sgpr_count:     21
    .sgpr_spill_count: 0
    .symbol:         _ZN9rocsparseL16csc2dense_kernelILi16ELi64EllfEEviT2_S1_PKT3_PKT1_PKS1_PS2_l16rocsparse_order_.kd
    .uniform_work_group_size: 1
    .uses_dynamic_stack: false
    .vgpr_count:     20
    .vgpr_spill_count: 0
    .wavefront_size: 64
  - .agpr_count:     0
    .args:
      - .offset:         0
        .size:           8
        .value_kind:     by_value
      - .offset:         8
        .size:           8
        .value_kind:     by_value
      - .offset:         16
        .size:           8
        .value_kind:     by_value
      - .actual_access:  read_only
        .address_space:  global
        .offset:         24
        .size:           8
        .value_kind:     global_buffer
      - .offset:         32
        .size:           8
        .value_kind:     by_value
      - .actual_access:  write_only
        .address_space:  global
        .offset:         40
        .size:           8
        .value_kind:     global_buffer
      - .actual_access:  read_only
        .address_space:  global
        .offset:         48
        .size:           8
        .value_kind:     global_buffer
      - .actual_access:  read_only
        .address_space:  global
        .offset:         56
        .size:           8
        .value_kind:     global_buffer
      - .offset:         64
        .size:           4
        .value_kind:     by_value
    .group_segment_fixed_size: 0
    .kernarg_segment_align: 8
    .kernarg_segment_size: 68
    .language:       OpenCL C
    .language_version:
      - 2
      - 0
    .max_flat_workgroup_size: 512
    .name:           _ZN9rocsparseL23sddmm_csx_sample_kernelILi512ELi64EL20rocsparse_direction_1EfllfEEvT4_S2_T3_PKT5_S2_PS4_PKS3_PKS2_21rocsparse_index_base_
    .private_segment_fixed_size: 0
    .sgpr_count:     18
    .sgpr_spill_count: 0
    .symbol:         _ZN9rocsparseL23sddmm_csx_sample_kernelILi512ELi64EL20rocsparse_direction_1EfllfEEvT4_S2_T3_PKT5_S2_PS4_PKS3_PKS2_21rocsparse_index_base_.kd
    .uniform_work_group_size: 1
    .uses_dynamic_stack: false
    .vgpr_count:     12
    .vgpr_spill_count: 0
    .wavefront_size: 64
  - .agpr_count:     0
    .args:
      - .offset:         0
        .size:           8
        .value_kind:     by_value
      - .offset:         8
        .size:           8
        .value_kind:     by_value
      - .offset:         16
        .size:           8
        .value_kind:     by_value
      - .actual_access:  read_only
        .address_space:  global
        .offset:         24
        .size:           8
        .value_kind:     global_buffer
      - .offset:         32
        .size:           8
        .value_kind:     by_value
      - .actual_access:  write_only
        .address_space:  global
        .offset:         40
        .size:           8
        .value_kind:     global_buffer
      - .actual_access:  read_only
        .address_space:  global
        .offset:         48
        .size:           8
        .value_kind:     global_buffer
      - .actual_access:  read_only
        .address_space:  global
        .offset:         56
        .size:           8
        .value_kind:     global_buffer
      - .offset:         64
        .size:           4
        .value_kind:     by_value
    .group_segment_fixed_size: 0
    .kernarg_segment_align: 8
    .kernarg_segment_size: 68
    .language:       OpenCL C
    .language_version:
      - 2
      - 0
    .max_flat_workgroup_size: 512
    .name:           _ZN9rocsparseL23sddmm_csx_sample_kernelILi512ELi32EL20rocsparse_direction_1EfllfEEvT4_S2_T3_PKT5_S2_PS4_PKS3_PKS2_21rocsparse_index_base_
    .private_segment_fixed_size: 0
    .sgpr_count:     18
    .sgpr_spill_count: 0
    .symbol:         _ZN9rocsparseL23sddmm_csx_sample_kernelILi512ELi32EL20rocsparse_direction_1EfllfEEvT4_S2_T3_PKT5_S2_PS4_PKS3_PKS2_21rocsparse_index_base_.kd
    .uniform_work_group_size: 1
    .uses_dynamic_stack: false
    .vgpr_count:     12
    .vgpr_spill_count: 0
    .wavefront_size: 64
  - .agpr_count:     0
    .args:
      - .offset:         0
        .size:           8
        .value_kind:     by_value
      - .offset:         8
        .size:           8
        .value_kind:     by_value
      - .offset:         16
        .size:           8
        .value_kind:     by_value
      - .actual_access:  read_only
        .address_space:  global
        .offset:         24
        .size:           8
        .value_kind:     global_buffer
      - .offset:         32
        .size:           8
        .value_kind:     by_value
      - .actual_access:  write_only
        .address_space:  global
        .offset:         40
        .size:           8
        .value_kind:     global_buffer
      - .actual_access:  read_only
        .address_space:  global
        .offset:         48
        .size:           8
        .value_kind:     global_buffer
      - .actual_access:  read_only
        .address_space:  global
        .offset:         56
        .size:           8
        .value_kind:     global_buffer
      - .offset:         64
        .size:           4
        .value_kind:     by_value
    .group_segment_fixed_size: 0
    .kernarg_segment_align: 8
    .kernarg_segment_size: 68
    .language:       OpenCL C
    .language_version:
      - 2
      - 0
    .max_flat_workgroup_size: 512
    .name:           _ZN9rocsparseL23sddmm_csx_sample_kernelILi512ELi16EL20rocsparse_direction_1EfllfEEvT4_S2_T3_PKT5_S2_PS4_PKS3_PKS2_21rocsparse_index_base_
    .private_segment_fixed_size: 0
    .sgpr_count:     18
    .sgpr_spill_count: 0
    .symbol:         _ZN9rocsparseL23sddmm_csx_sample_kernelILi512ELi16EL20rocsparse_direction_1EfllfEEvT4_S2_T3_PKT5_S2_PS4_PKS3_PKS2_21rocsparse_index_base_.kd
    .uniform_work_group_size: 1
    .uses_dynamic_stack: false
    .vgpr_count:     12
    .vgpr_spill_count: 0
    .wavefront_size: 64
  - .agpr_count:     0
    .args:
      - .offset:         0
        .size:           8
        .value_kind:     by_value
      - .offset:         8
        .size:           8
        .value_kind:     by_value
      - .offset:         16
        .size:           8
        .value_kind:     by_value
      - .actual_access:  read_only
        .address_space:  global
        .offset:         24
        .size:           8
        .value_kind:     global_buffer
      - .offset:         32
        .size:           8
        .value_kind:     by_value
      - .actual_access:  write_only
        .address_space:  global
        .offset:         40
        .size:           8
        .value_kind:     global_buffer
      - .actual_access:  read_only
        .address_space:  global
        .offset:         48
        .size:           8
        .value_kind:     global_buffer
      - .actual_access:  read_only
        .address_space:  global
        .offset:         56
        .size:           8
        .value_kind:     global_buffer
      - .offset:         64
        .size:           4
        .value_kind:     by_value
    .group_segment_fixed_size: 0
    .kernarg_segment_align: 8
    .kernarg_segment_size: 68
    .language:       OpenCL C
    .language_version:
      - 2
      - 0
    .max_flat_workgroup_size: 512
    .name:           _ZN9rocsparseL23sddmm_csx_sample_kernelILi512ELi8EL20rocsparse_direction_1EfllfEEvT4_S2_T3_PKT5_S2_PS4_PKS3_PKS2_21rocsparse_index_base_
    .private_segment_fixed_size: 0
    .sgpr_count:     18
    .sgpr_spill_count: 0
    .symbol:         _ZN9rocsparseL23sddmm_csx_sample_kernelILi512ELi8EL20rocsparse_direction_1EfllfEEvT4_S2_T3_PKT5_S2_PS4_PKS3_PKS2_21rocsparse_index_base_.kd
    .uniform_work_group_size: 1
    .uses_dynamic_stack: false
    .vgpr_count:     12
    .vgpr_spill_count: 0
    .wavefront_size: 64
  - .agpr_count:     0
    .args:
      - .offset:         0
        .size:           8
        .value_kind:     by_value
      - .offset:         8
        .size:           8
        .value_kind:     by_value
      - .offset:         16
        .size:           8
        .value_kind:     by_value
      - .actual_access:  read_only
        .address_space:  global
        .offset:         24
        .size:           8
        .value_kind:     global_buffer
      - .offset:         32
        .size:           8
        .value_kind:     by_value
      - .actual_access:  write_only
        .address_space:  global
        .offset:         40
        .size:           8
        .value_kind:     global_buffer
      - .actual_access:  read_only
        .address_space:  global
        .offset:         48
        .size:           8
        .value_kind:     global_buffer
      - .actual_access:  read_only
        .address_space:  global
        .offset:         56
        .size:           8
        .value_kind:     global_buffer
      - .offset:         64
        .size:           4
        .value_kind:     by_value
    .group_segment_fixed_size: 0
    .kernarg_segment_align: 8
    .kernarg_segment_size: 68
    .language:       OpenCL C
    .language_version:
      - 2
      - 0
    .max_flat_workgroup_size: 512
    .name:           _ZN9rocsparseL23sddmm_csx_sample_kernelILi512ELi4EL20rocsparse_direction_1EfllfEEvT4_S2_T3_PKT5_S2_PS4_PKS3_PKS2_21rocsparse_index_base_
    .private_segment_fixed_size: 0
    .sgpr_count:     18
    .sgpr_spill_count: 0
    .symbol:         _ZN9rocsparseL23sddmm_csx_sample_kernelILi512ELi4EL20rocsparse_direction_1EfllfEEvT4_S2_T3_PKT5_S2_PS4_PKS3_PKS2_21rocsparse_index_base_.kd
    .uniform_work_group_size: 1
    .uses_dynamic_stack: false
    .vgpr_count:     12
    .vgpr_spill_count: 0
    .wavefront_size: 64
  - .agpr_count:     0
    .args:
      - .offset:         0
        .size:           8
        .value_kind:     by_value
      - .offset:         8
        .size:           8
        .value_kind:     by_value
      - .offset:         16
        .size:           8
        .value_kind:     by_value
      - .actual_access:  read_only
        .address_space:  global
        .offset:         24
        .size:           8
        .value_kind:     global_buffer
      - .offset:         32
        .size:           8
        .value_kind:     by_value
      - .actual_access:  write_only
        .address_space:  global
        .offset:         40
        .size:           8
        .value_kind:     global_buffer
      - .actual_access:  read_only
        .address_space:  global
        .offset:         48
        .size:           8
        .value_kind:     global_buffer
      - .actual_access:  read_only
        .address_space:  global
        .offset:         56
        .size:           8
        .value_kind:     global_buffer
      - .offset:         64
        .size:           4
        .value_kind:     by_value
    .group_segment_fixed_size: 0
    .kernarg_segment_align: 8
    .kernarg_segment_size: 68
    .language:       OpenCL C
    .language_version:
      - 2
      - 0
    .max_flat_workgroup_size: 512
    .name:           _ZN9rocsparseL23sddmm_csx_sample_kernelILi512ELi2EL20rocsparse_direction_1EfllfEEvT4_S2_T3_PKT5_S2_PS4_PKS3_PKS2_21rocsparse_index_base_
    .private_segment_fixed_size: 0
    .sgpr_count:     18
    .sgpr_spill_count: 0
    .symbol:         _ZN9rocsparseL23sddmm_csx_sample_kernelILi512ELi2EL20rocsparse_direction_1EfllfEEvT4_S2_T3_PKT5_S2_PS4_PKS3_PKS2_21rocsparse_index_base_.kd
    .uniform_work_group_size: 1
    .uses_dynamic_stack: false
    .vgpr_count:     12
    .vgpr_spill_count: 0
    .wavefront_size: 64
  - .agpr_count:     0
    .args:
      - .offset:         0
        .size:           8
        .value_kind:     by_value
      - .offset:         8
        .size:           8
        .value_kind:     by_value
      - .offset:         16
        .size:           8
        .value_kind:     by_value
      - .actual_access:  read_only
        .address_space:  global
        .offset:         24
        .size:           8
        .value_kind:     global_buffer
      - .offset:         32
        .size:           8
        .value_kind:     by_value
      - .actual_access:  write_only
        .address_space:  global
        .offset:         40
        .size:           8
        .value_kind:     global_buffer
      - .actual_access:  read_only
        .address_space:  global
        .offset:         48
        .size:           8
        .value_kind:     global_buffer
      - .actual_access:  read_only
        .address_space:  global
        .offset:         56
        .size:           8
        .value_kind:     global_buffer
      - .offset:         64
        .size:           4
        .value_kind:     by_value
    .group_segment_fixed_size: 0
    .kernarg_segment_align: 8
    .kernarg_segment_size: 68
    .language:       OpenCL C
    .language_version:
      - 2
      - 0
    .max_flat_workgroup_size: 512
    .name:           _ZN9rocsparseL23sddmm_csx_sample_kernelILi512ELi1EL20rocsparse_direction_1EfllfEEvT4_S2_T3_PKT5_S2_PS4_PKS3_PKS2_21rocsparse_index_base_
    .private_segment_fixed_size: 0
    .sgpr_count:     18
    .sgpr_spill_count: 0
    .symbol:         _ZN9rocsparseL23sddmm_csx_sample_kernelILi512ELi1EL20rocsparse_direction_1EfllfEEvT4_S2_T3_PKT5_S2_PS4_PKS3_PKS2_21rocsparse_index_base_.kd
    .uniform_work_group_size: 1
    .uses_dynamic_stack: false
    .vgpr_count:     12
    .vgpr_spill_count: 0
    .wavefront_size: 64
  - .agpr_count:     0
    .args:
      - .offset:         0
        .size:           4
        .value_kind:     by_value
      - .offset:         4
        .size:           4
        .value_kind:     by_value
      - .offset:         8
        .size:           4
        .value_kind:     by_value
      - .offset:         12
        .size:           4
        .value_kind:     by_value
      - .offset:         16
        .size:           8
        .value_kind:     by_value
      - .offset:         24
        .size:           8
        .value_kind:     by_value
      - .offset:         32
        .size:           8
        .value_kind:     by_value
      - .offset:         40
        .size:           8
        .value_kind:     by_value
      - .offset:         48
        .size:           8
        .value_kind:     by_value
      - .actual_access:  read_only
        .address_space:  global
        .offset:         56
        .size:           8
        .value_kind:     global_buffer
      - .offset:         64
        .size:           8
        .value_kind:     by_value
      - .actual_access:  read_only
        .address_space:  global
        .offset:         72
        .size:           8
        .value_kind:     global_buffer
      - .offset:         80
        .size:           8
        .value_kind:     by_value
      - .offset:         88
        .size:           8
        .value_kind:     by_value
      - .address_space:  global
        .offset:         96
        .size:           8
        .value_kind:     global_buffer
      - .actual_access:  read_only
        .address_space:  global
        .offset:         104
        .size:           8
        .value_kind:     global_buffer
      - .actual_access:  read_only
        .address_space:  global
        .offset:         112
        .size:           8
        .value_kind:     global_buffer
      - .offset:         120
        .size:           4
        .value_kind:     by_value
      - .offset:         124
        .size:           1
        .value_kind:     by_value
    .group_segment_fixed_size: 2048
    .kernarg_segment_align: 8
    .kernarg_segment_size: 128
    .language:       OpenCL C
    .language_version:
      - 2
      - 0
    .max_flat_workgroup_size: 512
    .name:           _ZN9rocsparseL16sddmm_csx_kernelILi512ELi8EL20rocsparse_direction_0EfllfffEEv20rocsparse_operation_S2_16rocsparse_order_S3_T4_S4_S4_T3_NS_24const_host_device_scalarIT2_EEPKT5_lPKT6_lS8_PT7_PKS5_PKS4_21rocsparse_index_base_b
    .private_segment_fixed_size: 0
    .sgpr_count:     44
    .sgpr_spill_count: 0
    .symbol:         _ZN9rocsparseL16sddmm_csx_kernelILi512ELi8EL20rocsparse_direction_0EfllfffEEv20rocsparse_operation_S2_16rocsparse_order_S3_T4_S4_S4_T3_NS_24const_host_device_scalarIT2_EEPKT5_lPKT6_lS8_PT7_PKS5_PKS4_21rocsparse_index_base_b.kd
    .uniform_work_group_size: 1
    .uses_dynamic_stack: false
    .vgpr_count:     21
    .vgpr_spill_count: 0
    .wavefront_size: 64
  - .agpr_count:     0
    .args:
      - .offset:         0
        .size:           4
        .value_kind:     by_value
      - .offset:         4
        .size:           4
        .value_kind:     by_value
      - .offset:         8
        .size:           4
        .value_kind:     by_value
      - .offset:         12
        .size:           4
        .value_kind:     by_value
      - .offset:         16
        .size:           8
        .value_kind:     by_value
      - .offset:         24
        .size:           8
        .value_kind:     by_value
      - .offset:         32
        .size:           8
        .value_kind:     by_value
      - .offset:         40
        .size:           8
        .value_kind:     by_value
      - .offset:         48
        .size:           8
        .value_kind:     by_value
      - .actual_access:  read_only
        .address_space:  global
        .offset:         56
        .size:           8
        .value_kind:     global_buffer
      - .offset:         64
        .size:           8
        .value_kind:     by_value
      - .actual_access:  read_only
        .address_space:  global
        .offset:         72
        .size:           8
        .value_kind:     global_buffer
      - .offset:         80
        .size:           8
        .value_kind:     by_value
      - .offset:         88
        .size:           8
        .value_kind:     by_value
      - .address_space:  global
        .offset:         96
        .size:           8
        .value_kind:     global_buffer
      - .actual_access:  read_only
        .address_space:  global
        .offset:         104
        .size:           8
        .value_kind:     global_buffer
      - .actual_access:  read_only
        .address_space:  global
        .offset:         112
        .size:           8
        .value_kind:     global_buffer
      - .offset:         120
        .size:           4
        .value_kind:     by_value
      - .offset:         124
        .size:           1
        .value_kind:     by_value
    .group_segment_fixed_size: 2048
    .kernarg_segment_align: 8
    .kernarg_segment_size: 128
    .language:       OpenCL C
    .language_version:
      - 2
      - 0
    .max_flat_workgroup_size: 512
    .name:           _ZN9rocsparseL16sddmm_csx_kernelILi512ELi4EL20rocsparse_direction_0EfllfffEEv20rocsparse_operation_S2_16rocsparse_order_S3_T4_S4_S4_T3_NS_24const_host_device_scalarIT2_EEPKT5_lPKT6_lS8_PT7_PKS5_PKS4_21rocsparse_index_base_b
    .private_segment_fixed_size: 0
    .sgpr_count:     42
    .sgpr_spill_count: 0
    .symbol:         _ZN9rocsparseL16sddmm_csx_kernelILi512ELi4EL20rocsparse_direction_0EfllfffEEv20rocsparse_operation_S2_16rocsparse_order_S3_T4_S4_S4_T3_NS_24const_host_device_scalarIT2_EEPKT5_lPKT6_lS8_PT7_PKS5_PKS4_21rocsparse_index_base_b.kd
    .uniform_work_group_size: 1
    .uses_dynamic_stack: false
    .vgpr_count:     21
    .vgpr_spill_count: 0
    .wavefront_size: 64
  - .agpr_count:     0
    .args:
      - .offset:         0
        .size:           4
        .value_kind:     by_value
      - .offset:         4
        .size:           4
        .value_kind:     by_value
      - .offset:         8
        .size:           4
        .value_kind:     by_value
      - .offset:         12
        .size:           4
        .value_kind:     by_value
      - .offset:         16
        .size:           8
        .value_kind:     by_value
      - .offset:         24
        .size:           8
        .value_kind:     by_value
      - .offset:         32
        .size:           8
        .value_kind:     by_value
      - .offset:         40
        .size:           8
        .value_kind:     by_value
      - .offset:         48
        .size:           8
        .value_kind:     by_value
      - .actual_access:  read_only
        .address_space:  global
        .offset:         56
        .size:           8
        .value_kind:     global_buffer
      - .offset:         64
        .size:           8
        .value_kind:     by_value
      - .actual_access:  read_only
        .address_space:  global
        .offset:         72
        .size:           8
        .value_kind:     global_buffer
      - .offset:         80
        .size:           8
        .value_kind:     by_value
      - .offset:         88
        .size:           8
        .value_kind:     by_value
      - .address_space:  global
        .offset:         96
        .size:           8
        .value_kind:     global_buffer
      - .actual_access:  read_only
        .address_space:  global
        .offset:         104
        .size:           8
        .value_kind:     global_buffer
      - .actual_access:  read_only
        .address_space:  global
        .offset:         112
        .size:           8
        .value_kind:     global_buffer
      - .offset:         120
        .size:           4
        .value_kind:     by_value
      - .offset:         124
        .size:           1
        .value_kind:     by_value
    .group_segment_fixed_size: 2048
    .kernarg_segment_align: 8
    .kernarg_segment_size: 128
    .language:       OpenCL C
    .language_version:
      - 2
      - 0
    .max_flat_workgroup_size: 512
    .name:           _ZN9rocsparseL16sddmm_csx_kernelILi512ELi2EL20rocsparse_direction_0EfllfffEEv20rocsparse_operation_S2_16rocsparse_order_S3_T4_S4_S4_T3_NS_24const_host_device_scalarIT2_EEPKT5_lPKT6_lS8_PT7_PKS5_PKS4_21rocsparse_index_base_b
    .private_segment_fixed_size: 0
    .sgpr_count:     38
    .sgpr_spill_count: 0
    .symbol:         _ZN9rocsparseL16sddmm_csx_kernelILi512ELi2EL20rocsparse_direction_0EfllfffEEv20rocsparse_operation_S2_16rocsparse_order_S3_T4_S4_S4_T3_NS_24const_host_device_scalarIT2_EEPKT5_lPKT6_lS8_PT7_PKS5_PKS4_21rocsparse_index_base_b.kd
    .uniform_work_group_size: 1
    .uses_dynamic_stack: false
    .vgpr_count:     21
    .vgpr_spill_count: 0
    .wavefront_size: 64
  - .agpr_count:     0
    .args:
      - .offset:         0
        .size:           4
        .value_kind:     by_value
      - .offset:         4
        .size:           4
        .value_kind:     by_value
      - .offset:         8
        .size:           4
        .value_kind:     by_value
      - .offset:         12
        .size:           4
        .value_kind:     by_value
      - .offset:         16
        .size:           8
        .value_kind:     by_value
      - .offset:         24
        .size:           8
        .value_kind:     by_value
      - .offset:         32
        .size:           8
        .value_kind:     by_value
      - .offset:         40
        .size:           8
        .value_kind:     by_value
      - .offset:         48
        .size:           8
        .value_kind:     by_value
      - .actual_access:  read_only
        .address_space:  global
        .offset:         56
        .size:           8
        .value_kind:     global_buffer
      - .offset:         64
        .size:           8
        .value_kind:     by_value
      - .actual_access:  read_only
        .address_space:  global
        .offset:         72
        .size:           8
        .value_kind:     global_buffer
      - .offset:         80
        .size:           8
        .value_kind:     by_value
      - .offset:         88
        .size:           8
        .value_kind:     by_value
      - .address_space:  global
        .offset:         96
        .size:           8
        .value_kind:     global_buffer
      - .actual_access:  read_only
        .address_space:  global
        .offset:         104
        .size:           8
        .value_kind:     global_buffer
      - .actual_access:  read_only
        .address_space:  global
        .offset:         112
        .size:           8
        .value_kind:     global_buffer
      - .offset:         120
        .size:           4
        .value_kind:     by_value
      - .offset:         124
        .size:           1
        .value_kind:     by_value
    .group_segment_fixed_size: 2048
    .kernarg_segment_align: 8
    .kernarg_segment_size: 128
    .language:       OpenCL C
    .language_version:
      - 2
      - 0
    .max_flat_workgroup_size: 512
    .name:           _ZN9rocsparseL16sddmm_csx_kernelILi512ELi1EL20rocsparse_direction_0EfllfffEEv20rocsparse_operation_S2_16rocsparse_order_S3_T4_S4_S4_T3_NS_24const_host_device_scalarIT2_EEPKT5_lPKT6_lS8_PT7_PKS5_PKS4_21rocsparse_index_base_b
    .private_segment_fixed_size: 0
    .sgpr_count:     38
    .sgpr_spill_count: 0
    .symbol:         _ZN9rocsparseL16sddmm_csx_kernelILi512ELi1EL20rocsparse_direction_0EfllfffEEv20rocsparse_operation_S2_16rocsparse_order_S3_T4_S4_S4_T3_NS_24const_host_device_scalarIT2_EEPKT5_lPKT6_lS8_PT7_PKS5_PKS4_21rocsparse_index_base_b.kd
    .uniform_work_group_size: 1
    .uses_dynamic_stack: false
    .vgpr_count:     14
    .vgpr_spill_count: 0
    .wavefront_size: 64
  - .agpr_count:     0
    .args:
      - .offset:         0
        .size:           4
        .value_kind:     by_value
      - .offset:         8
        .size:           8
        .value_kind:     by_value
      - .offset:         16
        .size:           8
        .value_kind:     by_value
      - .actual_access:  read_only
        .address_space:  global
        .offset:         24
        .size:           8
        .value_kind:     global_buffer
      - .actual_access:  read_only
        .address_space:  global
        .offset:         32
        .size:           8
        .value_kind:     global_buffer
      - .actual_access:  read_only
        .address_space:  global
        .offset:         40
        .size:           8
        .value_kind:     global_buffer
      - .actual_access:  write_only
        .address_space:  global
        .offset:         48
        .size:           8
        .value_kind:     global_buffer
      - .offset:         56
        .size:           8
        .value_kind:     by_value
      - .offset:         64
        .size:           4
        .value_kind:     by_value
    .group_segment_fixed_size: 0
    .kernarg_segment_align: 8
    .kernarg_segment_size: 68
    .language:       OpenCL C
    .language_version:
      - 2
      - 0
    .max_flat_workgroup_size: 512
    .name:           _ZN9rocsparseL16csr2dense_kernelILi16ELi32ElldEEviT2_S1_PKT3_PKT1_PKS1_PS2_l16rocsparse_order_
    .private_segment_fixed_size: 0
    .sgpr_count:     20
    .sgpr_spill_count: 0
    .symbol:         _ZN9rocsparseL16csr2dense_kernelILi16ELi32ElldEEviT2_S1_PKT3_PKT1_PKS1_PS2_l16rocsparse_order_.kd
    .uniform_work_group_size: 1
    .uses_dynamic_stack: false
    .vgpr_count:     20
    .vgpr_spill_count: 0
    .wavefront_size: 64
  - .agpr_count:     0
    .args:
      - .offset:         0
        .size:           4
        .value_kind:     by_value
      - .offset:         8
        .size:           8
        .value_kind:     by_value
      - .offset:         16
        .size:           8
        .value_kind:     by_value
      - .actual_access:  read_only
        .address_space:  global
        .offset:         24
        .size:           8
        .value_kind:     global_buffer
      - .actual_access:  read_only
        .address_space:  global
        .offset:         32
        .size:           8
        .value_kind:     global_buffer
      - .actual_access:  read_only
        .address_space:  global
        .offset:         40
        .size:           8
        .value_kind:     global_buffer
      - .actual_access:  write_only
        .address_space:  global
        .offset:         48
        .size:           8
        .value_kind:     global_buffer
      - .offset:         56
        .size:           8
        .value_kind:     by_value
      - .offset:         64
        .size:           4
        .value_kind:     by_value
    .group_segment_fixed_size: 0
    .kernarg_segment_align: 8
    .kernarg_segment_size: 68
    .language:       OpenCL C
    .language_version:
      - 2
      - 0
    .max_flat_workgroup_size: 1024
    .name:           _ZN9rocsparseL16csr2dense_kernelILi16ELi64ElldEEviT2_S1_PKT3_PKT1_PKS1_PS2_l16rocsparse_order_
    .private_segment_fixed_size: 0
    .sgpr_count:     20
    .sgpr_spill_count: 0
    .symbol:         _ZN9rocsparseL16csr2dense_kernelILi16ELi64ElldEEviT2_S1_PKT3_PKT1_PKS1_PS2_l16rocsparse_order_.kd
    .uniform_work_group_size: 1
    .uses_dynamic_stack: false
    .vgpr_count:     20
    .vgpr_spill_count: 0
    .wavefront_size: 64
  - .agpr_count:     0
    .args:
      - .offset:         0
        .size:           4
        .value_kind:     by_value
      - .offset:         8
        .size:           8
        .value_kind:     by_value
      - .offset:         16
        .size:           8
        .value_kind:     by_value
      - .actual_access:  read_only
        .address_space:  global
        .offset:         24
        .size:           8
        .value_kind:     global_buffer
      - .actual_access:  read_only
        .address_space:  global
        .offset:         32
        .size:           8
        .value_kind:     global_buffer
      - .actual_access:  read_only
        .address_space:  global
        .offset:         40
        .size:           8
        .value_kind:     global_buffer
      - .actual_access:  write_only
        .address_space:  global
        .offset:         48
        .size:           8
        .value_kind:     global_buffer
      - .offset:         56
        .size:           8
        .value_kind:     by_value
      - .offset:         64
        .size:           4
        .value_kind:     by_value
    .group_segment_fixed_size: 0
    .kernarg_segment_align: 8
    .kernarg_segment_size: 68
    .language:       OpenCL C
    .language_version:
      - 2
      - 0
    .max_flat_workgroup_size: 512
    .name:           _ZN9rocsparseL16csc2dense_kernelILi16ELi32ElldEEviT2_S1_PKT3_PKT1_PKS1_PS2_l16rocsparse_order_
    .private_segment_fixed_size: 0
    .sgpr_count:     20
    .sgpr_spill_count: 0
    .symbol:         _ZN9rocsparseL16csc2dense_kernelILi16ELi32ElldEEviT2_S1_PKT3_PKT1_PKS1_PS2_l16rocsparse_order_.kd
    .uniform_work_group_size: 1
    .uses_dynamic_stack: false
    .vgpr_count:     21
    .vgpr_spill_count: 0
    .wavefront_size: 64
  - .agpr_count:     0
    .args:
      - .offset:         0
        .size:           4
        .value_kind:     by_value
      - .offset:         8
        .size:           8
        .value_kind:     by_value
      - .offset:         16
        .size:           8
        .value_kind:     by_value
      - .actual_access:  read_only
        .address_space:  global
        .offset:         24
        .size:           8
        .value_kind:     global_buffer
      - .actual_access:  read_only
        .address_space:  global
        .offset:         32
        .size:           8
        .value_kind:     global_buffer
      - .actual_access:  read_only
        .address_space:  global
        .offset:         40
        .size:           8
        .value_kind:     global_buffer
      - .actual_access:  write_only
        .address_space:  global
        .offset:         48
        .size:           8
        .value_kind:     global_buffer
      - .offset:         56
        .size:           8
        .value_kind:     by_value
      - .offset:         64
        .size:           4
        .value_kind:     by_value
    .group_segment_fixed_size: 0
    .kernarg_segment_align: 8
    .kernarg_segment_size: 68
    .language:       OpenCL C
    .language_version:
      - 2
      - 0
    .max_flat_workgroup_size: 1024
    .name:           _ZN9rocsparseL16csc2dense_kernelILi16ELi64ElldEEviT2_S1_PKT3_PKT1_PKS1_PS2_l16rocsparse_order_
    .private_segment_fixed_size: 0
    .sgpr_count:     20
    .sgpr_spill_count: 0
    .symbol:         _ZN9rocsparseL16csc2dense_kernelILi16ELi64ElldEEviT2_S1_PKT3_PKT1_PKS1_PS2_l16rocsparse_order_.kd
    .uniform_work_group_size: 1
    .uses_dynamic_stack: false
    .vgpr_count:     21
    .vgpr_spill_count: 0
    .wavefront_size: 64
  - .agpr_count:     0
    .args:
      - .offset:         0
        .size:           8
        .value_kind:     by_value
      - .offset:         8
        .size:           8
        .value_kind:     by_value
      - .offset:         16
        .size:           8
        .value_kind:     by_value
      - .actual_access:  read_only
        .address_space:  global
        .offset:         24
        .size:           8
        .value_kind:     global_buffer
      - .offset:         32
        .size:           8
        .value_kind:     by_value
      - .actual_access:  write_only
        .address_space:  global
        .offset:         40
        .size:           8
        .value_kind:     global_buffer
      - .actual_access:  read_only
        .address_space:  global
        .offset:         48
        .size:           8
        .value_kind:     global_buffer
      - .actual_access:  read_only
        .address_space:  global
        .offset:         56
        .size:           8
        .value_kind:     global_buffer
      - .offset:         64
        .size:           4
        .value_kind:     by_value
    .group_segment_fixed_size: 0
    .kernarg_segment_align: 8
    .kernarg_segment_size: 68
    .language:       OpenCL C
    .language_version:
      - 2
      - 0
    .max_flat_workgroup_size: 512
    .name:           _ZN9rocsparseL23sddmm_csx_sample_kernelILi512ELi64EL20rocsparse_direction_1EdlldEEvT4_S2_T3_PKT5_S2_PS4_PKS3_PKS2_21rocsparse_index_base_
    .private_segment_fixed_size: 0
    .sgpr_count:     18
    .sgpr_spill_count: 0
    .symbol:         _ZN9rocsparseL23sddmm_csx_sample_kernelILi512ELi64EL20rocsparse_direction_1EdlldEEvT4_S2_T3_PKT5_S2_PS4_PKS3_PKS2_21rocsparse_index_base_.kd
    .uniform_work_group_size: 1
    .uses_dynamic_stack: false
    .vgpr_count:     12
    .vgpr_spill_count: 0
    .wavefront_size: 64
  - .agpr_count:     0
    .args:
      - .offset:         0
        .size:           8
        .value_kind:     by_value
      - .offset:         8
        .size:           8
        .value_kind:     by_value
      - .offset:         16
        .size:           8
        .value_kind:     by_value
      - .actual_access:  read_only
        .address_space:  global
        .offset:         24
        .size:           8
        .value_kind:     global_buffer
      - .offset:         32
        .size:           8
        .value_kind:     by_value
      - .actual_access:  write_only
        .address_space:  global
        .offset:         40
        .size:           8
        .value_kind:     global_buffer
      - .actual_access:  read_only
        .address_space:  global
        .offset:         48
        .size:           8
        .value_kind:     global_buffer
      - .actual_access:  read_only
        .address_space:  global
        .offset:         56
        .size:           8
        .value_kind:     global_buffer
      - .offset:         64
        .size:           4
        .value_kind:     by_value
    .group_segment_fixed_size: 0
    .kernarg_segment_align: 8
    .kernarg_segment_size: 68
    .language:       OpenCL C
    .language_version:
      - 2
      - 0
    .max_flat_workgroup_size: 512
    .name:           _ZN9rocsparseL23sddmm_csx_sample_kernelILi512ELi32EL20rocsparse_direction_1EdlldEEvT4_S2_T3_PKT5_S2_PS4_PKS3_PKS2_21rocsparse_index_base_
    .private_segment_fixed_size: 0
    .sgpr_count:     18
    .sgpr_spill_count: 0
    .symbol:         _ZN9rocsparseL23sddmm_csx_sample_kernelILi512ELi32EL20rocsparse_direction_1EdlldEEvT4_S2_T3_PKT5_S2_PS4_PKS3_PKS2_21rocsparse_index_base_.kd
    .uniform_work_group_size: 1
    .uses_dynamic_stack: false
    .vgpr_count:     12
    .vgpr_spill_count: 0
    .wavefront_size: 64
  - .agpr_count:     0
    .args:
      - .offset:         0
        .size:           8
        .value_kind:     by_value
      - .offset:         8
        .size:           8
        .value_kind:     by_value
      - .offset:         16
        .size:           8
        .value_kind:     by_value
      - .actual_access:  read_only
        .address_space:  global
        .offset:         24
        .size:           8
        .value_kind:     global_buffer
      - .offset:         32
        .size:           8
        .value_kind:     by_value
      - .actual_access:  write_only
        .address_space:  global
        .offset:         40
        .size:           8
        .value_kind:     global_buffer
      - .actual_access:  read_only
        .address_space:  global
        .offset:         48
        .size:           8
        .value_kind:     global_buffer
      - .actual_access:  read_only
        .address_space:  global
        .offset:         56
        .size:           8
        .value_kind:     global_buffer
      - .offset:         64
        .size:           4
        .value_kind:     by_value
    .group_segment_fixed_size: 0
    .kernarg_segment_align: 8
    .kernarg_segment_size: 68
    .language:       OpenCL C
    .language_version:
      - 2
      - 0
    .max_flat_workgroup_size: 512
    .name:           _ZN9rocsparseL23sddmm_csx_sample_kernelILi512ELi16EL20rocsparse_direction_1EdlldEEvT4_S2_T3_PKT5_S2_PS4_PKS3_PKS2_21rocsparse_index_base_
    .private_segment_fixed_size: 0
    .sgpr_count:     18
    .sgpr_spill_count: 0
    .symbol:         _ZN9rocsparseL23sddmm_csx_sample_kernelILi512ELi16EL20rocsparse_direction_1EdlldEEvT4_S2_T3_PKT5_S2_PS4_PKS3_PKS2_21rocsparse_index_base_.kd
    .uniform_work_group_size: 1
    .uses_dynamic_stack: false
    .vgpr_count:     12
    .vgpr_spill_count: 0
    .wavefront_size: 64
  - .agpr_count:     0
    .args:
      - .offset:         0
        .size:           8
        .value_kind:     by_value
      - .offset:         8
        .size:           8
        .value_kind:     by_value
      - .offset:         16
        .size:           8
        .value_kind:     by_value
      - .actual_access:  read_only
        .address_space:  global
        .offset:         24
        .size:           8
        .value_kind:     global_buffer
      - .offset:         32
        .size:           8
        .value_kind:     by_value
      - .actual_access:  write_only
        .address_space:  global
        .offset:         40
        .size:           8
        .value_kind:     global_buffer
      - .actual_access:  read_only
        .address_space:  global
        .offset:         48
        .size:           8
        .value_kind:     global_buffer
      - .actual_access:  read_only
        .address_space:  global
        .offset:         56
        .size:           8
        .value_kind:     global_buffer
      - .offset:         64
        .size:           4
        .value_kind:     by_value
    .group_segment_fixed_size: 0
    .kernarg_segment_align: 8
    .kernarg_segment_size: 68
    .language:       OpenCL C
    .language_version:
      - 2
      - 0
    .max_flat_workgroup_size: 512
    .name:           _ZN9rocsparseL23sddmm_csx_sample_kernelILi512ELi8EL20rocsparse_direction_1EdlldEEvT4_S2_T3_PKT5_S2_PS4_PKS3_PKS2_21rocsparse_index_base_
    .private_segment_fixed_size: 0
    .sgpr_count:     18
    .sgpr_spill_count: 0
    .symbol:         _ZN9rocsparseL23sddmm_csx_sample_kernelILi512ELi8EL20rocsparse_direction_1EdlldEEvT4_S2_T3_PKT5_S2_PS4_PKS3_PKS2_21rocsparse_index_base_.kd
    .uniform_work_group_size: 1
    .uses_dynamic_stack: false
    .vgpr_count:     12
    .vgpr_spill_count: 0
    .wavefront_size: 64
  - .agpr_count:     0
    .args:
      - .offset:         0
        .size:           8
        .value_kind:     by_value
      - .offset:         8
        .size:           8
        .value_kind:     by_value
      - .offset:         16
        .size:           8
        .value_kind:     by_value
      - .actual_access:  read_only
        .address_space:  global
        .offset:         24
        .size:           8
        .value_kind:     global_buffer
      - .offset:         32
        .size:           8
        .value_kind:     by_value
      - .actual_access:  write_only
        .address_space:  global
        .offset:         40
        .size:           8
        .value_kind:     global_buffer
      - .actual_access:  read_only
        .address_space:  global
        .offset:         48
        .size:           8
        .value_kind:     global_buffer
      - .actual_access:  read_only
        .address_space:  global
        .offset:         56
        .size:           8
        .value_kind:     global_buffer
      - .offset:         64
        .size:           4
        .value_kind:     by_value
    .group_segment_fixed_size: 0
    .kernarg_segment_align: 8
    .kernarg_segment_size: 68
    .language:       OpenCL C
    .language_version:
      - 2
      - 0
    .max_flat_workgroup_size: 512
    .name:           _ZN9rocsparseL23sddmm_csx_sample_kernelILi512ELi4EL20rocsparse_direction_1EdlldEEvT4_S2_T3_PKT5_S2_PS4_PKS3_PKS2_21rocsparse_index_base_
    .private_segment_fixed_size: 0
    .sgpr_count:     18
    .sgpr_spill_count: 0
    .symbol:         _ZN9rocsparseL23sddmm_csx_sample_kernelILi512ELi4EL20rocsparse_direction_1EdlldEEvT4_S2_T3_PKT5_S2_PS4_PKS3_PKS2_21rocsparse_index_base_.kd
    .uniform_work_group_size: 1
    .uses_dynamic_stack: false
    .vgpr_count:     12
    .vgpr_spill_count: 0
    .wavefront_size: 64
  - .agpr_count:     0
    .args:
      - .offset:         0
        .size:           8
        .value_kind:     by_value
      - .offset:         8
        .size:           8
        .value_kind:     by_value
      - .offset:         16
        .size:           8
        .value_kind:     by_value
      - .actual_access:  read_only
        .address_space:  global
        .offset:         24
        .size:           8
        .value_kind:     global_buffer
      - .offset:         32
        .size:           8
        .value_kind:     by_value
      - .actual_access:  write_only
        .address_space:  global
        .offset:         40
        .size:           8
        .value_kind:     global_buffer
      - .actual_access:  read_only
        .address_space:  global
        .offset:         48
        .size:           8
        .value_kind:     global_buffer
      - .actual_access:  read_only
        .address_space:  global
        .offset:         56
        .size:           8
        .value_kind:     global_buffer
      - .offset:         64
        .size:           4
        .value_kind:     by_value
    .group_segment_fixed_size: 0
    .kernarg_segment_align: 8
    .kernarg_segment_size: 68
    .language:       OpenCL C
    .language_version:
      - 2
      - 0
    .max_flat_workgroup_size: 512
    .name:           _ZN9rocsparseL23sddmm_csx_sample_kernelILi512ELi2EL20rocsparse_direction_1EdlldEEvT4_S2_T3_PKT5_S2_PS4_PKS3_PKS2_21rocsparse_index_base_
    .private_segment_fixed_size: 0
    .sgpr_count:     18
    .sgpr_spill_count: 0
    .symbol:         _ZN9rocsparseL23sddmm_csx_sample_kernelILi512ELi2EL20rocsparse_direction_1EdlldEEvT4_S2_T3_PKT5_S2_PS4_PKS3_PKS2_21rocsparse_index_base_.kd
    .uniform_work_group_size: 1
    .uses_dynamic_stack: false
    .vgpr_count:     12
    .vgpr_spill_count: 0
    .wavefront_size: 64
  - .agpr_count:     0
    .args:
      - .offset:         0
        .size:           8
        .value_kind:     by_value
      - .offset:         8
        .size:           8
        .value_kind:     by_value
      - .offset:         16
        .size:           8
        .value_kind:     by_value
      - .actual_access:  read_only
        .address_space:  global
        .offset:         24
        .size:           8
        .value_kind:     global_buffer
      - .offset:         32
        .size:           8
        .value_kind:     by_value
      - .actual_access:  write_only
        .address_space:  global
        .offset:         40
        .size:           8
        .value_kind:     global_buffer
      - .actual_access:  read_only
        .address_space:  global
        .offset:         48
        .size:           8
        .value_kind:     global_buffer
      - .actual_access:  read_only
        .address_space:  global
        .offset:         56
        .size:           8
        .value_kind:     global_buffer
      - .offset:         64
        .size:           4
        .value_kind:     by_value
    .group_segment_fixed_size: 0
    .kernarg_segment_align: 8
    .kernarg_segment_size: 68
    .language:       OpenCL C
    .language_version:
      - 2
      - 0
    .max_flat_workgroup_size: 512
    .name:           _ZN9rocsparseL23sddmm_csx_sample_kernelILi512ELi1EL20rocsparse_direction_1EdlldEEvT4_S2_T3_PKT5_S2_PS4_PKS3_PKS2_21rocsparse_index_base_
    .private_segment_fixed_size: 0
    .sgpr_count:     18
    .sgpr_spill_count: 0
    .symbol:         _ZN9rocsparseL23sddmm_csx_sample_kernelILi512ELi1EL20rocsparse_direction_1EdlldEEvT4_S2_T3_PKT5_S2_PS4_PKS3_PKS2_21rocsparse_index_base_.kd
    .uniform_work_group_size: 1
    .uses_dynamic_stack: false
    .vgpr_count:     12
    .vgpr_spill_count: 0
    .wavefront_size: 64
  - .agpr_count:     0
    .args:
      - .offset:         0
        .size:           4
        .value_kind:     by_value
      - .offset:         4
        .size:           4
        .value_kind:     by_value
      - .offset:         8
        .size:           4
        .value_kind:     by_value
      - .offset:         12
        .size:           4
        .value_kind:     by_value
      - .offset:         16
        .size:           8
        .value_kind:     by_value
      - .offset:         24
        .size:           8
        .value_kind:     by_value
      - .offset:         32
        .size:           8
        .value_kind:     by_value
      - .offset:         40
        .size:           8
        .value_kind:     by_value
      - .offset:         48
        .size:           8
        .value_kind:     by_value
      - .actual_access:  read_only
        .address_space:  global
        .offset:         56
        .size:           8
        .value_kind:     global_buffer
      - .offset:         64
        .size:           8
        .value_kind:     by_value
      - .actual_access:  read_only
        .address_space:  global
        .offset:         72
        .size:           8
        .value_kind:     global_buffer
      - .offset:         80
        .size:           8
        .value_kind:     by_value
      - .offset:         88
        .size:           8
        .value_kind:     by_value
      - .address_space:  global
        .offset:         96
        .size:           8
        .value_kind:     global_buffer
      - .actual_access:  read_only
        .address_space:  global
        .offset:         104
        .size:           8
        .value_kind:     global_buffer
      - .actual_access:  read_only
        .address_space:  global
        .offset:         112
        .size:           8
        .value_kind:     global_buffer
      - .offset:         120
        .size:           4
        .value_kind:     by_value
      - .offset:         124
        .size:           1
        .value_kind:     by_value
    .group_segment_fixed_size: 4096
    .kernarg_segment_align: 8
    .kernarg_segment_size: 128
    .language:       OpenCL C
    .language_version:
      - 2
      - 0
    .max_flat_workgroup_size: 512
    .name:           _ZN9rocsparseL16sddmm_csx_kernelILi512ELi8EL20rocsparse_direction_0EdlldddEEv20rocsparse_operation_S2_16rocsparse_order_S3_T4_S4_S4_T3_NS_24const_host_device_scalarIT2_EEPKT5_lPKT6_lS8_PT7_PKS5_PKS4_21rocsparse_index_base_b
    .private_segment_fixed_size: 0
    .sgpr_count:     42
    .sgpr_spill_count: 0
    .symbol:         _ZN9rocsparseL16sddmm_csx_kernelILi512ELi8EL20rocsparse_direction_0EdlldddEEv20rocsparse_operation_S2_16rocsparse_order_S3_T4_S4_S4_T3_NS_24const_host_device_scalarIT2_EEPKT5_lPKT6_lS8_PT7_PKS5_PKS4_21rocsparse_index_base_b.kd
    .uniform_work_group_size: 1
    .uses_dynamic_stack: false
    .vgpr_count:     28
    .vgpr_spill_count: 0
    .wavefront_size: 64
  - .agpr_count:     0
    .args:
      - .offset:         0
        .size:           4
        .value_kind:     by_value
      - .offset:         4
        .size:           4
        .value_kind:     by_value
      - .offset:         8
        .size:           4
        .value_kind:     by_value
      - .offset:         12
        .size:           4
        .value_kind:     by_value
      - .offset:         16
        .size:           8
        .value_kind:     by_value
      - .offset:         24
        .size:           8
        .value_kind:     by_value
      - .offset:         32
        .size:           8
        .value_kind:     by_value
      - .offset:         40
        .size:           8
        .value_kind:     by_value
      - .offset:         48
        .size:           8
        .value_kind:     by_value
      - .actual_access:  read_only
        .address_space:  global
        .offset:         56
        .size:           8
        .value_kind:     global_buffer
      - .offset:         64
        .size:           8
        .value_kind:     by_value
      - .actual_access:  read_only
        .address_space:  global
        .offset:         72
        .size:           8
        .value_kind:     global_buffer
      - .offset:         80
        .size:           8
        .value_kind:     by_value
      - .offset:         88
        .size:           8
        .value_kind:     by_value
      - .address_space:  global
        .offset:         96
        .size:           8
        .value_kind:     global_buffer
      - .actual_access:  read_only
        .address_space:  global
        .offset:         104
        .size:           8
        .value_kind:     global_buffer
      - .actual_access:  read_only
        .address_space:  global
        .offset:         112
        .size:           8
        .value_kind:     global_buffer
      - .offset:         120
        .size:           4
        .value_kind:     by_value
      - .offset:         124
        .size:           1
        .value_kind:     by_value
    .group_segment_fixed_size: 4096
    .kernarg_segment_align: 8
    .kernarg_segment_size: 128
    .language:       OpenCL C
    .language_version:
      - 2
      - 0
    .max_flat_workgroup_size: 512
    .name:           _ZN9rocsparseL16sddmm_csx_kernelILi512ELi4EL20rocsparse_direction_0EdlldddEEv20rocsparse_operation_S2_16rocsparse_order_S3_T4_S4_S4_T3_NS_24const_host_device_scalarIT2_EEPKT5_lPKT6_lS8_PT7_PKS5_PKS4_21rocsparse_index_base_b
    .private_segment_fixed_size: 0
    .sgpr_count:     38
    .sgpr_spill_count: 0
    .symbol:         _ZN9rocsparseL16sddmm_csx_kernelILi512ELi4EL20rocsparse_direction_0EdlldddEEv20rocsparse_operation_S2_16rocsparse_order_S3_T4_S4_S4_T3_NS_24const_host_device_scalarIT2_EEPKT5_lPKT6_lS8_PT7_PKS5_PKS4_21rocsparse_index_base_b.kd
    .uniform_work_group_size: 1
    .uses_dynamic_stack: false
    .vgpr_count:     28
    .vgpr_spill_count: 0
    .wavefront_size: 64
  - .agpr_count:     0
    .args:
      - .offset:         0
        .size:           4
        .value_kind:     by_value
      - .offset:         4
        .size:           4
        .value_kind:     by_value
      - .offset:         8
        .size:           4
        .value_kind:     by_value
      - .offset:         12
        .size:           4
        .value_kind:     by_value
      - .offset:         16
        .size:           8
        .value_kind:     by_value
      - .offset:         24
        .size:           8
        .value_kind:     by_value
      - .offset:         32
        .size:           8
        .value_kind:     by_value
      - .offset:         40
        .size:           8
        .value_kind:     by_value
      - .offset:         48
        .size:           8
        .value_kind:     by_value
      - .actual_access:  read_only
        .address_space:  global
        .offset:         56
        .size:           8
        .value_kind:     global_buffer
      - .offset:         64
        .size:           8
        .value_kind:     by_value
      - .actual_access:  read_only
        .address_space:  global
        .offset:         72
        .size:           8
        .value_kind:     global_buffer
      - .offset:         80
        .size:           8
        .value_kind:     by_value
      - .offset:         88
        .size:           8
        .value_kind:     by_value
      - .address_space:  global
        .offset:         96
        .size:           8
        .value_kind:     global_buffer
      - .actual_access:  read_only
        .address_space:  global
        .offset:         104
        .size:           8
        .value_kind:     global_buffer
      - .actual_access:  read_only
        .address_space:  global
        .offset:         112
        .size:           8
        .value_kind:     global_buffer
      - .offset:         120
        .size:           4
        .value_kind:     by_value
      - .offset:         124
        .size:           1
        .value_kind:     by_value
    .group_segment_fixed_size: 4096
    .kernarg_segment_align: 8
    .kernarg_segment_size: 128
    .language:       OpenCL C
    .language_version:
      - 2
      - 0
    .max_flat_workgroup_size: 512
    .name:           _ZN9rocsparseL16sddmm_csx_kernelILi512ELi2EL20rocsparse_direction_0EdlldddEEv20rocsparse_operation_S2_16rocsparse_order_S3_T4_S4_S4_T3_NS_24const_host_device_scalarIT2_EEPKT5_lPKT6_lS8_PT7_PKS5_PKS4_21rocsparse_index_base_b
    .private_segment_fixed_size: 0
    .sgpr_count:     36
    .sgpr_spill_count: 0
    .symbol:         _ZN9rocsparseL16sddmm_csx_kernelILi512ELi2EL20rocsparse_direction_0EdlldddEEv20rocsparse_operation_S2_16rocsparse_order_S3_T4_S4_S4_T3_NS_24const_host_device_scalarIT2_EEPKT5_lPKT6_lS8_PT7_PKS5_PKS4_21rocsparse_index_base_b.kd
    .uniform_work_group_size: 1
    .uses_dynamic_stack: false
    .vgpr_count:     28
    .vgpr_spill_count: 0
    .wavefront_size: 64
  - .agpr_count:     0
    .args:
      - .offset:         0
        .size:           4
        .value_kind:     by_value
      - .offset:         4
        .size:           4
        .value_kind:     by_value
      - .offset:         8
        .size:           4
        .value_kind:     by_value
      - .offset:         12
        .size:           4
        .value_kind:     by_value
      - .offset:         16
        .size:           8
        .value_kind:     by_value
      - .offset:         24
        .size:           8
        .value_kind:     by_value
      - .offset:         32
        .size:           8
        .value_kind:     by_value
      - .offset:         40
        .size:           8
        .value_kind:     by_value
      - .offset:         48
        .size:           8
        .value_kind:     by_value
      - .actual_access:  read_only
        .address_space:  global
        .offset:         56
        .size:           8
        .value_kind:     global_buffer
      - .offset:         64
        .size:           8
        .value_kind:     by_value
      - .actual_access:  read_only
        .address_space:  global
        .offset:         72
        .size:           8
        .value_kind:     global_buffer
      - .offset:         80
        .size:           8
        .value_kind:     by_value
      - .offset:         88
        .size:           8
        .value_kind:     by_value
      - .address_space:  global
        .offset:         96
        .size:           8
        .value_kind:     global_buffer
      - .actual_access:  read_only
        .address_space:  global
        .offset:         104
        .size:           8
        .value_kind:     global_buffer
      - .actual_access:  read_only
        .address_space:  global
        .offset:         112
        .size:           8
        .value_kind:     global_buffer
      - .offset:         120
        .size:           4
        .value_kind:     by_value
      - .offset:         124
        .size:           1
        .value_kind:     by_value
    .group_segment_fixed_size: 4096
    .kernarg_segment_align: 8
    .kernarg_segment_size: 128
    .language:       OpenCL C
    .language_version:
      - 2
      - 0
    .max_flat_workgroup_size: 512
    .name:           _ZN9rocsparseL16sddmm_csx_kernelILi512ELi1EL20rocsparse_direction_0EdlldddEEv20rocsparse_operation_S2_16rocsparse_order_S3_T4_S4_S4_T3_NS_24const_host_device_scalarIT2_EEPKT5_lPKT6_lS8_PT7_PKS5_PKS4_21rocsparse_index_base_b
    .private_segment_fixed_size: 0
    .sgpr_count:     36
    .sgpr_spill_count: 0
    .symbol:         _ZN9rocsparseL16sddmm_csx_kernelILi512ELi1EL20rocsparse_direction_0EdlldddEEv20rocsparse_operation_S2_16rocsparse_order_S3_T4_S4_S4_T3_NS_24const_host_device_scalarIT2_EEPKT5_lPKT6_lS8_PT7_PKS5_PKS4_21rocsparse_index_base_b.kd
    .uniform_work_group_size: 1
    .uses_dynamic_stack: false
    .vgpr_count:     22
    .vgpr_spill_count: 0
    .wavefront_size: 64
  - .agpr_count:     0
    .args:
      - .offset:         0
        .size:           4
        .value_kind:     by_value
      - .offset:         8
        .size:           8
        .value_kind:     by_value
      - .offset:         16
        .size:           8
        .value_kind:     by_value
      - .actual_access:  read_only
        .address_space:  global
        .offset:         24
        .size:           8
        .value_kind:     global_buffer
      - .actual_access:  read_only
        .address_space:  global
        .offset:         32
        .size:           8
        .value_kind:     global_buffer
      - .actual_access:  read_only
        .address_space:  global
        .offset:         40
        .size:           8
        .value_kind:     global_buffer
      - .actual_access:  write_only
        .address_space:  global
        .offset:         48
        .size:           8
        .value_kind:     global_buffer
      - .offset:         56
        .size:           8
        .value_kind:     by_value
      - .offset:         64
        .size:           4
        .value_kind:     by_value
    .group_segment_fixed_size: 0
    .kernarg_segment_align: 8
    .kernarg_segment_size: 68
    .language:       OpenCL C
    .language_version:
      - 2
      - 0
    .max_flat_workgroup_size: 512
    .name:           _ZN9rocsparseL16csr2dense_kernelILi16ELi32Ell21rocsparse_complex_numIfEEEviT2_S3_PKT3_PKT1_PKS3_PS4_l16rocsparse_order_
    .private_segment_fixed_size: 0
    .sgpr_count:     20
    .sgpr_spill_count: 0
    .symbol:         _ZN9rocsparseL16csr2dense_kernelILi16ELi32Ell21rocsparse_complex_numIfEEEviT2_S3_PKT3_PKT1_PKS3_PS4_l16rocsparse_order_.kd
    .uniform_work_group_size: 1
    .uses_dynamic_stack: false
    .vgpr_count:     20
    .vgpr_spill_count: 0
    .wavefront_size: 64
  - .agpr_count:     0
    .args:
      - .offset:         0
        .size:           4
        .value_kind:     by_value
      - .offset:         8
        .size:           8
        .value_kind:     by_value
      - .offset:         16
        .size:           8
        .value_kind:     by_value
      - .actual_access:  read_only
        .address_space:  global
        .offset:         24
        .size:           8
        .value_kind:     global_buffer
      - .actual_access:  read_only
        .address_space:  global
        .offset:         32
        .size:           8
        .value_kind:     global_buffer
      - .actual_access:  read_only
        .address_space:  global
        .offset:         40
        .size:           8
        .value_kind:     global_buffer
      - .actual_access:  write_only
        .address_space:  global
        .offset:         48
        .size:           8
        .value_kind:     global_buffer
      - .offset:         56
        .size:           8
        .value_kind:     by_value
      - .offset:         64
        .size:           4
        .value_kind:     by_value
    .group_segment_fixed_size: 0
    .kernarg_segment_align: 8
    .kernarg_segment_size: 68
    .language:       OpenCL C
    .language_version:
      - 2
      - 0
    .max_flat_workgroup_size: 1024
    .name:           _ZN9rocsparseL16csr2dense_kernelILi16ELi64Ell21rocsparse_complex_numIfEEEviT2_S3_PKT3_PKT1_PKS3_PS4_l16rocsparse_order_
    .private_segment_fixed_size: 0
    .sgpr_count:     20
    .sgpr_spill_count: 0
    .symbol:         _ZN9rocsparseL16csr2dense_kernelILi16ELi64Ell21rocsparse_complex_numIfEEEviT2_S3_PKT3_PKT1_PKS3_PS4_l16rocsparse_order_.kd
    .uniform_work_group_size: 1
    .uses_dynamic_stack: false
    .vgpr_count:     20
    .vgpr_spill_count: 0
    .wavefront_size: 64
  - .agpr_count:     0
    .args:
      - .offset:         0
        .size:           4
        .value_kind:     by_value
      - .offset:         8
        .size:           8
        .value_kind:     by_value
      - .offset:         16
        .size:           8
        .value_kind:     by_value
      - .actual_access:  read_only
        .address_space:  global
        .offset:         24
        .size:           8
        .value_kind:     global_buffer
      - .actual_access:  read_only
        .address_space:  global
        .offset:         32
        .size:           8
        .value_kind:     global_buffer
      - .actual_access:  read_only
        .address_space:  global
        .offset:         40
        .size:           8
        .value_kind:     global_buffer
      - .actual_access:  write_only
        .address_space:  global
        .offset:         48
        .size:           8
        .value_kind:     global_buffer
      - .offset:         56
        .size:           8
        .value_kind:     by_value
      - .offset:         64
        .size:           4
        .value_kind:     by_value
    .group_segment_fixed_size: 0
    .kernarg_segment_align: 8
    .kernarg_segment_size: 68
    .language:       OpenCL C
    .language_version:
      - 2
      - 0
    .max_flat_workgroup_size: 512
    .name:           _ZN9rocsparseL16csc2dense_kernelILi16ELi32Ell21rocsparse_complex_numIfEEEviT2_S3_PKT3_PKT1_PKS3_PS4_l16rocsparse_order_
    .private_segment_fixed_size: 0
    .sgpr_count:     20
    .sgpr_spill_count: 0
    .symbol:         _ZN9rocsparseL16csc2dense_kernelILi16ELi32Ell21rocsparse_complex_numIfEEEviT2_S3_PKT3_PKT1_PKS3_PS4_l16rocsparse_order_.kd
    .uniform_work_group_size: 1
    .uses_dynamic_stack: false
    .vgpr_count:     21
    .vgpr_spill_count: 0
    .wavefront_size: 64
  - .agpr_count:     0
    .args:
      - .offset:         0
        .size:           4
        .value_kind:     by_value
      - .offset:         8
        .size:           8
        .value_kind:     by_value
      - .offset:         16
        .size:           8
        .value_kind:     by_value
      - .actual_access:  read_only
        .address_space:  global
        .offset:         24
        .size:           8
        .value_kind:     global_buffer
      - .actual_access:  read_only
        .address_space:  global
        .offset:         32
        .size:           8
        .value_kind:     global_buffer
      - .actual_access:  read_only
        .address_space:  global
        .offset:         40
        .size:           8
        .value_kind:     global_buffer
      - .actual_access:  write_only
        .address_space:  global
        .offset:         48
        .size:           8
        .value_kind:     global_buffer
      - .offset:         56
        .size:           8
        .value_kind:     by_value
      - .offset:         64
        .size:           4
        .value_kind:     by_value
    .group_segment_fixed_size: 0
    .kernarg_segment_align: 8
    .kernarg_segment_size: 68
    .language:       OpenCL C
    .language_version:
      - 2
      - 0
    .max_flat_workgroup_size: 1024
    .name:           _ZN9rocsparseL16csc2dense_kernelILi16ELi64Ell21rocsparse_complex_numIfEEEviT2_S3_PKT3_PKT1_PKS3_PS4_l16rocsparse_order_
    .private_segment_fixed_size: 0
    .sgpr_count:     20
    .sgpr_spill_count: 0
    .symbol:         _ZN9rocsparseL16csc2dense_kernelILi16ELi64Ell21rocsparse_complex_numIfEEEviT2_S3_PKT3_PKT1_PKS3_PS4_l16rocsparse_order_.kd
    .uniform_work_group_size: 1
    .uses_dynamic_stack: false
    .vgpr_count:     21
    .vgpr_spill_count: 0
    .wavefront_size: 64
  - .agpr_count:     0
    .args:
      - .offset:         0
        .size:           8
        .value_kind:     by_value
      - .offset:         8
        .size:           8
        .value_kind:     by_value
      - .offset:         16
        .size:           8
        .value_kind:     by_value
      - .actual_access:  read_only
        .address_space:  global
        .offset:         24
        .size:           8
        .value_kind:     global_buffer
      - .offset:         32
        .size:           8
        .value_kind:     by_value
      - .actual_access:  write_only
        .address_space:  global
        .offset:         40
        .size:           8
        .value_kind:     global_buffer
      - .actual_access:  read_only
        .address_space:  global
        .offset:         48
        .size:           8
        .value_kind:     global_buffer
      - .actual_access:  read_only
        .address_space:  global
        .offset:         56
        .size:           8
        .value_kind:     global_buffer
      - .offset:         64
        .size:           4
        .value_kind:     by_value
    .group_segment_fixed_size: 0
    .kernarg_segment_align: 8
    .kernarg_segment_size: 68
    .language:       OpenCL C
    .language_version:
      - 2
      - 0
    .max_flat_workgroup_size: 512
    .name:           _ZN9rocsparseL23sddmm_csx_sample_kernelILi512ELi64EL20rocsparse_direction_1E21rocsparse_complex_numIfEllS3_EEvT4_S4_T3_PKT5_S4_PS6_PKS5_PKS4_21rocsparse_index_base_
    .private_segment_fixed_size: 0
    .sgpr_count:     18
    .sgpr_spill_count: 0
    .symbol:         _ZN9rocsparseL23sddmm_csx_sample_kernelILi512ELi64EL20rocsparse_direction_1E21rocsparse_complex_numIfEllS3_EEvT4_S4_T3_PKT5_S4_PS6_PKS5_PKS4_21rocsparse_index_base_.kd
    .uniform_work_group_size: 1
    .uses_dynamic_stack: false
    .vgpr_count:     12
    .vgpr_spill_count: 0
    .wavefront_size: 64
  - .agpr_count:     0
    .args:
      - .offset:         0
        .size:           8
        .value_kind:     by_value
      - .offset:         8
        .size:           8
        .value_kind:     by_value
      - .offset:         16
        .size:           8
        .value_kind:     by_value
      - .actual_access:  read_only
        .address_space:  global
        .offset:         24
        .size:           8
        .value_kind:     global_buffer
      - .offset:         32
        .size:           8
        .value_kind:     by_value
      - .actual_access:  write_only
        .address_space:  global
        .offset:         40
        .size:           8
        .value_kind:     global_buffer
      - .actual_access:  read_only
        .address_space:  global
        .offset:         48
        .size:           8
        .value_kind:     global_buffer
      - .actual_access:  read_only
        .address_space:  global
        .offset:         56
        .size:           8
        .value_kind:     global_buffer
      - .offset:         64
        .size:           4
        .value_kind:     by_value
    .group_segment_fixed_size: 0
    .kernarg_segment_align: 8
    .kernarg_segment_size: 68
    .language:       OpenCL C
    .language_version:
      - 2
      - 0
    .max_flat_workgroup_size: 512
    .name:           _ZN9rocsparseL23sddmm_csx_sample_kernelILi512ELi32EL20rocsparse_direction_1E21rocsparse_complex_numIfEllS3_EEvT4_S4_T3_PKT5_S4_PS6_PKS5_PKS4_21rocsparse_index_base_
    .private_segment_fixed_size: 0
    .sgpr_count:     18
    .sgpr_spill_count: 0
    .symbol:         _ZN9rocsparseL23sddmm_csx_sample_kernelILi512ELi32EL20rocsparse_direction_1E21rocsparse_complex_numIfEllS3_EEvT4_S4_T3_PKT5_S4_PS6_PKS5_PKS4_21rocsparse_index_base_.kd
    .uniform_work_group_size: 1
    .uses_dynamic_stack: false
    .vgpr_count:     12
    .vgpr_spill_count: 0
    .wavefront_size: 64
  - .agpr_count:     0
    .args:
      - .offset:         0
        .size:           8
        .value_kind:     by_value
      - .offset:         8
        .size:           8
        .value_kind:     by_value
      - .offset:         16
        .size:           8
        .value_kind:     by_value
      - .actual_access:  read_only
        .address_space:  global
        .offset:         24
        .size:           8
        .value_kind:     global_buffer
      - .offset:         32
        .size:           8
        .value_kind:     by_value
      - .actual_access:  write_only
        .address_space:  global
        .offset:         40
        .size:           8
        .value_kind:     global_buffer
      - .actual_access:  read_only
        .address_space:  global
        .offset:         48
        .size:           8
        .value_kind:     global_buffer
      - .actual_access:  read_only
        .address_space:  global
        .offset:         56
        .size:           8
        .value_kind:     global_buffer
      - .offset:         64
        .size:           4
        .value_kind:     by_value
    .group_segment_fixed_size: 0
    .kernarg_segment_align: 8
    .kernarg_segment_size: 68
    .language:       OpenCL C
    .language_version:
      - 2
      - 0
    .max_flat_workgroup_size: 512
    .name:           _ZN9rocsparseL23sddmm_csx_sample_kernelILi512ELi16EL20rocsparse_direction_1E21rocsparse_complex_numIfEllS3_EEvT4_S4_T3_PKT5_S4_PS6_PKS5_PKS4_21rocsparse_index_base_
    .private_segment_fixed_size: 0
    .sgpr_count:     18
    .sgpr_spill_count: 0
    .symbol:         _ZN9rocsparseL23sddmm_csx_sample_kernelILi512ELi16EL20rocsparse_direction_1E21rocsparse_complex_numIfEllS3_EEvT4_S4_T3_PKT5_S4_PS6_PKS5_PKS4_21rocsparse_index_base_.kd
    .uniform_work_group_size: 1
    .uses_dynamic_stack: false
    .vgpr_count:     12
    .vgpr_spill_count: 0
    .wavefront_size: 64
  - .agpr_count:     0
    .args:
      - .offset:         0
        .size:           8
        .value_kind:     by_value
      - .offset:         8
        .size:           8
        .value_kind:     by_value
      - .offset:         16
        .size:           8
        .value_kind:     by_value
      - .actual_access:  read_only
        .address_space:  global
        .offset:         24
        .size:           8
        .value_kind:     global_buffer
      - .offset:         32
        .size:           8
        .value_kind:     by_value
      - .actual_access:  write_only
        .address_space:  global
        .offset:         40
        .size:           8
        .value_kind:     global_buffer
      - .actual_access:  read_only
        .address_space:  global
        .offset:         48
        .size:           8
        .value_kind:     global_buffer
      - .actual_access:  read_only
        .address_space:  global
        .offset:         56
        .size:           8
        .value_kind:     global_buffer
      - .offset:         64
        .size:           4
        .value_kind:     by_value
    .group_segment_fixed_size: 0
    .kernarg_segment_align: 8
    .kernarg_segment_size: 68
    .language:       OpenCL C
    .language_version:
      - 2
      - 0
    .max_flat_workgroup_size: 512
    .name:           _ZN9rocsparseL23sddmm_csx_sample_kernelILi512ELi8EL20rocsparse_direction_1E21rocsparse_complex_numIfEllS3_EEvT4_S4_T3_PKT5_S4_PS6_PKS5_PKS4_21rocsparse_index_base_
    .private_segment_fixed_size: 0
    .sgpr_count:     18
    .sgpr_spill_count: 0
    .symbol:         _ZN9rocsparseL23sddmm_csx_sample_kernelILi512ELi8EL20rocsparse_direction_1E21rocsparse_complex_numIfEllS3_EEvT4_S4_T3_PKT5_S4_PS6_PKS5_PKS4_21rocsparse_index_base_.kd
    .uniform_work_group_size: 1
    .uses_dynamic_stack: false
    .vgpr_count:     12
    .vgpr_spill_count: 0
    .wavefront_size: 64
  - .agpr_count:     0
    .args:
      - .offset:         0
        .size:           8
        .value_kind:     by_value
      - .offset:         8
        .size:           8
        .value_kind:     by_value
      - .offset:         16
        .size:           8
        .value_kind:     by_value
      - .actual_access:  read_only
        .address_space:  global
        .offset:         24
        .size:           8
        .value_kind:     global_buffer
      - .offset:         32
        .size:           8
        .value_kind:     by_value
      - .actual_access:  write_only
        .address_space:  global
        .offset:         40
        .size:           8
        .value_kind:     global_buffer
      - .actual_access:  read_only
        .address_space:  global
        .offset:         48
        .size:           8
        .value_kind:     global_buffer
      - .actual_access:  read_only
        .address_space:  global
        .offset:         56
        .size:           8
        .value_kind:     global_buffer
      - .offset:         64
        .size:           4
        .value_kind:     by_value
    .group_segment_fixed_size: 0
    .kernarg_segment_align: 8
    .kernarg_segment_size: 68
    .language:       OpenCL C
    .language_version:
      - 2
      - 0
    .max_flat_workgroup_size: 512
    .name:           _ZN9rocsparseL23sddmm_csx_sample_kernelILi512ELi4EL20rocsparse_direction_1E21rocsparse_complex_numIfEllS3_EEvT4_S4_T3_PKT5_S4_PS6_PKS5_PKS4_21rocsparse_index_base_
    .private_segment_fixed_size: 0
    .sgpr_count:     18
    .sgpr_spill_count: 0
    .symbol:         _ZN9rocsparseL23sddmm_csx_sample_kernelILi512ELi4EL20rocsparse_direction_1E21rocsparse_complex_numIfEllS3_EEvT4_S4_T3_PKT5_S4_PS6_PKS5_PKS4_21rocsparse_index_base_.kd
    .uniform_work_group_size: 1
    .uses_dynamic_stack: false
    .vgpr_count:     12
    .vgpr_spill_count: 0
    .wavefront_size: 64
  - .agpr_count:     0
    .args:
      - .offset:         0
        .size:           8
        .value_kind:     by_value
      - .offset:         8
        .size:           8
        .value_kind:     by_value
      - .offset:         16
        .size:           8
        .value_kind:     by_value
      - .actual_access:  read_only
        .address_space:  global
        .offset:         24
        .size:           8
        .value_kind:     global_buffer
      - .offset:         32
        .size:           8
        .value_kind:     by_value
      - .actual_access:  write_only
        .address_space:  global
        .offset:         40
        .size:           8
        .value_kind:     global_buffer
      - .actual_access:  read_only
        .address_space:  global
        .offset:         48
        .size:           8
        .value_kind:     global_buffer
      - .actual_access:  read_only
        .address_space:  global
        .offset:         56
        .size:           8
        .value_kind:     global_buffer
      - .offset:         64
        .size:           4
        .value_kind:     by_value
    .group_segment_fixed_size: 0
    .kernarg_segment_align: 8
    .kernarg_segment_size: 68
    .language:       OpenCL C
    .language_version:
      - 2
      - 0
    .max_flat_workgroup_size: 512
    .name:           _ZN9rocsparseL23sddmm_csx_sample_kernelILi512ELi2EL20rocsparse_direction_1E21rocsparse_complex_numIfEllS3_EEvT4_S4_T3_PKT5_S4_PS6_PKS5_PKS4_21rocsparse_index_base_
    .private_segment_fixed_size: 0
    .sgpr_count:     18
    .sgpr_spill_count: 0
    .symbol:         _ZN9rocsparseL23sddmm_csx_sample_kernelILi512ELi2EL20rocsparse_direction_1E21rocsparse_complex_numIfEllS3_EEvT4_S4_T3_PKT5_S4_PS6_PKS5_PKS4_21rocsparse_index_base_.kd
    .uniform_work_group_size: 1
    .uses_dynamic_stack: false
    .vgpr_count:     12
    .vgpr_spill_count: 0
    .wavefront_size: 64
  - .agpr_count:     0
    .args:
      - .offset:         0
        .size:           8
        .value_kind:     by_value
      - .offset:         8
        .size:           8
        .value_kind:     by_value
      - .offset:         16
        .size:           8
        .value_kind:     by_value
      - .actual_access:  read_only
        .address_space:  global
        .offset:         24
        .size:           8
        .value_kind:     global_buffer
      - .offset:         32
        .size:           8
        .value_kind:     by_value
      - .actual_access:  write_only
        .address_space:  global
        .offset:         40
        .size:           8
        .value_kind:     global_buffer
      - .actual_access:  read_only
        .address_space:  global
        .offset:         48
        .size:           8
        .value_kind:     global_buffer
      - .actual_access:  read_only
        .address_space:  global
        .offset:         56
        .size:           8
        .value_kind:     global_buffer
      - .offset:         64
        .size:           4
        .value_kind:     by_value
    .group_segment_fixed_size: 0
    .kernarg_segment_align: 8
    .kernarg_segment_size: 68
    .language:       OpenCL C
    .language_version:
      - 2
      - 0
    .max_flat_workgroup_size: 512
    .name:           _ZN9rocsparseL23sddmm_csx_sample_kernelILi512ELi1EL20rocsparse_direction_1E21rocsparse_complex_numIfEllS3_EEvT4_S4_T3_PKT5_S4_PS6_PKS5_PKS4_21rocsparse_index_base_
    .private_segment_fixed_size: 0
    .sgpr_count:     18
    .sgpr_spill_count: 0
    .symbol:         _ZN9rocsparseL23sddmm_csx_sample_kernelILi512ELi1EL20rocsparse_direction_1E21rocsparse_complex_numIfEllS3_EEvT4_S4_T3_PKT5_S4_PS6_PKS5_PKS4_21rocsparse_index_base_.kd
    .uniform_work_group_size: 1
    .uses_dynamic_stack: false
    .vgpr_count:     12
    .vgpr_spill_count: 0
    .wavefront_size: 64
  - .agpr_count:     0
    .args:
      - .offset:         0
        .size:           4
        .value_kind:     by_value
      - .offset:         4
        .size:           4
        .value_kind:     by_value
      - .offset:         8
        .size:           4
        .value_kind:     by_value
      - .offset:         12
        .size:           4
        .value_kind:     by_value
      - .offset:         16
        .size:           8
        .value_kind:     by_value
      - .offset:         24
        .size:           8
        .value_kind:     by_value
      - .offset:         32
        .size:           8
        .value_kind:     by_value
      - .offset:         40
        .size:           8
        .value_kind:     by_value
      - .offset:         48
        .size:           8
        .value_kind:     by_value
      - .actual_access:  read_only
        .address_space:  global
        .offset:         56
        .size:           8
        .value_kind:     global_buffer
      - .offset:         64
        .size:           8
        .value_kind:     by_value
      - .actual_access:  read_only
        .address_space:  global
        .offset:         72
        .size:           8
        .value_kind:     global_buffer
      - .offset:         80
        .size:           8
        .value_kind:     by_value
      - .offset:         88
        .size:           8
        .value_kind:     by_value
      - .address_space:  global
        .offset:         96
        .size:           8
        .value_kind:     global_buffer
      - .actual_access:  read_only
        .address_space:  global
        .offset:         104
        .size:           8
        .value_kind:     global_buffer
      - .actual_access:  read_only
        .address_space:  global
        .offset:         112
        .size:           8
        .value_kind:     global_buffer
      - .offset:         120
        .size:           4
        .value_kind:     by_value
      - .offset:         124
        .size:           1
        .value_kind:     by_value
    .group_segment_fixed_size: 4096
    .kernarg_segment_align: 8
    .kernarg_segment_size: 128
    .language:       OpenCL C
    .language_version:
      - 2
      - 0
    .max_flat_workgroup_size: 512
    .name:           _ZN9rocsparseL16sddmm_csx_kernelILi512ELi8EL20rocsparse_direction_0E21rocsparse_complex_numIfEllS3_S3_S3_EEv20rocsparse_operation_S4_16rocsparse_order_S5_T4_S6_S6_T3_NS_24const_host_device_scalarIT2_EEPKT5_lPKT6_lSA_PT7_PKS7_PKS6_21rocsparse_index_base_b
    .private_segment_fixed_size: 0
    .sgpr_count:     42
    .sgpr_spill_count: 0
    .symbol:         _ZN9rocsparseL16sddmm_csx_kernelILi512ELi8EL20rocsparse_direction_0E21rocsparse_complex_numIfEllS3_S3_S3_EEv20rocsparse_operation_S4_16rocsparse_order_S5_T4_S6_S6_T3_NS_24const_host_device_scalarIT2_EEPKT5_lPKT6_lSA_PT7_PKS7_PKS6_21rocsparse_index_base_b.kd
    .uniform_work_group_size: 1
    .uses_dynamic_stack: false
    .vgpr_count:     34
    .vgpr_spill_count: 0
    .wavefront_size: 64
  - .agpr_count:     0
    .args:
      - .offset:         0
        .size:           4
        .value_kind:     by_value
      - .offset:         4
        .size:           4
        .value_kind:     by_value
      - .offset:         8
        .size:           4
        .value_kind:     by_value
      - .offset:         12
        .size:           4
        .value_kind:     by_value
      - .offset:         16
        .size:           8
        .value_kind:     by_value
      - .offset:         24
        .size:           8
        .value_kind:     by_value
      - .offset:         32
        .size:           8
        .value_kind:     by_value
      - .offset:         40
        .size:           8
        .value_kind:     by_value
      - .offset:         48
        .size:           8
        .value_kind:     by_value
      - .actual_access:  read_only
        .address_space:  global
        .offset:         56
        .size:           8
        .value_kind:     global_buffer
      - .offset:         64
        .size:           8
        .value_kind:     by_value
      - .actual_access:  read_only
        .address_space:  global
        .offset:         72
        .size:           8
        .value_kind:     global_buffer
      - .offset:         80
        .size:           8
        .value_kind:     by_value
      - .offset:         88
        .size:           8
        .value_kind:     by_value
      - .address_space:  global
        .offset:         96
        .size:           8
        .value_kind:     global_buffer
      - .actual_access:  read_only
        .address_space:  global
        .offset:         104
        .size:           8
        .value_kind:     global_buffer
      - .actual_access:  read_only
        .address_space:  global
        .offset:         112
        .size:           8
        .value_kind:     global_buffer
      - .offset:         120
        .size:           4
        .value_kind:     by_value
      - .offset:         124
        .size:           1
        .value_kind:     by_value
    .group_segment_fixed_size: 4096
    .kernarg_segment_align: 8
    .kernarg_segment_size: 128
    .language:       OpenCL C
    .language_version:
      - 2
      - 0
    .max_flat_workgroup_size: 512
    .name:           _ZN9rocsparseL16sddmm_csx_kernelILi512ELi4EL20rocsparse_direction_0E21rocsparse_complex_numIfEllS3_S3_S3_EEv20rocsparse_operation_S4_16rocsparse_order_S5_T4_S6_S6_T3_NS_24const_host_device_scalarIT2_EEPKT5_lPKT6_lSA_PT7_PKS7_PKS6_21rocsparse_index_base_b
    .private_segment_fixed_size: 0
    .sgpr_count:     38
    .sgpr_spill_count: 0
    .symbol:         _ZN9rocsparseL16sddmm_csx_kernelILi512ELi4EL20rocsparse_direction_0E21rocsparse_complex_numIfEllS3_S3_S3_EEv20rocsparse_operation_S4_16rocsparse_order_S5_T4_S6_S6_T3_NS_24const_host_device_scalarIT2_EEPKT5_lPKT6_lSA_PT7_PKS7_PKS6_21rocsparse_index_base_b.kd
    .uniform_work_group_size: 1
    .uses_dynamic_stack: false
    .vgpr_count:     34
    .vgpr_spill_count: 0
    .wavefront_size: 64
  - .agpr_count:     0
    .args:
      - .offset:         0
        .size:           4
        .value_kind:     by_value
      - .offset:         4
        .size:           4
        .value_kind:     by_value
      - .offset:         8
        .size:           4
        .value_kind:     by_value
      - .offset:         12
        .size:           4
        .value_kind:     by_value
      - .offset:         16
        .size:           8
        .value_kind:     by_value
      - .offset:         24
        .size:           8
        .value_kind:     by_value
      - .offset:         32
        .size:           8
        .value_kind:     by_value
      - .offset:         40
        .size:           8
        .value_kind:     by_value
      - .offset:         48
        .size:           8
        .value_kind:     by_value
      - .actual_access:  read_only
        .address_space:  global
        .offset:         56
        .size:           8
        .value_kind:     global_buffer
      - .offset:         64
        .size:           8
        .value_kind:     by_value
      - .actual_access:  read_only
        .address_space:  global
        .offset:         72
        .size:           8
        .value_kind:     global_buffer
      - .offset:         80
        .size:           8
        .value_kind:     by_value
      - .offset:         88
        .size:           8
        .value_kind:     by_value
      - .address_space:  global
        .offset:         96
        .size:           8
        .value_kind:     global_buffer
      - .actual_access:  read_only
        .address_space:  global
        .offset:         104
        .size:           8
        .value_kind:     global_buffer
      - .actual_access:  read_only
        .address_space:  global
        .offset:         112
        .size:           8
        .value_kind:     global_buffer
      - .offset:         120
        .size:           4
        .value_kind:     by_value
      - .offset:         124
        .size:           1
        .value_kind:     by_value
    .group_segment_fixed_size: 4096
    .kernarg_segment_align: 8
    .kernarg_segment_size: 128
    .language:       OpenCL C
    .language_version:
      - 2
      - 0
    .max_flat_workgroup_size: 512
    .name:           _ZN9rocsparseL16sddmm_csx_kernelILi512ELi2EL20rocsparse_direction_0E21rocsparse_complex_numIfEllS3_S3_S3_EEv20rocsparse_operation_S4_16rocsparse_order_S5_T4_S6_S6_T3_NS_24const_host_device_scalarIT2_EEPKT5_lPKT6_lSA_PT7_PKS7_PKS6_21rocsparse_index_base_b
    .private_segment_fixed_size: 0
    .sgpr_count:     36
    .sgpr_spill_count: 0
    .symbol:         _ZN9rocsparseL16sddmm_csx_kernelILi512ELi2EL20rocsparse_direction_0E21rocsparse_complex_numIfEllS3_S3_S3_EEv20rocsparse_operation_S4_16rocsparse_order_S5_T4_S6_S6_T3_NS_24const_host_device_scalarIT2_EEPKT5_lPKT6_lSA_PT7_PKS7_PKS6_21rocsparse_index_base_b.kd
    .uniform_work_group_size: 1
    .uses_dynamic_stack: false
    .vgpr_count:     34
    .vgpr_spill_count: 0
    .wavefront_size: 64
  - .agpr_count:     0
    .args:
      - .offset:         0
        .size:           4
        .value_kind:     by_value
      - .offset:         4
        .size:           4
        .value_kind:     by_value
      - .offset:         8
        .size:           4
        .value_kind:     by_value
      - .offset:         12
        .size:           4
        .value_kind:     by_value
      - .offset:         16
        .size:           8
        .value_kind:     by_value
      - .offset:         24
        .size:           8
        .value_kind:     by_value
      - .offset:         32
        .size:           8
        .value_kind:     by_value
      - .offset:         40
        .size:           8
        .value_kind:     by_value
      - .offset:         48
        .size:           8
        .value_kind:     by_value
      - .actual_access:  read_only
        .address_space:  global
        .offset:         56
        .size:           8
        .value_kind:     global_buffer
      - .offset:         64
        .size:           8
        .value_kind:     by_value
      - .actual_access:  read_only
        .address_space:  global
        .offset:         72
        .size:           8
        .value_kind:     global_buffer
      - .offset:         80
        .size:           8
        .value_kind:     by_value
      - .offset:         88
        .size:           8
        .value_kind:     by_value
      - .address_space:  global
        .offset:         96
        .size:           8
        .value_kind:     global_buffer
      - .actual_access:  read_only
        .address_space:  global
        .offset:         104
        .size:           8
        .value_kind:     global_buffer
      - .actual_access:  read_only
        .address_space:  global
        .offset:         112
        .size:           8
        .value_kind:     global_buffer
      - .offset:         120
        .size:           4
        .value_kind:     by_value
      - .offset:         124
        .size:           1
        .value_kind:     by_value
    .group_segment_fixed_size: 4096
    .kernarg_segment_align: 8
    .kernarg_segment_size: 128
    .language:       OpenCL C
    .language_version:
      - 2
      - 0
    .max_flat_workgroup_size: 512
    .name:           _ZN9rocsparseL16sddmm_csx_kernelILi512ELi1EL20rocsparse_direction_0E21rocsparse_complex_numIfEllS3_S3_S3_EEv20rocsparse_operation_S4_16rocsparse_order_S5_T4_S6_S6_T3_NS_24const_host_device_scalarIT2_EEPKT5_lPKT6_lSA_PT7_PKS7_PKS6_21rocsparse_index_base_b
    .private_segment_fixed_size: 0
    .sgpr_count:     36
    .sgpr_spill_count: 0
    .symbol:         _ZN9rocsparseL16sddmm_csx_kernelILi512ELi1EL20rocsparse_direction_0E21rocsparse_complex_numIfEllS3_S3_S3_EEv20rocsparse_operation_S4_16rocsparse_order_S5_T4_S6_S6_T3_NS_24const_host_device_scalarIT2_EEPKT5_lPKT6_lSA_PT7_PKS7_PKS6_21rocsparse_index_base_b.kd
    .uniform_work_group_size: 1
    .uses_dynamic_stack: false
    .vgpr_count:     28
    .vgpr_spill_count: 0
    .wavefront_size: 64
  - .agpr_count:     0
    .args:
      - .offset:         0
        .size:           4
        .value_kind:     by_value
      - .offset:         8
        .size:           8
        .value_kind:     by_value
      - .offset:         16
        .size:           8
        .value_kind:     by_value
      - .actual_access:  read_only
        .address_space:  global
        .offset:         24
        .size:           8
        .value_kind:     global_buffer
      - .actual_access:  read_only
        .address_space:  global
        .offset:         32
        .size:           8
        .value_kind:     global_buffer
      - .actual_access:  read_only
        .address_space:  global
        .offset:         40
        .size:           8
        .value_kind:     global_buffer
      - .actual_access:  write_only
        .address_space:  global
        .offset:         48
        .size:           8
        .value_kind:     global_buffer
      - .offset:         56
        .size:           8
        .value_kind:     by_value
      - .offset:         64
        .size:           4
        .value_kind:     by_value
    .group_segment_fixed_size: 0
    .kernarg_segment_align: 8
    .kernarg_segment_size: 68
    .language:       OpenCL C
    .language_version:
      - 2
      - 0
    .max_flat_workgroup_size: 512
    .name:           _ZN9rocsparseL16csr2dense_kernelILi16ELi32Ell21rocsparse_complex_numIdEEEviT2_S3_PKT3_PKT1_PKS3_PS4_l16rocsparse_order_
    .private_segment_fixed_size: 0
    .sgpr_count:     21
    .sgpr_spill_count: 0
    .symbol:         _ZN9rocsparseL16csr2dense_kernelILi16ELi32Ell21rocsparse_complex_numIdEEEviT2_S3_PKT3_PKT1_PKS3_PS4_l16rocsparse_order_.kd
    .uniform_work_group_size: 1
    .uses_dynamic_stack: false
    .vgpr_count:     22
    .vgpr_spill_count: 0
    .wavefront_size: 64
  - .agpr_count:     0
    .args:
      - .offset:         0
        .size:           4
        .value_kind:     by_value
      - .offset:         8
        .size:           8
        .value_kind:     by_value
      - .offset:         16
        .size:           8
        .value_kind:     by_value
      - .actual_access:  read_only
        .address_space:  global
        .offset:         24
        .size:           8
        .value_kind:     global_buffer
      - .actual_access:  read_only
        .address_space:  global
        .offset:         32
        .size:           8
        .value_kind:     global_buffer
      - .actual_access:  read_only
        .address_space:  global
        .offset:         40
        .size:           8
        .value_kind:     global_buffer
      - .actual_access:  write_only
        .address_space:  global
        .offset:         48
        .size:           8
        .value_kind:     global_buffer
      - .offset:         56
        .size:           8
        .value_kind:     by_value
      - .offset:         64
        .size:           4
        .value_kind:     by_value
    .group_segment_fixed_size: 0
    .kernarg_segment_align: 8
    .kernarg_segment_size: 68
    .language:       OpenCL C
    .language_version:
      - 2
      - 0
    .max_flat_workgroup_size: 1024
    .name:           _ZN9rocsparseL16csr2dense_kernelILi16ELi64Ell21rocsparse_complex_numIdEEEviT2_S3_PKT3_PKT1_PKS3_PS4_l16rocsparse_order_
    .private_segment_fixed_size: 0
    .sgpr_count:     21
    .sgpr_spill_count: 0
    .symbol:         _ZN9rocsparseL16csr2dense_kernelILi16ELi64Ell21rocsparse_complex_numIdEEEviT2_S3_PKT3_PKT1_PKS3_PS4_l16rocsparse_order_.kd
    .uniform_work_group_size: 1
    .uses_dynamic_stack: false
    .vgpr_count:     22
    .vgpr_spill_count: 0
    .wavefront_size: 64
  - .agpr_count:     0
    .args:
      - .offset:         0
        .size:           4
        .value_kind:     by_value
      - .offset:         8
        .size:           8
        .value_kind:     by_value
      - .offset:         16
        .size:           8
        .value_kind:     by_value
      - .actual_access:  read_only
        .address_space:  global
        .offset:         24
        .size:           8
        .value_kind:     global_buffer
      - .actual_access:  read_only
        .address_space:  global
        .offset:         32
        .size:           8
        .value_kind:     global_buffer
      - .actual_access:  read_only
        .address_space:  global
        .offset:         40
        .size:           8
        .value_kind:     global_buffer
      - .actual_access:  write_only
        .address_space:  global
        .offset:         48
        .size:           8
        .value_kind:     global_buffer
      - .offset:         56
        .size:           8
        .value_kind:     by_value
      - .offset:         64
        .size:           4
        .value_kind:     by_value
    .group_segment_fixed_size: 0
    .kernarg_segment_align: 8
    .kernarg_segment_size: 68
    .language:       OpenCL C
    .language_version:
      - 2
      - 0
    .max_flat_workgroup_size: 512
    .name:           _ZN9rocsparseL16csc2dense_kernelILi16ELi32Ell21rocsparse_complex_numIdEEEviT2_S3_PKT3_PKT1_PKS3_PS4_l16rocsparse_order_
    .private_segment_fixed_size: 0
    .sgpr_count:     21
    .sgpr_spill_count: 0
    .symbol:         _ZN9rocsparseL16csc2dense_kernelILi16ELi32Ell21rocsparse_complex_numIdEEEviT2_S3_PKT3_PKT1_PKS3_PS4_l16rocsparse_order_.kd
    .uniform_work_group_size: 1
    .uses_dynamic_stack: false
    .vgpr_count:     22
    .vgpr_spill_count: 0
    .wavefront_size: 64
  - .agpr_count:     0
    .args:
      - .offset:         0
        .size:           4
        .value_kind:     by_value
      - .offset:         8
        .size:           8
        .value_kind:     by_value
      - .offset:         16
        .size:           8
        .value_kind:     by_value
      - .actual_access:  read_only
        .address_space:  global
        .offset:         24
        .size:           8
        .value_kind:     global_buffer
      - .actual_access:  read_only
        .address_space:  global
        .offset:         32
        .size:           8
        .value_kind:     global_buffer
      - .actual_access:  read_only
        .address_space:  global
        .offset:         40
        .size:           8
        .value_kind:     global_buffer
      - .actual_access:  write_only
        .address_space:  global
        .offset:         48
        .size:           8
        .value_kind:     global_buffer
      - .offset:         56
        .size:           8
        .value_kind:     by_value
      - .offset:         64
        .size:           4
        .value_kind:     by_value
    .group_segment_fixed_size: 0
    .kernarg_segment_align: 8
    .kernarg_segment_size: 68
    .language:       OpenCL C
    .language_version:
      - 2
      - 0
    .max_flat_workgroup_size: 1024
    .name:           _ZN9rocsparseL16csc2dense_kernelILi16ELi64Ell21rocsparse_complex_numIdEEEviT2_S3_PKT3_PKT1_PKS3_PS4_l16rocsparse_order_
    .private_segment_fixed_size: 0
    .sgpr_count:     21
    .sgpr_spill_count: 0
    .symbol:         _ZN9rocsparseL16csc2dense_kernelILi16ELi64Ell21rocsparse_complex_numIdEEEviT2_S3_PKT3_PKT1_PKS3_PS4_l16rocsparse_order_.kd
    .uniform_work_group_size: 1
    .uses_dynamic_stack: false
    .vgpr_count:     22
    .vgpr_spill_count: 0
    .wavefront_size: 64
  - .agpr_count:     0
    .args:
      - .offset:         0
        .size:           8
        .value_kind:     by_value
      - .offset:         8
        .size:           8
        .value_kind:     by_value
      - .offset:         16
        .size:           8
        .value_kind:     by_value
      - .actual_access:  read_only
        .address_space:  global
        .offset:         24
        .size:           8
        .value_kind:     global_buffer
      - .offset:         32
        .size:           8
        .value_kind:     by_value
      - .actual_access:  write_only
        .address_space:  global
        .offset:         40
        .size:           8
        .value_kind:     global_buffer
      - .actual_access:  read_only
        .address_space:  global
        .offset:         48
        .size:           8
        .value_kind:     global_buffer
      - .actual_access:  read_only
        .address_space:  global
        .offset:         56
        .size:           8
        .value_kind:     global_buffer
      - .offset:         64
        .size:           4
        .value_kind:     by_value
    .group_segment_fixed_size: 0
    .kernarg_segment_align: 8
    .kernarg_segment_size: 68
    .language:       OpenCL C
    .language_version:
      - 2
      - 0
    .max_flat_workgroup_size: 512
    .name:           _ZN9rocsparseL23sddmm_csx_sample_kernelILi512ELi64EL20rocsparse_direction_1E21rocsparse_complex_numIdEllS3_EEvT4_S4_T3_PKT5_S4_PS6_PKS5_PKS4_21rocsparse_index_base_
    .private_segment_fixed_size: 0
    .sgpr_count:     18
    .sgpr_spill_count: 0
    .symbol:         _ZN9rocsparseL23sddmm_csx_sample_kernelILi512ELi64EL20rocsparse_direction_1E21rocsparse_complex_numIdEllS3_EEvT4_S4_T3_PKT5_S4_PS6_PKS5_PKS4_21rocsparse_index_base_.kd
    .uniform_work_group_size: 1
    .uses_dynamic_stack: false
    .vgpr_count:     14
    .vgpr_spill_count: 0
    .wavefront_size: 64
  - .agpr_count:     0
    .args:
      - .offset:         0
        .size:           8
        .value_kind:     by_value
      - .offset:         8
        .size:           8
        .value_kind:     by_value
      - .offset:         16
        .size:           8
        .value_kind:     by_value
      - .actual_access:  read_only
        .address_space:  global
        .offset:         24
        .size:           8
        .value_kind:     global_buffer
      - .offset:         32
        .size:           8
        .value_kind:     by_value
      - .actual_access:  write_only
        .address_space:  global
        .offset:         40
        .size:           8
        .value_kind:     global_buffer
      - .actual_access:  read_only
        .address_space:  global
        .offset:         48
        .size:           8
        .value_kind:     global_buffer
      - .actual_access:  read_only
        .address_space:  global
        .offset:         56
        .size:           8
        .value_kind:     global_buffer
      - .offset:         64
        .size:           4
        .value_kind:     by_value
    .group_segment_fixed_size: 0
    .kernarg_segment_align: 8
    .kernarg_segment_size: 68
    .language:       OpenCL C
    .language_version:
      - 2
      - 0
    .max_flat_workgroup_size: 512
    .name:           _ZN9rocsparseL23sddmm_csx_sample_kernelILi512ELi32EL20rocsparse_direction_1E21rocsparse_complex_numIdEllS3_EEvT4_S4_T3_PKT5_S4_PS6_PKS5_PKS4_21rocsparse_index_base_
    .private_segment_fixed_size: 0
    .sgpr_count:     18
    .sgpr_spill_count: 0
    .symbol:         _ZN9rocsparseL23sddmm_csx_sample_kernelILi512ELi32EL20rocsparse_direction_1E21rocsparse_complex_numIdEllS3_EEvT4_S4_T3_PKT5_S4_PS6_PKS5_PKS4_21rocsparse_index_base_.kd
    .uniform_work_group_size: 1
    .uses_dynamic_stack: false
    .vgpr_count:     14
    .vgpr_spill_count: 0
    .wavefront_size: 64
  - .agpr_count:     0
    .args:
      - .offset:         0
        .size:           8
        .value_kind:     by_value
      - .offset:         8
        .size:           8
        .value_kind:     by_value
      - .offset:         16
        .size:           8
        .value_kind:     by_value
      - .actual_access:  read_only
        .address_space:  global
        .offset:         24
        .size:           8
        .value_kind:     global_buffer
      - .offset:         32
        .size:           8
        .value_kind:     by_value
      - .actual_access:  write_only
        .address_space:  global
        .offset:         40
        .size:           8
        .value_kind:     global_buffer
      - .actual_access:  read_only
        .address_space:  global
        .offset:         48
        .size:           8
        .value_kind:     global_buffer
      - .actual_access:  read_only
        .address_space:  global
        .offset:         56
        .size:           8
        .value_kind:     global_buffer
      - .offset:         64
        .size:           4
        .value_kind:     by_value
    .group_segment_fixed_size: 0
    .kernarg_segment_align: 8
    .kernarg_segment_size: 68
    .language:       OpenCL C
    .language_version:
      - 2
      - 0
    .max_flat_workgroup_size: 512
    .name:           _ZN9rocsparseL23sddmm_csx_sample_kernelILi512ELi16EL20rocsparse_direction_1E21rocsparse_complex_numIdEllS3_EEvT4_S4_T3_PKT5_S4_PS6_PKS5_PKS4_21rocsparse_index_base_
    .private_segment_fixed_size: 0
    .sgpr_count:     18
    .sgpr_spill_count: 0
    .symbol:         _ZN9rocsparseL23sddmm_csx_sample_kernelILi512ELi16EL20rocsparse_direction_1E21rocsparse_complex_numIdEllS3_EEvT4_S4_T3_PKT5_S4_PS6_PKS5_PKS4_21rocsparse_index_base_.kd
    .uniform_work_group_size: 1
    .uses_dynamic_stack: false
    .vgpr_count:     14
    .vgpr_spill_count: 0
    .wavefront_size: 64
  - .agpr_count:     0
    .args:
      - .offset:         0
        .size:           8
        .value_kind:     by_value
      - .offset:         8
        .size:           8
        .value_kind:     by_value
      - .offset:         16
        .size:           8
        .value_kind:     by_value
      - .actual_access:  read_only
        .address_space:  global
        .offset:         24
        .size:           8
        .value_kind:     global_buffer
      - .offset:         32
        .size:           8
        .value_kind:     by_value
      - .actual_access:  write_only
        .address_space:  global
        .offset:         40
        .size:           8
        .value_kind:     global_buffer
      - .actual_access:  read_only
        .address_space:  global
        .offset:         48
        .size:           8
        .value_kind:     global_buffer
      - .actual_access:  read_only
        .address_space:  global
        .offset:         56
        .size:           8
        .value_kind:     global_buffer
      - .offset:         64
        .size:           4
        .value_kind:     by_value
    .group_segment_fixed_size: 0
    .kernarg_segment_align: 8
    .kernarg_segment_size: 68
    .language:       OpenCL C
    .language_version:
      - 2
      - 0
    .max_flat_workgroup_size: 512
    .name:           _ZN9rocsparseL23sddmm_csx_sample_kernelILi512ELi8EL20rocsparse_direction_1E21rocsparse_complex_numIdEllS3_EEvT4_S4_T3_PKT5_S4_PS6_PKS5_PKS4_21rocsparse_index_base_
    .private_segment_fixed_size: 0
    .sgpr_count:     18
    .sgpr_spill_count: 0
    .symbol:         _ZN9rocsparseL23sddmm_csx_sample_kernelILi512ELi8EL20rocsparse_direction_1E21rocsparse_complex_numIdEllS3_EEvT4_S4_T3_PKT5_S4_PS6_PKS5_PKS4_21rocsparse_index_base_.kd
    .uniform_work_group_size: 1
    .uses_dynamic_stack: false
    .vgpr_count:     14
    .vgpr_spill_count: 0
    .wavefront_size: 64
  - .agpr_count:     0
    .args:
      - .offset:         0
        .size:           8
        .value_kind:     by_value
      - .offset:         8
        .size:           8
        .value_kind:     by_value
      - .offset:         16
        .size:           8
        .value_kind:     by_value
      - .actual_access:  read_only
        .address_space:  global
        .offset:         24
        .size:           8
        .value_kind:     global_buffer
      - .offset:         32
        .size:           8
        .value_kind:     by_value
      - .actual_access:  write_only
        .address_space:  global
        .offset:         40
        .size:           8
        .value_kind:     global_buffer
      - .actual_access:  read_only
        .address_space:  global
        .offset:         48
        .size:           8
        .value_kind:     global_buffer
      - .actual_access:  read_only
        .address_space:  global
        .offset:         56
        .size:           8
        .value_kind:     global_buffer
      - .offset:         64
        .size:           4
        .value_kind:     by_value
    .group_segment_fixed_size: 0
    .kernarg_segment_align: 8
    .kernarg_segment_size: 68
    .language:       OpenCL C
    .language_version:
      - 2
      - 0
    .max_flat_workgroup_size: 512
    .name:           _ZN9rocsparseL23sddmm_csx_sample_kernelILi512ELi4EL20rocsparse_direction_1E21rocsparse_complex_numIdEllS3_EEvT4_S4_T3_PKT5_S4_PS6_PKS5_PKS4_21rocsparse_index_base_
    .private_segment_fixed_size: 0
    .sgpr_count:     18
    .sgpr_spill_count: 0
    .symbol:         _ZN9rocsparseL23sddmm_csx_sample_kernelILi512ELi4EL20rocsparse_direction_1E21rocsparse_complex_numIdEllS3_EEvT4_S4_T3_PKT5_S4_PS6_PKS5_PKS4_21rocsparse_index_base_.kd
    .uniform_work_group_size: 1
    .uses_dynamic_stack: false
    .vgpr_count:     14
    .vgpr_spill_count: 0
    .wavefront_size: 64
  - .agpr_count:     0
    .args:
      - .offset:         0
        .size:           8
        .value_kind:     by_value
      - .offset:         8
        .size:           8
        .value_kind:     by_value
      - .offset:         16
        .size:           8
        .value_kind:     by_value
      - .actual_access:  read_only
        .address_space:  global
        .offset:         24
        .size:           8
        .value_kind:     global_buffer
      - .offset:         32
        .size:           8
        .value_kind:     by_value
      - .actual_access:  write_only
        .address_space:  global
        .offset:         40
        .size:           8
        .value_kind:     global_buffer
      - .actual_access:  read_only
        .address_space:  global
        .offset:         48
        .size:           8
        .value_kind:     global_buffer
      - .actual_access:  read_only
        .address_space:  global
        .offset:         56
        .size:           8
        .value_kind:     global_buffer
      - .offset:         64
        .size:           4
        .value_kind:     by_value
    .group_segment_fixed_size: 0
    .kernarg_segment_align: 8
    .kernarg_segment_size: 68
    .language:       OpenCL C
    .language_version:
      - 2
      - 0
    .max_flat_workgroup_size: 512
    .name:           _ZN9rocsparseL23sddmm_csx_sample_kernelILi512ELi2EL20rocsparse_direction_1E21rocsparse_complex_numIdEllS3_EEvT4_S4_T3_PKT5_S4_PS6_PKS5_PKS4_21rocsparse_index_base_
    .private_segment_fixed_size: 0
    .sgpr_count:     18
    .sgpr_spill_count: 0
    .symbol:         _ZN9rocsparseL23sddmm_csx_sample_kernelILi512ELi2EL20rocsparse_direction_1E21rocsparse_complex_numIdEllS3_EEvT4_S4_T3_PKT5_S4_PS6_PKS5_PKS4_21rocsparse_index_base_.kd
    .uniform_work_group_size: 1
    .uses_dynamic_stack: false
    .vgpr_count:     14
    .vgpr_spill_count: 0
    .wavefront_size: 64
  - .agpr_count:     0
    .args:
      - .offset:         0
        .size:           8
        .value_kind:     by_value
      - .offset:         8
        .size:           8
        .value_kind:     by_value
      - .offset:         16
        .size:           8
        .value_kind:     by_value
      - .actual_access:  read_only
        .address_space:  global
        .offset:         24
        .size:           8
        .value_kind:     global_buffer
      - .offset:         32
        .size:           8
        .value_kind:     by_value
      - .actual_access:  write_only
        .address_space:  global
        .offset:         40
        .size:           8
        .value_kind:     global_buffer
      - .actual_access:  read_only
        .address_space:  global
        .offset:         48
        .size:           8
        .value_kind:     global_buffer
      - .actual_access:  read_only
        .address_space:  global
        .offset:         56
        .size:           8
        .value_kind:     global_buffer
      - .offset:         64
        .size:           4
        .value_kind:     by_value
    .group_segment_fixed_size: 0
    .kernarg_segment_align: 8
    .kernarg_segment_size: 68
    .language:       OpenCL C
    .language_version:
      - 2
      - 0
    .max_flat_workgroup_size: 512
    .name:           _ZN9rocsparseL23sddmm_csx_sample_kernelILi512ELi1EL20rocsparse_direction_1E21rocsparse_complex_numIdEllS3_EEvT4_S4_T3_PKT5_S4_PS6_PKS5_PKS4_21rocsparse_index_base_
    .private_segment_fixed_size: 0
    .sgpr_count:     18
    .sgpr_spill_count: 0
    .symbol:         _ZN9rocsparseL23sddmm_csx_sample_kernelILi512ELi1EL20rocsparse_direction_1E21rocsparse_complex_numIdEllS3_EEvT4_S4_T3_PKT5_S4_PS6_PKS5_PKS4_21rocsparse_index_base_.kd
    .uniform_work_group_size: 1
    .uses_dynamic_stack: false
    .vgpr_count:     14
    .vgpr_spill_count: 0
    .wavefront_size: 64
  - .agpr_count:     0
    .args:
      - .offset:         0
        .size:           4
        .value_kind:     by_value
      - .offset:         4
        .size:           4
        .value_kind:     by_value
      - .offset:         8
        .size:           4
        .value_kind:     by_value
      - .offset:         12
        .size:           4
        .value_kind:     by_value
      - .offset:         16
        .size:           8
        .value_kind:     by_value
      - .offset:         24
        .size:           8
        .value_kind:     by_value
      - .offset:         32
        .size:           8
        .value_kind:     by_value
      - .offset:         40
        .size:           8
        .value_kind:     by_value
      - .offset:         48
        .size:           16
        .value_kind:     by_value
      - .actual_access:  read_only
        .address_space:  global
        .offset:         64
        .size:           8
        .value_kind:     global_buffer
      - .offset:         72
        .size:           8
        .value_kind:     by_value
      - .actual_access:  read_only
        .address_space:  global
        .offset:         80
        .size:           8
        .value_kind:     global_buffer
      - .offset:         88
        .size:           8
        .value_kind:     by_value
      - .offset:         96
        .size:           16
        .value_kind:     by_value
      - .address_space:  global
        .offset:         112
        .size:           8
        .value_kind:     global_buffer
      - .actual_access:  read_only
        .address_space:  global
        .offset:         120
        .size:           8
        .value_kind:     global_buffer
      - .actual_access:  read_only
        .address_space:  global
        .offset:         128
        .size:           8
        .value_kind:     global_buffer
      - .offset:         136
        .size:           4
        .value_kind:     by_value
      - .offset:         140
        .size:           1
        .value_kind:     by_value
    .group_segment_fixed_size: 8192
    .kernarg_segment_align: 8
    .kernarg_segment_size: 144
    .language:       OpenCL C
    .language_version:
      - 2
      - 0
    .max_flat_workgroup_size: 512
    .name:           _ZN9rocsparseL16sddmm_csx_kernelILi512ELi8EL20rocsparse_direction_0E21rocsparse_complex_numIdEllS3_S3_S3_EEv20rocsparse_operation_S4_16rocsparse_order_S5_T4_S6_S6_T3_NS_24const_host_device_scalarIT2_EEPKT5_lPKT6_lSA_PT7_PKS7_PKS6_21rocsparse_index_base_b
    .private_segment_fixed_size: 0
    .sgpr_count:     42
    .sgpr_spill_count: 0
    .symbol:         _ZN9rocsparseL16sddmm_csx_kernelILi512ELi8EL20rocsparse_direction_0E21rocsparse_complex_numIdEllS3_S3_S3_EEv20rocsparse_operation_S4_16rocsparse_order_S5_T4_S6_S6_T3_NS_24const_host_device_scalarIT2_EEPKT5_lPKT6_lSA_PT7_PKS7_PKS6_21rocsparse_index_base_b.kd
    .uniform_work_group_size: 1
    .uses_dynamic_stack: false
    .vgpr_count:     40
    .vgpr_spill_count: 0
    .wavefront_size: 64
  - .agpr_count:     0
    .args:
      - .offset:         0
        .size:           4
        .value_kind:     by_value
      - .offset:         4
        .size:           4
        .value_kind:     by_value
      - .offset:         8
        .size:           4
        .value_kind:     by_value
      - .offset:         12
        .size:           4
        .value_kind:     by_value
      - .offset:         16
        .size:           8
        .value_kind:     by_value
      - .offset:         24
        .size:           8
        .value_kind:     by_value
      - .offset:         32
        .size:           8
        .value_kind:     by_value
      - .offset:         40
        .size:           8
        .value_kind:     by_value
      - .offset:         48
        .size:           16
        .value_kind:     by_value
      - .actual_access:  read_only
        .address_space:  global
        .offset:         64
        .size:           8
        .value_kind:     global_buffer
      - .offset:         72
        .size:           8
        .value_kind:     by_value
      - .actual_access:  read_only
        .address_space:  global
        .offset:         80
        .size:           8
        .value_kind:     global_buffer
      - .offset:         88
        .size:           8
        .value_kind:     by_value
      - .offset:         96
        .size:           16
        .value_kind:     by_value
      - .address_space:  global
        .offset:         112
        .size:           8
        .value_kind:     global_buffer
      - .actual_access:  read_only
        .address_space:  global
        .offset:         120
        .size:           8
        .value_kind:     global_buffer
      - .actual_access:  read_only
        .address_space:  global
        .offset:         128
        .size:           8
        .value_kind:     global_buffer
      - .offset:         136
        .size:           4
        .value_kind:     by_value
      - .offset:         140
        .size:           1
        .value_kind:     by_value
    .group_segment_fixed_size: 8192
    .kernarg_segment_align: 8
    .kernarg_segment_size: 144
    .language:       OpenCL C
    .language_version:
      - 2
      - 0
    .max_flat_workgroup_size: 512
    .name:           _ZN9rocsparseL16sddmm_csx_kernelILi512ELi4EL20rocsparse_direction_0E21rocsparse_complex_numIdEllS3_S3_S3_EEv20rocsparse_operation_S4_16rocsparse_order_S5_T4_S6_S6_T3_NS_24const_host_device_scalarIT2_EEPKT5_lPKT6_lSA_PT7_PKS7_PKS6_21rocsparse_index_base_b
    .private_segment_fixed_size: 0
    .sgpr_count:     38
    .sgpr_spill_count: 0
    .symbol:         _ZN9rocsparseL16sddmm_csx_kernelILi512ELi4EL20rocsparse_direction_0E21rocsparse_complex_numIdEllS3_S3_S3_EEv20rocsparse_operation_S4_16rocsparse_order_S5_T4_S6_S6_T3_NS_24const_host_device_scalarIT2_EEPKT5_lPKT6_lSA_PT7_PKS7_PKS6_21rocsparse_index_base_b.kd
    .uniform_work_group_size: 1
    .uses_dynamic_stack: false
    .vgpr_count:     40
    .vgpr_spill_count: 0
    .wavefront_size: 64
  - .agpr_count:     0
    .args:
      - .offset:         0
        .size:           4
        .value_kind:     by_value
      - .offset:         4
        .size:           4
        .value_kind:     by_value
      - .offset:         8
        .size:           4
        .value_kind:     by_value
      - .offset:         12
        .size:           4
        .value_kind:     by_value
      - .offset:         16
        .size:           8
        .value_kind:     by_value
      - .offset:         24
        .size:           8
        .value_kind:     by_value
      - .offset:         32
        .size:           8
        .value_kind:     by_value
      - .offset:         40
        .size:           8
        .value_kind:     by_value
      - .offset:         48
        .size:           16
        .value_kind:     by_value
      - .actual_access:  read_only
        .address_space:  global
        .offset:         64
        .size:           8
        .value_kind:     global_buffer
      - .offset:         72
        .size:           8
        .value_kind:     by_value
      - .actual_access:  read_only
        .address_space:  global
        .offset:         80
        .size:           8
        .value_kind:     global_buffer
      - .offset:         88
        .size:           8
        .value_kind:     by_value
      - .offset:         96
        .size:           16
        .value_kind:     by_value
      - .address_space:  global
        .offset:         112
        .size:           8
        .value_kind:     global_buffer
      - .actual_access:  read_only
        .address_space:  global
        .offset:         120
        .size:           8
        .value_kind:     global_buffer
      - .actual_access:  read_only
        .address_space:  global
        .offset:         128
        .size:           8
        .value_kind:     global_buffer
      - .offset:         136
        .size:           4
        .value_kind:     by_value
      - .offset:         140
        .size:           1
        .value_kind:     by_value
    .group_segment_fixed_size: 8192
    .kernarg_segment_align: 8
    .kernarg_segment_size: 144
    .language:       OpenCL C
    .language_version:
      - 2
      - 0
    .max_flat_workgroup_size: 512
    .name:           _ZN9rocsparseL16sddmm_csx_kernelILi512ELi2EL20rocsparse_direction_0E21rocsparse_complex_numIdEllS3_S3_S3_EEv20rocsparse_operation_S4_16rocsparse_order_S5_T4_S6_S6_T3_NS_24const_host_device_scalarIT2_EEPKT5_lPKT6_lSA_PT7_PKS7_PKS6_21rocsparse_index_base_b
    .private_segment_fixed_size: 0
    .sgpr_count:     36
    .sgpr_spill_count: 0
    .symbol:         _ZN9rocsparseL16sddmm_csx_kernelILi512ELi2EL20rocsparse_direction_0E21rocsparse_complex_numIdEllS3_S3_S3_EEv20rocsparse_operation_S4_16rocsparse_order_S5_T4_S6_S6_T3_NS_24const_host_device_scalarIT2_EEPKT5_lPKT6_lSA_PT7_PKS7_PKS6_21rocsparse_index_base_b.kd
    .uniform_work_group_size: 1
    .uses_dynamic_stack: false
    .vgpr_count:     40
    .vgpr_spill_count: 0
    .wavefront_size: 64
  - .agpr_count:     0
    .args:
      - .offset:         0
        .size:           4
        .value_kind:     by_value
      - .offset:         4
        .size:           4
        .value_kind:     by_value
      - .offset:         8
        .size:           4
        .value_kind:     by_value
      - .offset:         12
        .size:           4
        .value_kind:     by_value
      - .offset:         16
        .size:           8
        .value_kind:     by_value
      - .offset:         24
        .size:           8
        .value_kind:     by_value
      - .offset:         32
        .size:           8
        .value_kind:     by_value
      - .offset:         40
        .size:           8
        .value_kind:     by_value
      - .offset:         48
        .size:           16
        .value_kind:     by_value
      - .actual_access:  read_only
        .address_space:  global
        .offset:         64
        .size:           8
        .value_kind:     global_buffer
      - .offset:         72
        .size:           8
        .value_kind:     by_value
      - .actual_access:  read_only
        .address_space:  global
        .offset:         80
        .size:           8
        .value_kind:     global_buffer
      - .offset:         88
        .size:           8
        .value_kind:     by_value
      - .offset:         96
        .size:           16
        .value_kind:     by_value
      - .address_space:  global
        .offset:         112
        .size:           8
        .value_kind:     global_buffer
      - .actual_access:  read_only
        .address_space:  global
        .offset:         120
        .size:           8
        .value_kind:     global_buffer
      - .actual_access:  read_only
        .address_space:  global
        .offset:         128
        .size:           8
        .value_kind:     global_buffer
      - .offset:         136
        .size:           4
        .value_kind:     by_value
      - .offset:         140
        .size:           1
        .value_kind:     by_value
    .group_segment_fixed_size: 8192
    .kernarg_segment_align: 8
    .kernarg_segment_size: 144
    .language:       OpenCL C
    .language_version:
      - 2
      - 0
    .max_flat_workgroup_size: 512
    .name:           _ZN9rocsparseL16sddmm_csx_kernelILi512ELi1EL20rocsparse_direction_0E21rocsparse_complex_numIdEllS3_S3_S3_EEv20rocsparse_operation_S4_16rocsparse_order_S5_T4_S6_S6_T3_NS_24const_host_device_scalarIT2_EEPKT5_lPKT6_lSA_PT7_PKS7_PKS6_21rocsparse_index_base_b
    .private_segment_fixed_size: 0
    .sgpr_count:     36
    .sgpr_spill_count: 0
    .symbol:         _ZN9rocsparseL16sddmm_csx_kernelILi512ELi1EL20rocsparse_direction_0E21rocsparse_complex_numIdEllS3_S3_S3_EEv20rocsparse_operation_S4_16rocsparse_order_S5_T4_S6_S6_T3_NS_24const_host_device_scalarIT2_EEPKT5_lPKT6_lSA_PT7_PKS7_PKS6_21rocsparse_index_base_b.kd
    .uniform_work_group_size: 1
    .uses_dynamic_stack: false
    .vgpr_count:     34
    .vgpr_spill_count: 0
    .wavefront_size: 64
  - .agpr_count:     0
    .args:
      - .offset:         0
        .size:           4
        .value_kind:     by_value
      - .offset:         4
        .size:           4
        .value_kind:     by_value
      - .offset:         8
        .size:           4
        .value_kind:     by_value
      - .offset:         12
        .size:           4
        .value_kind:     by_value
      - .offset:         16
        .size:           4
        .value_kind:     by_value
      - .offset:         20
        .size:           4
        .value_kind:     by_value
      - .offset:         24
        .size:           4
        .value_kind:     by_value
      - .offset:         28
        .size:           4
        .value_kind:     by_value
      - .offset:         32
        .size:           8
        .value_kind:     by_value
      - .actual_access:  read_only
        .address_space:  global
        .offset:         40
        .size:           8
        .value_kind:     global_buffer
      - .offset:         48
        .size:           8
        .value_kind:     by_value
      - .actual_access:  read_only
        .address_space:  global
        .offset:         56
        .size:           8
        .value_kind:     global_buffer
      - .offset:         64
        .size:           8
        .value_kind:     by_value
      - .offset:         72
        .size:           8
        .value_kind:     by_value
      - .address_space:  global
        .offset:         80
        .size:           8
        .value_kind:     global_buffer
      - .actual_access:  read_only
        .address_space:  global
        .offset:         88
        .size:           8
        .value_kind:     global_buffer
      - .actual_access:  read_only
        .address_space:  global
        .offset:         96
        .size:           8
        .value_kind:     global_buffer
      - .offset:         104
        .size:           4
        .value_kind:     by_value
      - .offset:         108
        .size:           1
        .value_kind:     by_value
    .group_segment_fixed_size: 2048
    .kernarg_segment_align: 8
    .kernarg_segment_size: 112
    .language:       OpenCL C
    .language_version:
      - 2
      - 0
    .max_flat_workgroup_size: 512
    .name:           _ZN9rocsparseL16sddmm_csx_kernelILi512ELi8EL20rocsparse_direction_0EfiiDF16_DF16_fEEv20rocsparse_operation_S2_16rocsparse_order_S3_T4_S4_S4_T3_NS_24const_host_device_scalarIT2_EEPKT5_lPKT6_lS8_PT7_PKS5_PKS4_21rocsparse_index_base_b
    .private_segment_fixed_size: 0
    .sgpr_count:     42
    .sgpr_spill_count: 0
    .symbol:         _ZN9rocsparseL16sddmm_csx_kernelILi512ELi8EL20rocsparse_direction_0EfiiDF16_DF16_fEEv20rocsparse_operation_S2_16rocsparse_order_S3_T4_S4_S4_T3_NS_24const_host_device_scalarIT2_EEPKT5_lPKT6_lS8_PT7_PKS5_PKS4_21rocsparse_index_base_b.kd
    .uniform_work_group_size: 1
    .uses_dynamic_stack: false
    .vgpr_count:     18
    .vgpr_spill_count: 0
    .wavefront_size: 64
  - .agpr_count:     0
    .args:
      - .offset:         0
        .size:           4
        .value_kind:     by_value
      - .offset:         4
        .size:           4
        .value_kind:     by_value
      - .offset:         8
        .size:           4
        .value_kind:     by_value
      - .offset:         12
        .size:           4
        .value_kind:     by_value
      - .offset:         16
        .size:           4
        .value_kind:     by_value
      - .offset:         20
        .size:           4
        .value_kind:     by_value
      - .offset:         24
        .size:           4
        .value_kind:     by_value
      - .offset:         28
        .size:           4
        .value_kind:     by_value
      - .offset:         32
        .size:           8
        .value_kind:     by_value
      - .actual_access:  read_only
        .address_space:  global
        .offset:         40
        .size:           8
        .value_kind:     global_buffer
      - .offset:         48
        .size:           8
        .value_kind:     by_value
      - .actual_access:  read_only
        .address_space:  global
        .offset:         56
        .size:           8
        .value_kind:     global_buffer
      - .offset:         64
        .size:           8
        .value_kind:     by_value
      - .offset:         72
        .size:           8
        .value_kind:     by_value
      - .address_space:  global
        .offset:         80
        .size:           8
        .value_kind:     global_buffer
      - .actual_access:  read_only
        .address_space:  global
        .offset:         88
        .size:           8
        .value_kind:     global_buffer
      - .actual_access:  read_only
        .address_space:  global
        .offset:         96
        .size:           8
        .value_kind:     global_buffer
      - .offset:         104
        .size:           4
        .value_kind:     by_value
      - .offset:         108
        .size:           1
        .value_kind:     by_value
    .group_segment_fixed_size: 2048
    .kernarg_segment_align: 8
    .kernarg_segment_size: 112
    .language:       OpenCL C
    .language_version:
      - 2
      - 0
    .max_flat_workgroup_size: 512
    .name:           _ZN9rocsparseL16sddmm_csx_kernelILi512ELi4EL20rocsparse_direction_0EfiiDF16_DF16_fEEv20rocsparse_operation_S2_16rocsparse_order_S3_T4_S4_S4_T3_NS_24const_host_device_scalarIT2_EEPKT5_lPKT6_lS8_PT7_PKS5_PKS4_21rocsparse_index_base_b
    .private_segment_fixed_size: 0
    .sgpr_count:     38
    .sgpr_spill_count: 0
    .symbol:         _ZN9rocsparseL16sddmm_csx_kernelILi512ELi4EL20rocsparse_direction_0EfiiDF16_DF16_fEEv20rocsparse_operation_S2_16rocsparse_order_S3_T4_S4_S4_T3_NS_24const_host_device_scalarIT2_EEPKT5_lPKT6_lS8_PT7_PKS5_PKS4_21rocsparse_index_base_b.kd
    .uniform_work_group_size: 1
    .uses_dynamic_stack: false
    .vgpr_count:     18
    .vgpr_spill_count: 0
    .wavefront_size: 64
  - .agpr_count:     0
    .args:
      - .offset:         0
        .size:           4
        .value_kind:     by_value
      - .offset:         4
        .size:           4
        .value_kind:     by_value
      - .offset:         8
        .size:           4
        .value_kind:     by_value
      - .offset:         12
        .size:           4
        .value_kind:     by_value
      - .offset:         16
        .size:           4
        .value_kind:     by_value
      - .offset:         20
        .size:           4
        .value_kind:     by_value
      - .offset:         24
        .size:           4
        .value_kind:     by_value
      - .offset:         28
        .size:           4
        .value_kind:     by_value
      - .offset:         32
        .size:           8
        .value_kind:     by_value
      - .actual_access:  read_only
        .address_space:  global
        .offset:         40
        .size:           8
        .value_kind:     global_buffer
      - .offset:         48
        .size:           8
        .value_kind:     by_value
      - .actual_access:  read_only
        .address_space:  global
        .offset:         56
        .size:           8
        .value_kind:     global_buffer
      - .offset:         64
        .size:           8
        .value_kind:     by_value
      - .offset:         72
        .size:           8
        .value_kind:     by_value
      - .address_space:  global
        .offset:         80
        .size:           8
        .value_kind:     global_buffer
      - .actual_access:  read_only
        .address_space:  global
        .offset:         88
        .size:           8
        .value_kind:     global_buffer
      - .actual_access:  read_only
        .address_space:  global
        .offset:         96
        .size:           8
        .value_kind:     global_buffer
      - .offset:         104
        .size:           4
        .value_kind:     by_value
      - .offset:         108
        .size:           1
        .value_kind:     by_value
    .group_segment_fixed_size: 2048
    .kernarg_segment_align: 8
    .kernarg_segment_size: 112
    .language:       OpenCL C
    .language_version:
      - 2
      - 0
    .max_flat_workgroup_size: 512
    .name:           _ZN9rocsparseL16sddmm_csx_kernelILi512ELi2EL20rocsparse_direction_0EfiiDF16_DF16_fEEv20rocsparse_operation_S2_16rocsparse_order_S3_T4_S4_S4_T3_NS_24const_host_device_scalarIT2_EEPKT5_lPKT6_lS8_PT7_PKS5_PKS4_21rocsparse_index_base_b
    .private_segment_fixed_size: 0
    .sgpr_count:     36
    .sgpr_spill_count: 0
    .symbol:         _ZN9rocsparseL16sddmm_csx_kernelILi512ELi2EL20rocsparse_direction_0EfiiDF16_DF16_fEEv20rocsparse_operation_S2_16rocsparse_order_S3_T4_S4_S4_T3_NS_24const_host_device_scalarIT2_EEPKT5_lPKT6_lS8_PT7_PKS5_PKS4_21rocsparse_index_base_b.kd
    .uniform_work_group_size: 1
    .uses_dynamic_stack: false
    .vgpr_count:     18
    .vgpr_spill_count: 0
    .wavefront_size: 64
  - .agpr_count:     0
    .args:
      - .offset:         0
        .size:           4
        .value_kind:     by_value
      - .offset:         4
        .size:           4
        .value_kind:     by_value
      - .offset:         8
        .size:           4
        .value_kind:     by_value
      - .offset:         12
        .size:           4
        .value_kind:     by_value
      - .offset:         16
        .size:           4
        .value_kind:     by_value
      - .offset:         20
        .size:           4
        .value_kind:     by_value
      - .offset:         24
        .size:           4
        .value_kind:     by_value
      - .offset:         28
        .size:           4
        .value_kind:     by_value
      - .offset:         32
        .size:           8
        .value_kind:     by_value
      - .actual_access:  read_only
        .address_space:  global
        .offset:         40
        .size:           8
        .value_kind:     global_buffer
      - .offset:         48
        .size:           8
        .value_kind:     by_value
      - .actual_access:  read_only
        .address_space:  global
        .offset:         56
        .size:           8
        .value_kind:     global_buffer
      - .offset:         64
        .size:           8
        .value_kind:     by_value
      - .offset:         72
        .size:           8
        .value_kind:     by_value
      - .address_space:  global
        .offset:         80
        .size:           8
        .value_kind:     global_buffer
      - .actual_access:  read_only
        .address_space:  global
        .offset:         88
        .size:           8
        .value_kind:     global_buffer
      - .actual_access:  read_only
        .address_space:  global
        .offset:         96
        .size:           8
        .value_kind:     global_buffer
      - .offset:         104
        .size:           4
        .value_kind:     by_value
      - .offset:         108
        .size:           1
        .value_kind:     by_value
    .group_segment_fixed_size: 2048
    .kernarg_segment_align: 8
    .kernarg_segment_size: 112
    .language:       OpenCL C
    .language_version:
      - 2
      - 0
    .max_flat_workgroup_size: 512
    .name:           _ZN9rocsparseL16sddmm_csx_kernelILi512ELi1EL20rocsparse_direction_0EfiiDF16_DF16_fEEv20rocsparse_operation_S2_16rocsparse_order_S3_T4_S4_S4_T3_NS_24const_host_device_scalarIT2_EEPKT5_lPKT6_lS8_PT7_PKS5_PKS4_21rocsparse_index_base_b
    .private_segment_fixed_size: 0
    .sgpr_count:     34
    .sgpr_spill_count: 0
    .symbol:         _ZN9rocsparseL16sddmm_csx_kernelILi512ELi1EL20rocsparse_direction_0EfiiDF16_DF16_fEEv20rocsparse_operation_S2_16rocsparse_order_S3_T4_S4_S4_T3_NS_24const_host_device_scalarIT2_EEPKT5_lPKT6_lS8_PT7_PKS5_PKS4_21rocsparse_index_base_b.kd
    .uniform_work_group_size: 1
    .uses_dynamic_stack: false
    .vgpr_count:     13
    .vgpr_spill_count: 0
    .wavefront_size: 64
  - .agpr_count:     0
    .args:
      - .offset:         0
        .size:           4
        .value_kind:     by_value
      - .offset:         4
        .size:           4
        .value_kind:     by_value
      - .offset:         8
        .size:           4
        .value_kind:     by_value
      - .offset:         12
        .size:           4
        .value_kind:     by_value
      - .offset:         16
        .size:           4
        .value_kind:     by_value
      - .offset:         20
        .size:           4
        .value_kind:     by_value
      - .offset:         24
        .size:           4
        .value_kind:     by_value
      - .offset:         32
        .size:           8
        .value_kind:     by_value
      - .offset:         40
        .size:           8
        .value_kind:     by_value
      - .actual_access:  read_only
        .address_space:  global
        .offset:         48
        .size:           8
        .value_kind:     global_buffer
      - .offset:         56
        .size:           8
        .value_kind:     by_value
      - .actual_access:  read_only
        .address_space:  global
        .offset:         64
        .size:           8
        .value_kind:     global_buffer
      - .offset:         72
        .size:           8
        .value_kind:     by_value
      - .offset:         80
        .size:           8
        .value_kind:     by_value
      - .address_space:  global
        .offset:         88
        .size:           8
        .value_kind:     global_buffer
      - .actual_access:  read_only
        .address_space:  global
        .offset:         96
        .size:           8
        .value_kind:     global_buffer
      - .actual_access:  read_only
        .address_space:  global
        .offset:         104
        .size:           8
        .value_kind:     global_buffer
      - .offset:         112
        .size:           4
        .value_kind:     by_value
      - .offset:         116
        .size:           1
        .value_kind:     by_value
    .group_segment_fixed_size: 2048
    .kernarg_segment_align: 8
    .kernarg_segment_size: 120
    .language:       OpenCL C
    .language_version:
      - 2
      - 0
    .max_flat_workgroup_size: 512
    .name:           _ZN9rocsparseL16sddmm_csx_kernelILi512ELi8EL20rocsparse_direction_0EfliDF16_DF16_fEEv20rocsparse_operation_S2_16rocsparse_order_S3_T4_S4_S4_T3_NS_24const_host_device_scalarIT2_EEPKT5_lPKT6_lS8_PT7_PKS5_PKS4_21rocsparse_index_base_b
    .private_segment_fixed_size: 0
    .sgpr_count:     42
    .sgpr_spill_count: 0
    .symbol:         _ZN9rocsparseL16sddmm_csx_kernelILi512ELi8EL20rocsparse_direction_0EfliDF16_DF16_fEEv20rocsparse_operation_S2_16rocsparse_order_S3_T4_S4_S4_T3_NS_24const_host_device_scalarIT2_EEPKT5_lPKT6_lS8_PT7_PKS5_PKS4_21rocsparse_index_base_b.kd
    .uniform_work_group_size: 1
    .uses_dynamic_stack: false
    .vgpr_count:     19
    .vgpr_spill_count: 0
    .wavefront_size: 64
  - .agpr_count:     0
    .args:
      - .offset:         0
        .size:           4
        .value_kind:     by_value
      - .offset:         4
        .size:           4
        .value_kind:     by_value
      - .offset:         8
        .size:           4
        .value_kind:     by_value
      - .offset:         12
        .size:           4
        .value_kind:     by_value
      - .offset:         16
        .size:           4
        .value_kind:     by_value
      - .offset:         20
        .size:           4
        .value_kind:     by_value
      - .offset:         24
        .size:           4
        .value_kind:     by_value
      - .offset:         32
        .size:           8
        .value_kind:     by_value
      - .offset:         40
        .size:           8
        .value_kind:     by_value
      - .actual_access:  read_only
        .address_space:  global
        .offset:         48
        .size:           8
        .value_kind:     global_buffer
      - .offset:         56
        .size:           8
        .value_kind:     by_value
      - .actual_access:  read_only
        .address_space:  global
        .offset:         64
        .size:           8
        .value_kind:     global_buffer
      - .offset:         72
        .size:           8
        .value_kind:     by_value
      - .offset:         80
        .size:           8
        .value_kind:     by_value
      - .address_space:  global
        .offset:         88
        .size:           8
        .value_kind:     global_buffer
      - .actual_access:  read_only
        .address_space:  global
        .offset:         96
        .size:           8
        .value_kind:     global_buffer
      - .actual_access:  read_only
        .address_space:  global
        .offset:         104
        .size:           8
        .value_kind:     global_buffer
      - .offset:         112
        .size:           4
        .value_kind:     by_value
      - .offset:         116
        .size:           1
        .value_kind:     by_value
    .group_segment_fixed_size: 2048
    .kernarg_segment_align: 8
    .kernarg_segment_size: 120
    .language:       OpenCL C
    .language_version:
      - 2
      - 0
    .max_flat_workgroup_size: 512
    .name:           _ZN9rocsparseL16sddmm_csx_kernelILi512ELi4EL20rocsparse_direction_0EfliDF16_DF16_fEEv20rocsparse_operation_S2_16rocsparse_order_S3_T4_S4_S4_T3_NS_24const_host_device_scalarIT2_EEPKT5_lPKT6_lS8_PT7_PKS5_PKS4_21rocsparse_index_base_b
    .private_segment_fixed_size: 0
    .sgpr_count:     38
    .sgpr_spill_count: 0
    .symbol:         _ZN9rocsparseL16sddmm_csx_kernelILi512ELi4EL20rocsparse_direction_0EfliDF16_DF16_fEEv20rocsparse_operation_S2_16rocsparse_order_S3_T4_S4_S4_T3_NS_24const_host_device_scalarIT2_EEPKT5_lPKT6_lS8_PT7_PKS5_PKS4_21rocsparse_index_base_b.kd
    .uniform_work_group_size: 1
    .uses_dynamic_stack: false
    .vgpr_count:     19
    .vgpr_spill_count: 0
    .wavefront_size: 64
  - .agpr_count:     0
    .args:
      - .offset:         0
        .size:           4
        .value_kind:     by_value
      - .offset:         4
        .size:           4
        .value_kind:     by_value
      - .offset:         8
        .size:           4
        .value_kind:     by_value
      - .offset:         12
        .size:           4
        .value_kind:     by_value
      - .offset:         16
        .size:           4
        .value_kind:     by_value
      - .offset:         20
        .size:           4
        .value_kind:     by_value
      - .offset:         24
        .size:           4
        .value_kind:     by_value
      - .offset:         32
        .size:           8
        .value_kind:     by_value
      - .offset:         40
        .size:           8
        .value_kind:     by_value
      - .actual_access:  read_only
        .address_space:  global
        .offset:         48
        .size:           8
        .value_kind:     global_buffer
      - .offset:         56
        .size:           8
        .value_kind:     by_value
      - .actual_access:  read_only
        .address_space:  global
        .offset:         64
        .size:           8
        .value_kind:     global_buffer
      - .offset:         72
        .size:           8
        .value_kind:     by_value
      - .offset:         80
        .size:           8
        .value_kind:     by_value
      - .address_space:  global
        .offset:         88
        .size:           8
        .value_kind:     global_buffer
      - .actual_access:  read_only
        .address_space:  global
        .offset:         96
        .size:           8
        .value_kind:     global_buffer
      - .actual_access:  read_only
        .address_space:  global
        .offset:         104
        .size:           8
        .value_kind:     global_buffer
      - .offset:         112
        .size:           4
        .value_kind:     by_value
      - .offset:         116
        .size:           1
        .value_kind:     by_value
    .group_segment_fixed_size: 2048
    .kernarg_segment_align: 8
    .kernarg_segment_size: 120
    .language:       OpenCL C
    .language_version:
      - 2
      - 0
    .max_flat_workgroup_size: 512
    .name:           _ZN9rocsparseL16sddmm_csx_kernelILi512ELi2EL20rocsparse_direction_0EfliDF16_DF16_fEEv20rocsparse_operation_S2_16rocsparse_order_S3_T4_S4_S4_T3_NS_24const_host_device_scalarIT2_EEPKT5_lPKT6_lS8_PT7_PKS5_PKS4_21rocsparse_index_base_b
    .private_segment_fixed_size: 0
    .sgpr_count:     36
    .sgpr_spill_count: 0
    .symbol:         _ZN9rocsparseL16sddmm_csx_kernelILi512ELi2EL20rocsparse_direction_0EfliDF16_DF16_fEEv20rocsparse_operation_S2_16rocsparse_order_S3_T4_S4_S4_T3_NS_24const_host_device_scalarIT2_EEPKT5_lPKT6_lS8_PT7_PKS5_PKS4_21rocsparse_index_base_b.kd
    .uniform_work_group_size: 1
    .uses_dynamic_stack: false
    .vgpr_count:     19
    .vgpr_spill_count: 0
    .wavefront_size: 64
  - .agpr_count:     0
    .args:
      - .offset:         0
        .size:           4
        .value_kind:     by_value
      - .offset:         4
        .size:           4
        .value_kind:     by_value
      - .offset:         8
        .size:           4
        .value_kind:     by_value
      - .offset:         12
        .size:           4
        .value_kind:     by_value
      - .offset:         16
        .size:           4
        .value_kind:     by_value
      - .offset:         20
        .size:           4
        .value_kind:     by_value
      - .offset:         24
        .size:           4
        .value_kind:     by_value
      - .offset:         32
        .size:           8
        .value_kind:     by_value
      - .offset:         40
        .size:           8
        .value_kind:     by_value
      - .actual_access:  read_only
        .address_space:  global
        .offset:         48
        .size:           8
        .value_kind:     global_buffer
      - .offset:         56
        .size:           8
        .value_kind:     by_value
      - .actual_access:  read_only
        .address_space:  global
        .offset:         64
        .size:           8
        .value_kind:     global_buffer
      - .offset:         72
        .size:           8
        .value_kind:     by_value
      - .offset:         80
        .size:           8
        .value_kind:     by_value
      - .address_space:  global
        .offset:         88
        .size:           8
        .value_kind:     global_buffer
      - .actual_access:  read_only
        .address_space:  global
        .offset:         96
        .size:           8
        .value_kind:     global_buffer
      - .actual_access:  read_only
        .address_space:  global
        .offset:         104
        .size:           8
        .value_kind:     global_buffer
      - .offset:         112
        .size:           4
        .value_kind:     by_value
      - .offset:         116
        .size:           1
        .value_kind:     by_value
    .group_segment_fixed_size: 2048
    .kernarg_segment_align: 8
    .kernarg_segment_size: 120
    .language:       OpenCL C
    .language_version:
      - 2
      - 0
    .max_flat_workgroup_size: 512
    .name:           _ZN9rocsparseL16sddmm_csx_kernelILi512ELi1EL20rocsparse_direction_0EfliDF16_DF16_fEEv20rocsparse_operation_S2_16rocsparse_order_S3_T4_S4_S4_T3_NS_24const_host_device_scalarIT2_EEPKT5_lPKT6_lS8_PT7_PKS5_PKS4_21rocsparse_index_base_b
    .private_segment_fixed_size: 0
    .sgpr_count:     34
    .sgpr_spill_count: 0
    .symbol:         _ZN9rocsparseL16sddmm_csx_kernelILi512ELi1EL20rocsparse_direction_0EfliDF16_DF16_fEEv20rocsparse_operation_S2_16rocsparse_order_S3_T4_S4_S4_T3_NS_24const_host_device_scalarIT2_EEPKT5_lPKT6_lS8_PT7_PKS5_PKS4_21rocsparse_index_base_b.kd
    .uniform_work_group_size: 1
    .uses_dynamic_stack: false
    .vgpr_count:     14
    .vgpr_spill_count: 0
    .wavefront_size: 64
  - .agpr_count:     0
    .args:
      - .offset:         0
        .size:           4
        .value_kind:     by_value
      - .offset:         4
        .size:           4
        .value_kind:     by_value
      - .offset:         8
        .size:           4
        .value_kind:     by_value
      - .offset:         12
        .size:           4
        .value_kind:     by_value
      - .offset:         16
        .size:           8
        .value_kind:     by_value
      - .offset:         24
        .size:           8
        .value_kind:     by_value
      - .offset:         32
        .size:           8
        .value_kind:     by_value
      - .offset:         40
        .size:           8
        .value_kind:     by_value
      - .offset:         48
        .size:           8
        .value_kind:     by_value
      - .actual_access:  read_only
        .address_space:  global
        .offset:         56
        .size:           8
        .value_kind:     global_buffer
      - .offset:         64
        .size:           8
        .value_kind:     by_value
      - .actual_access:  read_only
        .address_space:  global
        .offset:         72
        .size:           8
        .value_kind:     global_buffer
      - .offset:         80
        .size:           8
        .value_kind:     by_value
      - .offset:         88
        .size:           8
        .value_kind:     by_value
      - .address_space:  global
        .offset:         96
        .size:           8
        .value_kind:     global_buffer
      - .actual_access:  read_only
        .address_space:  global
        .offset:         104
        .size:           8
        .value_kind:     global_buffer
      - .actual_access:  read_only
        .address_space:  global
        .offset:         112
        .size:           8
        .value_kind:     global_buffer
      - .offset:         120
        .size:           4
        .value_kind:     by_value
      - .offset:         124
        .size:           1
        .value_kind:     by_value
    .group_segment_fixed_size: 2048
    .kernarg_segment_align: 8
    .kernarg_segment_size: 128
    .language:       OpenCL C
    .language_version:
      - 2
      - 0
    .max_flat_workgroup_size: 512
    .name:           _ZN9rocsparseL16sddmm_csx_kernelILi512ELi8EL20rocsparse_direction_0EfllDF16_DF16_fEEv20rocsparse_operation_S2_16rocsparse_order_S3_T4_S4_S4_T3_NS_24const_host_device_scalarIT2_EEPKT5_lPKT6_lS8_PT7_PKS5_PKS4_21rocsparse_index_base_b
    .private_segment_fixed_size: 0
    .sgpr_count:     44
    .sgpr_spill_count: 0
    .symbol:         _ZN9rocsparseL16sddmm_csx_kernelILi512ELi8EL20rocsparse_direction_0EfllDF16_DF16_fEEv20rocsparse_operation_S2_16rocsparse_order_S3_T4_S4_S4_T3_NS_24const_host_device_scalarIT2_EEPKT5_lPKT6_lS8_PT7_PKS5_PKS4_21rocsparse_index_base_b.kd
    .uniform_work_group_size: 1
    .uses_dynamic_stack: false
    .vgpr_count:     21
    .vgpr_spill_count: 0
    .wavefront_size: 64
  - .agpr_count:     0
    .args:
      - .offset:         0
        .size:           4
        .value_kind:     by_value
      - .offset:         4
        .size:           4
        .value_kind:     by_value
      - .offset:         8
        .size:           4
        .value_kind:     by_value
      - .offset:         12
        .size:           4
        .value_kind:     by_value
      - .offset:         16
        .size:           8
        .value_kind:     by_value
      - .offset:         24
        .size:           8
        .value_kind:     by_value
      - .offset:         32
        .size:           8
        .value_kind:     by_value
      - .offset:         40
        .size:           8
        .value_kind:     by_value
      - .offset:         48
        .size:           8
        .value_kind:     by_value
      - .actual_access:  read_only
        .address_space:  global
        .offset:         56
        .size:           8
        .value_kind:     global_buffer
      - .offset:         64
        .size:           8
        .value_kind:     by_value
      - .actual_access:  read_only
        .address_space:  global
        .offset:         72
        .size:           8
        .value_kind:     global_buffer
      - .offset:         80
        .size:           8
        .value_kind:     by_value
      - .offset:         88
        .size:           8
        .value_kind:     by_value
      - .address_space:  global
        .offset:         96
        .size:           8
        .value_kind:     global_buffer
      - .actual_access:  read_only
        .address_space:  global
        .offset:         104
        .size:           8
        .value_kind:     global_buffer
      - .actual_access:  read_only
        .address_space:  global
        .offset:         112
        .size:           8
        .value_kind:     global_buffer
      - .offset:         120
        .size:           4
        .value_kind:     by_value
      - .offset:         124
        .size:           1
        .value_kind:     by_value
    .group_segment_fixed_size: 2048
    .kernarg_segment_align: 8
    .kernarg_segment_size: 128
    .language:       OpenCL C
    .language_version:
      - 2
      - 0
    .max_flat_workgroup_size: 512
    .name:           _ZN9rocsparseL16sddmm_csx_kernelILi512ELi4EL20rocsparse_direction_0EfllDF16_DF16_fEEv20rocsparse_operation_S2_16rocsparse_order_S3_T4_S4_S4_T3_NS_24const_host_device_scalarIT2_EEPKT5_lPKT6_lS8_PT7_PKS5_PKS4_21rocsparse_index_base_b
    .private_segment_fixed_size: 0
    .sgpr_count:     42
    .sgpr_spill_count: 0
    .symbol:         _ZN9rocsparseL16sddmm_csx_kernelILi512ELi4EL20rocsparse_direction_0EfllDF16_DF16_fEEv20rocsparse_operation_S2_16rocsparse_order_S3_T4_S4_S4_T3_NS_24const_host_device_scalarIT2_EEPKT5_lPKT6_lS8_PT7_PKS5_PKS4_21rocsparse_index_base_b.kd
    .uniform_work_group_size: 1
    .uses_dynamic_stack: false
    .vgpr_count:     21
    .vgpr_spill_count: 0
    .wavefront_size: 64
  - .agpr_count:     0
    .args:
      - .offset:         0
        .size:           4
        .value_kind:     by_value
      - .offset:         4
        .size:           4
        .value_kind:     by_value
      - .offset:         8
        .size:           4
        .value_kind:     by_value
      - .offset:         12
        .size:           4
        .value_kind:     by_value
      - .offset:         16
        .size:           8
        .value_kind:     by_value
      - .offset:         24
        .size:           8
        .value_kind:     by_value
      - .offset:         32
        .size:           8
        .value_kind:     by_value
      - .offset:         40
        .size:           8
        .value_kind:     by_value
      - .offset:         48
        .size:           8
        .value_kind:     by_value
      - .actual_access:  read_only
        .address_space:  global
        .offset:         56
        .size:           8
        .value_kind:     global_buffer
      - .offset:         64
        .size:           8
        .value_kind:     by_value
      - .actual_access:  read_only
        .address_space:  global
        .offset:         72
        .size:           8
        .value_kind:     global_buffer
      - .offset:         80
        .size:           8
        .value_kind:     by_value
      - .offset:         88
        .size:           8
        .value_kind:     by_value
      - .address_space:  global
        .offset:         96
        .size:           8
        .value_kind:     global_buffer
      - .actual_access:  read_only
        .address_space:  global
        .offset:         104
        .size:           8
        .value_kind:     global_buffer
      - .actual_access:  read_only
        .address_space:  global
        .offset:         112
        .size:           8
        .value_kind:     global_buffer
      - .offset:         120
        .size:           4
        .value_kind:     by_value
      - .offset:         124
        .size:           1
        .value_kind:     by_value
    .group_segment_fixed_size: 2048
    .kernarg_segment_align: 8
    .kernarg_segment_size: 128
    .language:       OpenCL C
    .language_version:
      - 2
      - 0
    .max_flat_workgroup_size: 512
    .name:           _ZN9rocsparseL16sddmm_csx_kernelILi512ELi2EL20rocsparse_direction_0EfllDF16_DF16_fEEv20rocsparse_operation_S2_16rocsparse_order_S3_T4_S4_S4_T3_NS_24const_host_device_scalarIT2_EEPKT5_lPKT6_lS8_PT7_PKS5_PKS4_21rocsparse_index_base_b
    .private_segment_fixed_size: 0
    .sgpr_count:     38
    .sgpr_spill_count: 0
    .symbol:         _ZN9rocsparseL16sddmm_csx_kernelILi512ELi2EL20rocsparse_direction_0EfllDF16_DF16_fEEv20rocsparse_operation_S2_16rocsparse_order_S3_T4_S4_S4_T3_NS_24const_host_device_scalarIT2_EEPKT5_lPKT6_lS8_PT7_PKS5_PKS4_21rocsparse_index_base_b.kd
    .uniform_work_group_size: 1
    .uses_dynamic_stack: false
    .vgpr_count:     21
    .vgpr_spill_count: 0
    .wavefront_size: 64
  - .agpr_count:     0
    .args:
      - .offset:         0
        .size:           4
        .value_kind:     by_value
      - .offset:         4
        .size:           4
        .value_kind:     by_value
      - .offset:         8
        .size:           4
        .value_kind:     by_value
      - .offset:         12
        .size:           4
        .value_kind:     by_value
      - .offset:         16
        .size:           8
        .value_kind:     by_value
      - .offset:         24
        .size:           8
        .value_kind:     by_value
      - .offset:         32
        .size:           8
        .value_kind:     by_value
      - .offset:         40
        .size:           8
        .value_kind:     by_value
      - .offset:         48
        .size:           8
        .value_kind:     by_value
      - .actual_access:  read_only
        .address_space:  global
        .offset:         56
        .size:           8
        .value_kind:     global_buffer
      - .offset:         64
        .size:           8
        .value_kind:     by_value
      - .actual_access:  read_only
        .address_space:  global
        .offset:         72
        .size:           8
        .value_kind:     global_buffer
      - .offset:         80
        .size:           8
        .value_kind:     by_value
      - .offset:         88
        .size:           8
        .value_kind:     by_value
      - .address_space:  global
        .offset:         96
        .size:           8
        .value_kind:     global_buffer
      - .actual_access:  read_only
        .address_space:  global
        .offset:         104
        .size:           8
        .value_kind:     global_buffer
      - .actual_access:  read_only
        .address_space:  global
        .offset:         112
        .size:           8
        .value_kind:     global_buffer
      - .offset:         120
        .size:           4
        .value_kind:     by_value
      - .offset:         124
        .size:           1
        .value_kind:     by_value
    .group_segment_fixed_size: 2048
    .kernarg_segment_align: 8
    .kernarg_segment_size: 128
    .language:       OpenCL C
    .language_version:
      - 2
      - 0
    .max_flat_workgroup_size: 512
    .name:           _ZN9rocsparseL16sddmm_csx_kernelILi512ELi1EL20rocsparse_direction_0EfllDF16_DF16_fEEv20rocsparse_operation_S2_16rocsparse_order_S3_T4_S4_S4_T3_NS_24const_host_device_scalarIT2_EEPKT5_lPKT6_lS8_PT7_PKS5_PKS4_21rocsparse_index_base_b
    .private_segment_fixed_size: 0
    .sgpr_count:     38
    .sgpr_spill_count: 0
    .symbol:         _ZN9rocsparseL16sddmm_csx_kernelILi512ELi1EL20rocsparse_direction_0EfllDF16_DF16_fEEv20rocsparse_operation_S2_16rocsparse_order_S3_T4_S4_S4_T3_NS_24const_host_device_scalarIT2_EEPKT5_lPKT6_lS8_PT7_PKS5_PKS4_21rocsparse_index_base_b.kd
    .uniform_work_group_size: 1
    .uses_dynamic_stack: false
    .vgpr_count:     14
    .vgpr_spill_count: 0
    .wavefront_size: 64
amdhsa.target:   amdgcn-amd-amdhsa--gfx950
amdhsa.version:
  - 1
  - 2
...

	.end_amdgpu_metadata
